;; amdgpu-corpus repo=ROCm/rocSPARSE kind=compiled arch=gfx1250 opt=O3
	.amdgcn_target "amdgcn-amd-amdhsa--gfx1250"
	.amdhsa_code_object_version 6
	.section	.text._ZN9rocsparseL46csrmvn_preprocess_device_32_bins_3phase_phase1ILj256EiiEEvT1_PKT0_PS1_S5_,"axG",@progbits,_ZN9rocsparseL46csrmvn_preprocess_device_32_bins_3phase_phase1ILj256EiiEEvT1_PKT0_PS1_S5_,comdat
	.globl	_ZN9rocsparseL46csrmvn_preprocess_device_32_bins_3phase_phase1ILj256EiiEEvT1_PKT0_PS1_S5_ ; -- Begin function _ZN9rocsparseL46csrmvn_preprocess_device_32_bins_3phase_phase1ILj256EiiEEvT1_PKT0_PS1_S5_
	.p2align	8
	.type	_ZN9rocsparseL46csrmvn_preprocess_device_32_bins_3phase_phase1ILj256EiiEEvT1_PKT0_PS1_S5_,@function
_ZN9rocsparseL46csrmvn_preprocess_device_32_bins_3phase_phase1ILj256EiiEEvT1_PKT0_PS1_S5_: ; @_ZN9rocsparseL46csrmvn_preprocess_device_32_bins_3phase_phase1ILj256EiiEEvT1_PKT0_PS1_S5_
; %bb.0:
	s_load_b32 s2, s[0:1], 0x0
	s_bfe_u32 s3, ttmp6, 0x4000c
	s_and_b32 s4, ttmp6, 15
	s_add_co_i32 s3, s3, 1
	s_getreg_b32 s5, hwreg(HW_REG_IB_STS2, 6, 4)
	s_mul_i32 s3, ttmp9, s3
	s_delay_alu instid0(SALU_CYCLE_1)
	s_add_co_i32 s4, s4, s3
	s_cmp_eq_u32 s5, 0
	s_cselect_b32 s3, ttmp9, s4
	s_mov_b32 s4, exec_lo
	v_lshl_or_b32 v0, s3, 8, v0
	s_mov_b32 s3, 0
	s_wait_kmcnt 0x0
	s_delay_alu instid0(VALU_DEP_1)
	v_cmpx_gt_i32_e64 s2, v0
	s_cbranch_execz .LBB0_3
; %bb.1:
	s_clause 0x1
	s_load_b96 s[8:10], s[0:1], 0x18
	s_load_b128 s[4:7], s[0:1], 0x8
	v_mov_b32_e32 v2, 1
	s_wait_kmcnt 0x0
	s_lshl_b32 s0, s10, 8
.LBB0_2:                                ; =>This Inner Loop Header: Depth=1
	v_ashrrev_i32_e32 v1, 31, v0
	s_delay_alu instid0(VALU_DEP_1) | instskip(SKIP_3) | instid1(VALU_DEP_1)
	v_lshl_add_u64 v[4:5], v[0:1], 2, s[4:5]
	global_load_b64 v[4:5], v[4:5], off
	s_wait_loadcnt 0x0
	v_sub_nc_u32_e32 v1, v5, v4
	v_cvt_f32_i32_e32 v1, v1
	s_delay_alu instid0(VALU_DEP_1) | instskip(SKIP_1) | instid1(VALU_DEP_1)
	v_cmp_gt_f32_e32 vcc_lo, 0x800000, v1
	v_cndmask_b32_e64 v3, 0, 32, vcc_lo
	v_ldexp_f32 v1, v1, v3
	v_cndmask_b32_e64 v3, 0, 0x42000000, vcc_lo
	v_cmp_ne_u32_e32 vcc_lo, v5, v4
	s_delay_alu instid0(VALU_DEP_3) | instskip(SKIP_1) | instid1(TRANS32_DEP_1)
	v_log_f32_e32 v1, v1
	v_nop
	v_sub_f32_e32 v1, v1, v3
	s_delay_alu instid0(VALU_DEP_1) | instskip(NEXT) | instid1(VALU_DEP_1)
	v_ceil_f32_e32 v1, v1
	v_cvt_u32_f32_e32 v1, v1
	s_delay_alu instid0(VALU_DEP_1)
	v_cndmask_b32_e32 v1, 0, v1, vcc_lo
	global_atomic_add_u32 v1, v1, v2, s[8:9] scale_offset th:TH_ATOMIC_RETURN scope:SCOPE_DEV
	s_wait_loadcnt 0x0
	global_store_b32 v0, v1, s[6:7] scale_offset
	s_wait_xcnt 0x0
	v_add_nc_u32_e32 v0, s0, v0
	s_delay_alu instid0(VALU_DEP_1) | instskip(SKIP_1) | instid1(SALU_CYCLE_1)
	v_cmp_le_i32_e32 vcc_lo, s2, v0
	s_or_b32 s3, vcc_lo, s3
	s_and_not1_b32 exec_lo, exec_lo, s3
	s_cbranch_execnz .LBB0_2
.LBB0_3:
	s_endpgm
	.section	.rodata,"a",@progbits
	.p2align	6, 0x0
	.amdhsa_kernel _ZN9rocsparseL46csrmvn_preprocess_device_32_bins_3phase_phase1ILj256EiiEEvT1_PKT0_PS1_S5_
		.amdhsa_group_segment_fixed_size 0
		.amdhsa_private_segment_fixed_size 0
		.amdhsa_kernarg_size 288
		.amdhsa_user_sgpr_count 2
		.amdhsa_user_sgpr_dispatch_ptr 0
		.amdhsa_user_sgpr_queue_ptr 0
		.amdhsa_user_sgpr_kernarg_segment_ptr 1
		.amdhsa_user_sgpr_dispatch_id 0
		.amdhsa_user_sgpr_kernarg_preload_length 0
		.amdhsa_user_sgpr_kernarg_preload_offset 0
		.amdhsa_user_sgpr_private_segment_size 0
		.amdhsa_wavefront_size32 1
		.amdhsa_uses_dynamic_stack 0
		.amdhsa_enable_private_segment 0
		.amdhsa_system_sgpr_workgroup_id_x 1
		.amdhsa_system_sgpr_workgroup_id_y 0
		.amdhsa_system_sgpr_workgroup_id_z 0
		.amdhsa_system_sgpr_workgroup_info 0
		.amdhsa_system_vgpr_workitem_id 0
		.amdhsa_next_free_vgpr 6
		.amdhsa_next_free_sgpr 11
		.amdhsa_named_barrier_count 0
		.amdhsa_reserve_vcc 1
		.amdhsa_float_round_mode_32 0
		.amdhsa_float_round_mode_16_64 0
		.amdhsa_float_denorm_mode_32 3
		.amdhsa_float_denorm_mode_16_64 3
		.amdhsa_fp16_overflow 0
		.amdhsa_memory_ordered 1
		.amdhsa_forward_progress 1
		.amdhsa_inst_pref_size 3
		.amdhsa_round_robin_scheduling 0
		.amdhsa_exception_fp_ieee_invalid_op 0
		.amdhsa_exception_fp_denorm_src 0
		.amdhsa_exception_fp_ieee_div_zero 0
		.amdhsa_exception_fp_ieee_overflow 0
		.amdhsa_exception_fp_ieee_underflow 0
		.amdhsa_exception_fp_ieee_inexact 0
		.amdhsa_exception_int_div_zero 0
	.end_amdhsa_kernel
	.section	.text._ZN9rocsparseL46csrmvn_preprocess_device_32_bins_3phase_phase1ILj256EiiEEvT1_PKT0_PS1_S5_,"axG",@progbits,_ZN9rocsparseL46csrmvn_preprocess_device_32_bins_3phase_phase1ILj256EiiEEvT1_PKT0_PS1_S5_,comdat
.Lfunc_end0:
	.size	_ZN9rocsparseL46csrmvn_preprocess_device_32_bins_3phase_phase1ILj256EiiEEvT1_PKT0_PS1_S5_, .Lfunc_end0-_ZN9rocsparseL46csrmvn_preprocess_device_32_bins_3phase_phase1ILj256EiiEEvT1_PKT0_PS1_S5_
                                        ; -- End function
	.set _ZN9rocsparseL46csrmvn_preprocess_device_32_bins_3phase_phase1ILj256EiiEEvT1_PKT0_PS1_S5_.num_vgpr, 6
	.set _ZN9rocsparseL46csrmvn_preprocess_device_32_bins_3phase_phase1ILj256EiiEEvT1_PKT0_PS1_S5_.num_agpr, 0
	.set _ZN9rocsparseL46csrmvn_preprocess_device_32_bins_3phase_phase1ILj256EiiEEvT1_PKT0_PS1_S5_.numbered_sgpr, 11
	.set _ZN9rocsparseL46csrmvn_preprocess_device_32_bins_3phase_phase1ILj256EiiEEvT1_PKT0_PS1_S5_.num_named_barrier, 0
	.set _ZN9rocsparseL46csrmvn_preprocess_device_32_bins_3phase_phase1ILj256EiiEEvT1_PKT0_PS1_S5_.private_seg_size, 0
	.set _ZN9rocsparseL46csrmvn_preprocess_device_32_bins_3phase_phase1ILj256EiiEEvT1_PKT0_PS1_S5_.uses_vcc, 1
	.set _ZN9rocsparseL46csrmvn_preprocess_device_32_bins_3phase_phase1ILj256EiiEEvT1_PKT0_PS1_S5_.uses_flat_scratch, 0
	.set _ZN9rocsparseL46csrmvn_preprocess_device_32_bins_3phase_phase1ILj256EiiEEvT1_PKT0_PS1_S5_.has_dyn_sized_stack, 0
	.set _ZN9rocsparseL46csrmvn_preprocess_device_32_bins_3phase_phase1ILj256EiiEEvT1_PKT0_PS1_S5_.has_recursion, 0
	.set _ZN9rocsparseL46csrmvn_preprocess_device_32_bins_3phase_phase1ILj256EiiEEvT1_PKT0_PS1_S5_.has_indirect_call, 0
	.section	.AMDGPU.csdata,"",@progbits
; Kernel info:
; codeLenInByte = 296
; TotalNumSgprs: 13
; NumVgprs: 6
; ScratchSize: 0
; MemoryBound: 0
; FloatMode: 240
; IeeeMode: 1
; LDSByteSize: 0 bytes/workgroup (compile time only)
; SGPRBlocks: 0
; VGPRBlocks: 0
; NumSGPRsForWavesPerEU: 13
; NumVGPRsForWavesPerEU: 6
; NamedBarCnt: 0
; Occupancy: 16
; WaveLimiterHint : 0
; COMPUTE_PGM_RSRC2:SCRATCH_EN: 0
; COMPUTE_PGM_RSRC2:USER_SGPR: 2
; COMPUTE_PGM_RSRC2:TRAP_HANDLER: 0
; COMPUTE_PGM_RSRC2:TGID_X_EN: 1
; COMPUTE_PGM_RSRC2:TGID_Y_EN: 0
; COMPUTE_PGM_RSRC2:TGID_Z_EN: 0
; COMPUTE_PGM_RSRC2:TIDIG_COMP_CNT: 0
	.section	.text._ZN9rocsparseL46csrmvn_preprocess_device_32_bins_3phase_phase2IiEEvPT_,"axG",@progbits,_ZN9rocsparseL46csrmvn_preprocess_device_32_bins_3phase_phase2IiEEvPT_,comdat
	.globl	_ZN9rocsparseL46csrmvn_preprocess_device_32_bins_3phase_phase2IiEEvPT_ ; -- Begin function _ZN9rocsparseL46csrmvn_preprocess_device_32_bins_3phase_phase2IiEEvPT_
	.p2align	8
	.type	_ZN9rocsparseL46csrmvn_preprocess_device_32_bins_3phase_phase2IiEEvPT_,@function
_ZN9rocsparseL46csrmvn_preprocess_device_32_bins_3phase_phase2IiEEvPT_: ; @_ZN9rocsparseL46csrmvn_preprocess_device_32_bins_3phase_phase2IiEEvPT_
; %bb.0:
	s_load_b64 s[34:35], s[0:1], 0x0
	s_wait_kmcnt 0x0
	s_load_b512 s[0:15], s[34:35], 0x0
	v_mov_b32_e32 v0, 0
	s_clause 0x2
	s_load_b96 s[28:30], s[34:35], 0x70
	s_load_b128 s[24:27], s[34:35], 0x60
	s_load_b256 s[16:23], s[34:35], 0x40
	s_wait_kmcnt 0x0
	s_add_co_i32 s1, s1, s0
	v_mov_b32_e32 v1, s0
	s_add_co_i32 s0, s2, s1
	s_delay_alu instid0(SALU_CYCLE_1) | instskip(SKIP_1) | instid1(SALU_CYCLE_1)
	v_dual_mov_b32 v2, s1 :: v_dual_mov_b32 v3, s0
	s_add_co_i32 s1, s3, s0
	s_add_co_i32 s0, s4, s1
	s_delay_alu instid0(SALU_CYCLE_1) | instskip(SKIP_1) | instid1(SALU_CYCLE_1)
	v_dual_mov_b32 v4, s1 :: v_dual_mov_b32 v5, s0
	s_add_co_i32 s1, s5, s0
	s_add_co_i32 s0, s6, s1
	s_delay_alu instid0(SALU_CYCLE_1)
	v_dual_mov_b32 v6, s1 :: v_dual_mov_b32 v7, s0
	s_add_co_i32 s1, s7, s0
	s_clause 0x1
	global_store_b128 v0, v[0:3], s[34:35]
	global_store_b128 v0, v[4:7], s[34:35] offset:16
	s_add_co_i32 s0, s8, s1
	s_delay_alu instid0(SALU_CYCLE_1) | instskip(SKIP_1) | instid1(SALU_CYCLE_1)
	v_dual_mov_b32 v8, s1 :: v_dual_mov_b32 v9, s0
	s_add_co_i32 s1, s9, s0
	s_add_co_i32 s0, s10, s1
	s_delay_alu instid0(SALU_CYCLE_1) | instskip(SKIP_1) | instid1(SALU_CYCLE_1)
	v_dual_mov_b32 v10, s1 :: v_dual_mov_b32 v11, s0
	s_add_co_i32 s1, s11, s0
	s_add_co_i32 s0, s12, s1
	s_wait_xcnt 0x1
	v_dual_mov_b32 v2, s1 :: v_dual_mov_b32 v3, s0
	s_add_co_i32 s1, s13, s0
	s_delay_alu instid0(SALU_CYCLE_1) | instskip(SKIP_3) | instid1(SALU_CYCLE_1)
	s_add_co_i32 s0, s14, s1
	s_wait_xcnt 0x0
	v_dual_mov_b32 v4, s1 :: v_dual_mov_b32 v5, s0
	s_add_co_i32 s1, s15, s0
	s_add_co_i32 s0, s16, s1
	s_delay_alu instid0(SALU_CYCLE_1) | instskip(SKIP_1) | instid1(SALU_CYCLE_1)
	v_dual_mov_b32 v12, s1 :: v_dual_mov_b32 v13, s0
	s_add_co_i32 s1, s17, s0
	s_add_co_i32 s0, s18, s1
	s_delay_alu instid0(SALU_CYCLE_1) | instskip(SKIP_1) | instid1(SALU_CYCLE_1)
	;; [unrolled: 4-line block ×7, first 2 shown]
	v_dual_mov_b32 v24, s1 :: v_dual_mov_b32 v25, s0
	s_add_co_i32 s1, s29, s0
	s_add_co_i32 s0, s30, s1
	s_delay_alu instid0(SALU_CYCLE_1)
	v_dual_mov_b32 v26, s1 :: v_dual_mov_b32 v27, s0
	s_clause 0x5
	global_store_b128 v0, v[8:11], s[34:35] offset:32
	global_store_b128 v0, v[2:5], s[34:35] offset:48
	;; [unrolled: 1-line block ×6, first 2 shown]
	s_endpgm
	.section	.rodata,"a",@progbits
	.p2align	6, 0x0
	.amdhsa_kernel _ZN9rocsparseL46csrmvn_preprocess_device_32_bins_3phase_phase2IiEEvPT_
		.amdhsa_group_segment_fixed_size 0
		.amdhsa_private_segment_fixed_size 0
		.amdhsa_kernarg_size 8
		.amdhsa_user_sgpr_count 2
		.amdhsa_user_sgpr_dispatch_ptr 0
		.amdhsa_user_sgpr_queue_ptr 0
		.amdhsa_user_sgpr_kernarg_segment_ptr 1
		.amdhsa_user_sgpr_dispatch_id 0
		.amdhsa_user_sgpr_kernarg_preload_length 0
		.amdhsa_user_sgpr_kernarg_preload_offset 0
		.amdhsa_user_sgpr_private_segment_size 0
		.amdhsa_wavefront_size32 1
		.amdhsa_uses_dynamic_stack 0
		.amdhsa_enable_private_segment 0
		.amdhsa_system_sgpr_workgroup_id_x 1
		.amdhsa_system_sgpr_workgroup_id_y 0
		.amdhsa_system_sgpr_workgroup_id_z 0
		.amdhsa_system_sgpr_workgroup_info 0
		.amdhsa_system_vgpr_workitem_id 0
		.amdhsa_next_free_vgpr 28
		.amdhsa_next_free_sgpr 36
		.amdhsa_named_barrier_count 0
		.amdhsa_reserve_vcc 0
		.amdhsa_float_round_mode_32 0
		.amdhsa_float_round_mode_16_64 0
		.amdhsa_float_denorm_mode_32 3
		.amdhsa_float_denorm_mode_16_64 3
		.amdhsa_fp16_overflow 0
		.amdhsa_memory_ordered 1
		.amdhsa_forward_progress 1
		.amdhsa_inst_pref_size 4
		.amdhsa_round_robin_scheduling 0
		.amdhsa_exception_fp_ieee_invalid_op 0
		.amdhsa_exception_fp_denorm_src 0
		.amdhsa_exception_fp_ieee_div_zero 0
		.amdhsa_exception_fp_ieee_overflow 0
		.amdhsa_exception_fp_ieee_underflow 0
		.amdhsa_exception_fp_ieee_inexact 0
		.amdhsa_exception_int_div_zero 0
	.end_amdhsa_kernel
	.section	.text._ZN9rocsparseL46csrmvn_preprocess_device_32_bins_3phase_phase2IiEEvPT_,"axG",@progbits,_ZN9rocsparseL46csrmvn_preprocess_device_32_bins_3phase_phase2IiEEvPT_,comdat
.Lfunc_end1:
	.size	_ZN9rocsparseL46csrmvn_preprocess_device_32_bins_3phase_phase2IiEEvPT_, .Lfunc_end1-_ZN9rocsparseL46csrmvn_preprocess_device_32_bins_3phase_phase2IiEEvPT_
                                        ; -- End function
	.set _ZN9rocsparseL46csrmvn_preprocess_device_32_bins_3phase_phase2IiEEvPT_.num_vgpr, 28
	.set _ZN9rocsparseL46csrmvn_preprocess_device_32_bins_3phase_phase2IiEEvPT_.num_agpr, 0
	.set _ZN9rocsparseL46csrmvn_preprocess_device_32_bins_3phase_phase2IiEEvPT_.numbered_sgpr, 36
	.set _ZN9rocsparseL46csrmvn_preprocess_device_32_bins_3phase_phase2IiEEvPT_.num_named_barrier, 0
	.set _ZN9rocsparseL46csrmvn_preprocess_device_32_bins_3phase_phase2IiEEvPT_.private_seg_size, 0
	.set _ZN9rocsparseL46csrmvn_preprocess_device_32_bins_3phase_phase2IiEEvPT_.uses_vcc, 0
	.set _ZN9rocsparseL46csrmvn_preprocess_device_32_bins_3phase_phase2IiEEvPT_.uses_flat_scratch, 0
	.set _ZN9rocsparseL46csrmvn_preprocess_device_32_bins_3phase_phase2IiEEvPT_.has_dyn_sized_stack, 0
	.set _ZN9rocsparseL46csrmvn_preprocess_device_32_bins_3phase_phase2IiEEvPT_.has_recursion, 0
	.set _ZN9rocsparseL46csrmvn_preprocess_device_32_bins_3phase_phase2IiEEvPT_.has_indirect_call, 0
	.section	.AMDGPU.csdata,"",@progbits
; Kernel info:
; codeLenInByte = 472
; TotalNumSgprs: 36
; NumVgprs: 28
; ScratchSize: 0
; MemoryBound: 0
; FloatMode: 240
; IeeeMode: 1
; LDSByteSize: 0 bytes/workgroup (compile time only)
; SGPRBlocks: 0
; VGPRBlocks: 1
; NumSGPRsForWavesPerEU: 36
; NumVGPRsForWavesPerEU: 28
; NamedBarCnt: 0
; Occupancy: 16
; WaveLimiterHint : 0
; COMPUTE_PGM_RSRC2:SCRATCH_EN: 0
; COMPUTE_PGM_RSRC2:USER_SGPR: 2
; COMPUTE_PGM_RSRC2:TRAP_HANDLER: 0
; COMPUTE_PGM_RSRC2:TGID_X_EN: 1
; COMPUTE_PGM_RSRC2:TGID_Y_EN: 0
; COMPUTE_PGM_RSRC2:TGID_Z_EN: 0
; COMPUTE_PGM_RSRC2:TIDIG_COMP_CNT: 0
	.section	.text._ZN9rocsparseL46csrmvn_preprocess_device_32_bins_3phase_phase3ILj256EiiEEvT1_PKT0_PKS1_S6_PS1_,"axG",@progbits,_ZN9rocsparseL46csrmvn_preprocess_device_32_bins_3phase_phase3ILj256EiiEEvT1_PKT0_PKS1_S6_PS1_,comdat
	.globl	_ZN9rocsparseL46csrmvn_preprocess_device_32_bins_3phase_phase3ILj256EiiEEvT1_PKT0_PKS1_S6_PS1_ ; -- Begin function _ZN9rocsparseL46csrmvn_preprocess_device_32_bins_3phase_phase3ILj256EiiEEvT1_PKT0_PKS1_S6_PS1_
	.p2align	8
	.type	_ZN9rocsparseL46csrmvn_preprocess_device_32_bins_3phase_phase3ILj256EiiEEvT1_PKT0_PKS1_S6_PS1_,@function
_ZN9rocsparseL46csrmvn_preprocess_device_32_bins_3phase_phase3ILj256EiiEEvT1_PKT0_PKS1_S6_PS1_: ; @_ZN9rocsparseL46csrmvn_preprocess_device_32_bins_3phase_phase3ILj256EiiEEvT1_PKT0_PKS1_S6_PS1_
; %bb.0:
	s_load_b32 s2, s[0:1], 0x0
	s_bfe_u32 s3, ttmp6, 0x4000c
	s_and_b32 s4, ttmp6, 15
	s_add_co_i32 s3, s3, 1
	s_getreg_b32 s5, hwreg(HW_REG_IB_STS2, 6, 4)
	s_mul_i32 s3, ttmp9, s3
	s_delay_alu instid0(SALU_CYCLE_1)
	s_add_co_i32 s4, s4, s3
	s_cmp_eq_u32 s5, 0
	s_cselect_b32 s3, ttmp9, s4
	s_mov_b32 s4, exec_lo
	v_lshl_or_b32 v0, s3, 8, v0
	s_mov_b32 s3, 0
	s_wait_kmcnt 0x0
	s_delay_alu instid0(VALU_DEP_1)
	v_cmpx_gt_i32_e64 s2, v0
	s_cbranch_execz .LBB2_3
; %bb.1:
	s_clause 0x1
	s_load_b32 s12, s[0:1], 0x28
	s_load_b256 s[4:11], s[0:1], 0x8
	s_wait_kmcnt 0x0
	s_lshl_b32 s0, s12, 8
.LBB2_2:                                ; =>This Inner Loop Header: Depth=1
	v_ashrrev_i32_e32 v1, 31, v0
	s_delay_alu instid0(VALU_DEP_1) | instskip(SKIP_3) | instid1(VALU_DEP_1)
	v_lshl_add_u64 v[2:3], v[0:1], 2, s[4:5]
	global_load_b64 v[2:3], v[2:3], off
	s_wait_loadcnt 0x0
	v_sub_nc_u32_e32 v1, v3, v2
	v_cvt_f32_i32_e32 v1, v1
	s_delay_alu instid0(VALU_DEP_1) | instskip(SKIP_1) | instid1(VALU_DEP_1)
	v_cmp_gt_f32_e32 vcc_lo, 0x800000, v1
	v_cndmask_b32_e64 v4, 0, 32, vcc_lo
	v_ldexp_f32 v1, v1, v4
	v_cndmask_b32_e64 v4, 0, 0x42000000, vcc_lo
	v_cmp_ne_u32_e32 vcc_lo, v3, v2
	s_delay_alu instid0(VALU_DEP_3) | instskip(SKIP_1) | instid1(TRANS32_DEP_1)
	v_log_f32_e32 v1, v1
	v_nop
	v_sub_f32_e32 v1, v1, v4
	s_delay_alu instid0(VALU_DEP_1) | instskip(NEXT) | instid1(VALU_DEP_1)
	v_ceil_f32_e32 v1, v1
	v_cvt_u32_f32_e32 v1, v1
	s_delay_alu instid0(VALU_DEP_1)
	v_cndmask_b32_e32 v1, 0, v1, vcc_lo
	global_load_b32 v2, v0, s[6:7] scale_offset
	global_load_b32 v3, v1, s[8:9] scale_offset
	s_wait_loadcnt 0x0
	s_wait_xcnt 0x0
	v_add_nc_u32_e32 v1, v2, v3
	global_store_b32 v1, v0, s[10:11] scale_offset
	s_wait_xcnt 0x0
	v_add_nc_u32_e32 v0, s0, v0
	s_delay_alu instid0(VALU_DEP_1) | instskip(SKIP_1) | instid1(SALU_CYCLE_1)
	v_cmp_le_i32_e32 vcc_lo, s2, v0
	s_or_b32 s3, vcc_lo, s3
	s_and_not1_b32 exec_lo, exec_lo, s3
	s_cbranch_execnz .LBB2_2
.LBB2_3:
	s_endpgm
	.section	.rodata,"a",@progbits
	.p2align	6, 0x0
	.amdhsa_kernel _ZN9rocsparseL46csrmvn_preprocess_device_32_bins_3phase_phase3ILj256EiiEEvT1_PKT0_PKS1_S6_PS1_
		.amdhsa_group_segment_fixed_size 0
		.amdhsa_private_segment_fixed_size 0
		.amdhsa_kernarg_size 296
		.amdhsa_user_sgpr_count 2
		.amdhsa_user_sgpr_dispatch_ptr 0
		.amdhsa_user_sgpr_queue_ptr 0
		.amdhsa_user_sgpr_kernarg_segment_ptr 1
		.amdhsa_user_sgpr_dispatch_id 0
		.amdhsa_user_sgpr_kernarg_preload_length 0
		.amdhsa_user_sgpr_kernarg_preload_offset 0
		.amdhsa_user_sgpr_private_segment_size 0
		.amdhsa_wavefront_size32 1
		.amdhsa_uses_dynamic_stack 0
		.amdhsa_enable_private_segment 0
		.amdhsa_system_sgpr_workgroup_id_x 1
		.amdhsa_system_sgpr_workgroup_id_y 0
		.amdhsa_system_sgpr_workgroup_id_z 0
		.amdhsa_system_sgpr_workgroup_info 0
		.amdhsa_system_vgpr_workitem_id 0
		.amdhsa_next_free_vgpr 5
		.amdhsa_next_free_sgpr 13
		.amdhsa_named_barrier_count 0
		.amdhsa_reserve_vcc 1
		.amdhsa_float_round_mode_32 0
		.amdhsa_float_round_mode_16_64 0
		.amdhsa_float_denorm_mode_32 3
		.amdhsa_float_denorm_mode_16_64 3
		.amdhsa_fp16_overflow 0
		.amdhsa_memory_ordered 1
		.amdhsa_forward_progress 1
		.amdhsa_inst_pref_size 3
		.amdhsa_round_robin_scheduling 0
		.amdhsa_exception_fp_ieee_invalid_op 0
		.amdhsa_exception_fp_denorm_src 0
		.amdhsa_exception_fp_ieee_div_zero 0
		.amdhsa_exception_fp_ieee_overflow 0
		.amdhsa_exception_fp_ieee_underflow 0
		.amdhsa_exception_fp_ieee_inexact 0
		.amdhsa_exception_int_div_zero 0
	.end_amdhsa_kernel
	.section	.text._ZN9rocsparseL46csrmvn_preprocess_device_32_bins_3phase_phase3ILj256EiiEEvT1_PKT0_PKS1_S6_PS1_,"axG",@progbits,_ZN9rocsparseL46csrmvn_preprocess_device_32_bins_3phase_phase3ILj256EiiEEvT1_PKT0_PKS1_S6_PS1_,comdat
.Lfunc_end2:
	.size	_ZN9rocsparseL46csrmvn_preprocess_device_32_bins_3phase_phase3ILj256EiiEEvT1_PKT0_PKS1_S6_PS1_, .Lfunc_end2-_ZN9rocsparseL46csrmvn_preprocess_device_32_bins_3phase_phase3ILj256EiiEEvT1_PKT0_PKS1_S6_PS1_
                                        ; -- End function
	.set _ZN9rocsparseL46csrmvn_preprocess_device_32_bins_3phase_phase3ILj256EiiEEvT1_PKT0_PKS1_S6_PS1_.num_vgpr, 5
	.set _ZN9rocsparseL46csrmvn_preprocess_device_32_bins_3phase_phase3ILj256EiiEEvT1_PKT0_PKS1_S6_PS1_.num_agpr, 0
	.set _ZN9rocsparseL46csrmvn_preprocess_device_32_bins_3phase_phase3ILj256EiiEEvT1_PKT0_PKS1_S6_PS1_.numbered_sgpr, 13
	.set _ZN9rocsparseL46csrmvn_preprocess_device_32_bins_3phase_phase3ILj256EiiEEvT1_PKT0_PKS1_S6_PS1_.num_named_barrier, 0
	.set _ZN9rocsparseL46csrmvn_preprocess_device_32_bins_3phase_phase3ILj256EiiEEvT1_PKT0_PKS1_S6_PS1_.private_seg_size, 0
	.set _ZN9rocsparseL46csrmvn_preprocess_device_32_bins_3phase_phase3ILj256EiiEEvT1_PKT0_PKS1_S6_PS1_.uses_vcc, 1
	.set _ZN9rocsparseL46csrmvn_preprocess_device_32_bins_3phase_phase3ILj256EiiEEvT1_PKT0_PKS1_S6_PS1_.uses_flat_scratch, 0
	.set _ZN9rocsparseL46csrmvn_preprocess_device_32_bins_3phase_phase3ILj256EiiEEvT1_PKT0_PKS1_S6_PS1_.has_dyn_sized_stack, 0
	.set _ZN9rocsparseL46csrmvn_preprocess_device_32_bins_3phase_phase3ILj256EiiEEvT1_PKT0_PKS1_S6_PS1_.has_recursion, 0
	.set _ZN9rocsparseL46csrmvn_preprocess_device_32_bins_3phase_phase3ILj256EiiEEvT1_PKT0_PKS1_S6_PS1_.has_indirect_call, 0
	.section	.AMDGPU.csdata,"",@progbits
; Kernel info:
; codeLenInByte = 312
; TotalNumSgprs: 15
; NumVgprs: 5
; ScratchSize: 0
; MemoryBound: 0
; FloatMode: 240
; IeeeMode: 1
; LDSByteSize: 0 bytes/workgroup (compile time only)
; SGPRBlocks: 0
; VGPRBlocks: 0
; NumSGPRsForWavesPerEU: 15
; NumVGPRsForWavesPerEU: 5
; NamedBarCnt: 0
; Occupancy: 16
; WaveLimiterHint : 1
; COMPUTE_PGM_RSRC2:SCRATCH_EN: 0
; COMPUTE_PGM_RSRC2:USER_SGPR: 2
; COMPUTE_PGM_RSRC2:TRAP_HANDLER: 0
; COMPUTE_PGM_RSRC2:TGID_X_EN: 1
; COMPUTE_PGM_RSRC2:TGID_Y_EN: 0
; COMPUTE_PGM_RSRC2:TGID_Z_EN: 0
; COMPUTE_PGM_RSRC2:TIDIG_COMP_CNT: 0
	.section	.text._ZN9rocsparseL46csrmvn_preprocess_device_32_bins_3phase_phase1ILj256EliEEvT1_PKT0_PS1_S5_,"axG",@progbits,_ZN9rocsparseL46csrmvn_preprocess_device_32_bins_3phase_phase1ILj256EliEEvT1_PKT0_PS1_S5_,comdat
	.globl	_ZN9rocsparseL46csrmvn_preprocess_device_32_bins_3phase_phase1ILj256EliEEvT1_PKT0_PS1_S5_ ; -- Begin function _ZN9rocsparseL46csrmvn_preprocess_device_32_bins_3phase_phase1ILj256EliEEvT1_PKT0_PS1_S5_
	.p2align	8
	.type	_ZN9rocsparseL46csrmvn_preprocess_device_32_bins_3phase_phase1ILj256EliEEvT1_PKT0_PS1_S5_,@function
_ZN9rocsparseL46csrmvn_preprocess_device_32_bins_3phase_phase1ILj256EliEEvT1_PKT0_PS1_S5_: ; @_ZN9rocsparseL46csrmvn_preprocess_device_32_bins_3phase_phase1ILj256EliEEvT1_PKT0_PS1_S5_
; %bb.0:
	s_load_b32 s11, s[0:1], 0x0
	s_bfe_u32 s2, ttmp6, 0x4000c
	s_and_b32 s3, ttmp6, 15
	s_add_co_i32 s2, s2, 1
	s_getreg_b32 s4, hwreg(HW_REG_IB_STS2, 6, 4)
	s_mul_i32 s2, ttmp9, s2
	s_mov_b32 s12, 0
	s_add_co_i32 s3, s3, s2
	s_cmp_eq_u32 s4, 0
	s_cselect_b32 s2, ttmp9, s3
	s_delay_alu instid0(SALU_CYCLE_1) | instskip(SKIP_2) | instid1(VALU_DEP_1)
	v_lshl_or_b32 v4, s2, 8, v0
	s_mov_b32 s2, exec_lo
	s_wait_kmcnt 0x0
	v_cmpx_gt_i32_e64 s11, v4
	s_cbranch_execz .LBB3_5
; %bb.1:
	s_clause 0x1
	s_load_b96 s[8:10], s[0:1], 0x18
	s_load_b128 s[4:7], s[0:1], 0x8
	v_mov_b64_e32 v[6:7], 0x3fc385386b47b09a
	v_dual_mov_b32 v9, 0 :: v_dual_mov_b32 v12, 1
	s_wait_xcnt 0x0
	s_mov_b64 s[0:1], 0x3fe5555555555555
	s_mov_b64 s[2:3], 0x3ff71547652b82fe
                                        ; implicit-def: $vgpr0_vgpr1
                                        ; implicit-def: $vgpr0_vgpr1
	;; [unrolled: 1-line block ×5, first 2 shown]
	s_wait_kmcnt 0x0
	s_lshl_b32 s10, s10, 8
	s_branch .LBB3_3
.LBB3_2:                                ;   in Loop: Header=BB3_3 Depth=1
	s_or_b32 exec_lo, exec_lo, s13
	s_delay_alu instid0(VALU_DEP_1) | instskip(SKIP_4) | instid1(VALU_DEP_1)
	v_lshl_add_u64 v[0:1], v[10:11], 2, s[8:9]
	global_atomic_add_u32 v2, v[0:1], v12, off th:TH_ATOMIC_RETURN scope:SCOPE_DEV
	s_wait_xcnt 0x0
	v_lshl_add_u64 v[0:1], v[4:5], 2, s[6:7]
	v_add_nc_u32_e32 v4, s10, v4
	v_cmp_le_i32_e32 vcc_lo, s11, v4
	s_or_b32 s12, vcc_lo, s12
	s_wait_loadcnt 0x0
	global_store_b32 v[0:1], v2, off
	s_wait_xcnt 0x0
	s_and_not1_b32 exec_lo, exec_lo, s12
	s_cbranch_execz .LBB3_5
.LBB3_3:                                ; =>This Inner Loop Header: Depth=1
	v_ashrrev_i32_e32 v5, 31, v4
	v_mov_b64_e32 v[10:11], 0
	s_mov_b32 s13, exec_lo
	s_delay_alu instid0(VALU_DEP_2)
	v_lshl_add_u64 v[0:1], v[4:5], 3, s[4:5]
	global_load_b128 v[0:3], v[0:1], off
	s_wait_loadcnt 0x0
	s_wait_xcnt 0x0
	v_cmpx_ne_u64_e64 v[2:3], v[0:1]
	s_cbranch_execz .LBB3_2
; %bb.4:                                ;   in Loop: Header=BB3_3 Depth=1
	v_sub_nc_u64_e32 v[0:1], v[2:3], v[0:1]
	s_delay_alu instid0(VALU_DEP_1) | instskip(NEXT) | instid1(VALU_DEP_2)
	v_cvt_f64_i32_e32 v[2:3], v1
	v_cvt_f64_u32_e32 v[0:1], v0
	s_delay_alu instid0(VALU_DEP_2) | instskip(NEXT) | instid1(VALU_DEP_1)
	v_ldexp_f64 v[2:3], v[2:3], 32
	v_add_f64_e32 v[0:1], v[2:3], v[0:1]
	s_delay_alu instid0(VALU_DEP_1) | instskip(SKIP_1) | instid1(VALU_DEP_2)
	v_frexp_mant_f64_e32 v[2:3], v[0:1]
	v_frexp_exp_i32_f64_e32 v0, v[0:1]
	v_cmp_gt_f64_e32 vcc_lo, s[0:1], v[2:3]
	v_cndmask_b32_e64 v8, 0, 1, vcc_lo
	s_delay_alu instid0(VALU_DEP_3) | instskip(NEXT) | instid1(VALU_DEP_2)
	v_subrev_co_ci_u32_e64 v0, null, 0, v0, vcc_lo
	v_ldexp_f64 v[2:3], v[2:3], v8
	s_delay_alu instid0(VALU_DEP_2) | instskip(NEXT) | instid1(VALU_DEP_2)
	v_cvt_f64_i32_e32 v[0:1], v0
	v_add_f64_e32 v[10:11], 1.0, v[2:3]
	v_add_f64_e32 v[18:19], -1.0, v[2:3]
	s_delay_alu instid0(VALU_DEP_2) | instskip(SKIP_1) | instid1(VALU_DEP_1)
	v_rcp_f64_e32 v[14:15], v[10:11]
	v_add_f64_e32 v[20:21], -1.0, v[10:11]
	v_add_f64_e64 v[2:3], v[2:3], -v[20:21]
	s_delay_alu instid0(TRANS32_DEP_1) | instskip(NEXT) | instid1(VALU_DEP_1)
	v_fma_f64 v[16:17], -v[10:11], v[14:15], 1.0
	v_fmac_f64_e32 v[14:15], v[16:17], v[14:15]
	s_delay_alu instid0(VALU_DEP_1) | instskip(NEXT) | instid1(VALU_DEP_1)
	v_fma_f64 v[16:17], -v[10:11], v[14:15], 1.0
	v_fmac_f64_e32 v[14:15], v[16:17], v[14:15]
	s_delay_alu instid0(VALU_DEP_1) | instskip(NEXT) | instid1(VALU_DEP_1)
	v_mul_f64_e32 v[16:17], v[18:19], v[14:15]
	v_mul_f64_e32 v[22:23], v[10:11], v[16:17]
	s_delay_alu instid0(VALU_DEP_1) | instskip(NEXT) | instid1(VALU_DEP_1)
	v_fma_f64 v[10:11], v[16:17], v[10:11], -v[22:23]
	v_fmac_f64_e32 v[10:11], v[16:17], v[2:3]
	s_delay_alu instid0(VALU_DEP_1) | instskip(NEXT) | instid1(VALU_DEP_1)
	v_add_f64_e32 v[2:3], v[22:23], v[10:11]
	v_add_f64_e64 v[20:21], v[18:19], -v[2:3]
	v_add_f64_e64 v[22:23], v[2:3], -v[22:23]
	s_delay_alu instid0(VALU_DEP_2) | instskip(NEXT) | instid1(VALU_DEP_2)
	v_add_f64_e64 v[18:19], v[18:19], -v[20:21]
	v_add_f64_e64 v[10:11], v[22:23], -v[10:11]
	s_delay_alu instid0(VALU_DEP_2) | instskip(NEXT) | instid1(VALU_DEP_1)
	v_add_f64_e64 v[2:3], v[18:19], -v[2:3]
	v_add_f64_e32 v[2:3], v[10:11], v[2:3]
	s_delay_alu instid0(VALU_DEP_1) | instskip(NEXT) | instid1(VALU_DEP_1)
	v_add_f64_e32 v[2:3], v[20:21], v[2:3]
	v_mul_f64_e32 v[2:3], v[14:15], v[2:3]
	s_delay_alu instid0(VALU_DEP_1) | instskip(NEXT) | instid1(VALU_DEP_1)
	v_add_f64_e32 v[10:11], v[16:17], v[2:3]
	v_mul_f64_e32 v[14:15], v[10:11], v[10:11]
	s_delay_alu instid0(VALU_DEP_1) | instskip(SKIP_1) | instid1(VALU_DEP_2)
	v_fmamk_f64 v[18:19], v[14:15], 0x3fc3ab76bf559e2b, v[6:7]
	v_mul_f64_e32 v[20:21], v[10:11], v[14:15]
	v_fmaak_f64 v[18:19], v[14:15], v[18:19], 0x3fc7474dd7f4df2e
	s_delay_alu instid0(VALU_DEP_1) | instskip(NEXT) | instid1(VALU_DEP_1)
	v_fmaak_f64 v[18:19], v[14:15], v[18:19], 0x3fcc71c016291751
	v_fmaak_f64 v[18:19], v[14:15], v[18:19], 0x3fd249249b27acf1
	s_delay_alu instid0(VALU_DEP_1) | instskip(NEXT) | instid1(VALU_DEP_1)
	v_fmaak_f64 v[18:19], v[14:15], v[18:19], 0x3fd99999998ef7b6
	v_fmaak_f64 v[14:15], v[14:15], v[18:19], 0x3fe5555555555780
	v_ldexp_f64 v[18:19], v[10:11], 1
	v_add_f64_e64 v[10:11], v[10:11], -v[16:17]
	s_delay_alu instid0(VALU_DEP_3) | instskip(NEXT) | instid1(VALU_DEP_2)
	v_mul_f64_e32 v[14:15], v[20:21], v[14:15]
	v_add_f64_e64 v[2:3], v[2:3], -v[10:11]
	s_delay_alu instid0(VALU_DEP_2) | instskip(NEXT) | instid1(VALU_DEP_2)
	v_add_f64_e32 v[16:17], v[18:19], v[14:15]
	v_ldexp_f64 v[2:3], v[2:3], 1
	s_delay_alu instid0(VALU_DEP_2) | instskip(NEXT) | instid1(VALU_DEP_1)
	v_add_f64_e64 v[10:11], v[16:17], -v[18:19]
	v_add_f64_e64 v[10:11], v[14:15], -v[10:11]
	s_delay_alu instid0(VALU_DEP_1) | instskip(NEXT) | instid1(VALU_DEP_1)
	v_add_f64_e32 v[2:3], v[2:3], v[10:11]
	v_add_f64_e32 v[10:11], v[16:17], v[2:3]
	s_delay_alu instid0(VALU_DEP_1) | instskip(SKIP_1) | instid1(VALU_DEP_2)
	v_add_f64_e64 v[14:15], v[10:11], -v[16:17]
	v_mul_f64_e32 v[16:17], 0x3ff71547652b82fe, v[10:11]
	v_add_f64_e64 v[2:3], v[2:3], -v[14:15]
	s_delay_alu instid0(VALU_DEP_2) | instskip(NEXT) | instid1(VALU_DEP_1)
	v_fma_f64 v[14:15], v[10:11], s[2:3], -v[16:17]
	v_fmac_f64_e32 v[14:15], 0x3ff71547652b82fe, v[2:3]
	s_delay_alu instid0(VALU_DEP_1) | instskip(NEXT) | instid1(VALU_DEP_1)
	v_fmac_f64_e32 v[14:15], 0x3c7777d0ffda0d24, v[10:11]
	v_add_f64_e32 v[2:3], v[16:17], v[14:15]
	s_delay_alu instid0(VALU_DEP_1) | instskip(SKIP_1) | instid1(VALU_DEP_2)
	v_add_f64_e32 v[10:11], v[2:3], v[0:1]
	v_add_f64_e64 v[16:17], v[2:3], -v[16:17]
	v_add_f64_e64 v[18:19], v[10:11], -v[0:1]
	s_delay_alu instid0(VALU_DEP_2) | instskip(NEXT) | instid1(VALU_DEP_2)
	v_add_f64_e64 v[14:15], v[14:15], -v[16:17]
	v_add_f64_e64 v[20:21], v[18:19], -v[10:11]
	;; [unrolled: 1-line block ×3, first 2 shown]
	s_delay_alu instid0(VALU_DEP_2) | instskip(NEXT) | instid1(VALU_DEP_1)
	v_add_f64_e32 v[0:1], v[20:21], v[0:1]
	v_add_f64_e32 v[0:1], v[2:3], v[0:1]
	s_delay_alu instid0(VALU_DEP_1) | instskip(NEXT) | instid1(VALU_DEP_1)
	v_add_f64_e32 v[0:1], v[14:15], v[0:1]
	v_add_f64_e32 v[0:1], v[10:11], v[0:1]
	s_delay_alu instid0(VALU_DEP_1) | instskip(NEXT) | instid1(VALU_DEP_1)
	v_ceil_f64_e32 v[0:1], v[0:1]
	v_cvt_u32_f64_e32 v8, v[0:1]
	s_delay_alu instid0(VALU_DEP_1)
	v_mov_b64_e32 v[10:11], v[8:9]
	s_branch .LBB3_2
.LBB3_5:
	s_endpgm
	.section	.rodata,"a",@progbits
	.p2align	6, 0x0
	.amdhsa_kernel _ZN9rocsparseL46csrmvn_preprocess_device_32_bins_3phase_phase1ILj256EliEEvT1_PKT0_PS1_S5_
		.amdhsa_group_segment_fixed_size 0
		.amdhsa_private_segment_fixed_size 0
		.amdhsa_kernarg_size 288
		.amdhsa_user_sgpr_count 2
		.amdhsa_user_sgpr_dispatch_ptr 0
		.amdhsa_user_sgpr_queue_ptr 0
		.amdhsa_user_sgpr_kernarg_segment_ptr 1
		.amdhsa_user_sgpr_dispatch_id 0
		.amdhsa_user_sgpr_kernarg_preload_length 0
		.amdhsa_user_sgpr_kernarg_preload_offset 0
		.amdhsa_user_sgpr_private_segment_size 0
		.amdhsa_wavefront_size32 1
		.amdhsa_uses_dynamic_stack 0
		.amdhsa_enable_private_segment 0
		.amdhsa_system_sgpr_workgroup_id_x 1
		.amdhsa_system_sgpr_workgroup_id_y 0
		.amdhsa_system_sgpr_workgroup_id_z 0
		.amdhsa_system_sgpr_workgroup_info 0
		.amdhsa_system_vgpr_workitem_id 0
		.amdhsa_next_free_vgpr 24
		.amdhsa_next_free_sgpr 14
		.amdhsa_named_barrier_count 0
		.amdhsa_reserve_vcc 1
		.amdhsa_float_round_mode_32 0
		.amdhsa_float_round_mode_16_64 0
		.amdhsa_float_denorm_mode_32 3
		.amdhsa_float_denorm_mode_16_64 3
		.amdhsa_fp16_overflow 0
		.amdhsa_memory_ordered 1
		.amdhsa_forward_progress 1
		.amdhsa_inst_pref_size 8
		.amdhsa_round_robin_scheduling 0
		.amdhsa_exception_fp_ieee_invalid_op 0
		.amdhsa_exception_fp_denorm_src 0
		.amdhsa_exception_fp_ieee_div_zero 0
		.amdhsa_exception_fp_ieee_overflow 0
		.amdhsa_exception_fp_ieee_underflow 0
		.amdhsa_exception_fp_ieee_inexact 0
		.amdhsa_exception_int_div_zero 0
	.end_amdhsa_kernel
	.section	.text._ZN9rocsparseL46csrmvn_preprocess_device_32_bins_3phase_phase1ILj256EliEEvT1_PKT0_PS1_S5_,"axG",@progbits,_ZN9rocsparseL46csrmvn_preprocess_device_32_bins_3phase_phase1ILj256EliEEvT1_PKT0_PS1_S5_,comdat
.Lfunc_end3:
	.size	_ZN9rocsparseL46csrmvn_preprocess_device_32_bins_3phase_phase1ILj256EliEEvT1_PKT0_PS1_S5_, .Lfunc_end3-_ZN9rocsparseL46csrmvn_preprocess_device_32_bins_3phase_phase1ILj256EliEEvT1_PKT0_PS1_S5_
                                        ; -- End function
	.set _ZN9rocsparseL46csrmvn_preprocess_device_32_bins_3phase_phase1ILj256EliEEvT1_PKT0_PS1_S5_.num_vgpr, 24
	.set _ZN9rocsparseL46csrmvn_preprocess_device_32_bins_3phase_phase1ILj256EliEEvT1_PKT0_PS1_S5_.num_agpr, 0
	.set _ZN9rocsparseL46csrmvn_preprocess_device_32_bins_3phase_phase1ILj256EliEEvT1_PKT0_PS1_S5_.numbered_sgpr, 14
	.set _ZN9rocsparseL46csrmvn_preprocess_device_32_bins_3phase_phase1ILj256EliEEvT1_PKT0_PS1_S5_.num_named_barrier, 0
	.set _ZN9rocsparseL46csrmvn_preprocess_device_32_bins_3phase_phase1ILj256EliEEvT1_PKT0_PS1_S5_.private_seg_size, 0
	.set _ZN9rocsparseL46csrmvn_preprocess_device_32_bins_3phase_phase1ILj256EliEEvT1_PKT0_PS1_S5_.uses_vcc, 1
	.set _ZN9rocsparseL46csrmvn_preprocess_device_32_bins_3phase_phase1ILj256EliEEvT1_PKT0_PS1_S5_.uses_flat_scratch, 0
	.set _ZN9rocsparseL46csrmvn_preprocess_device_32_bins_3phase_phase1ILj256EliEEvT1_PKT0_PS1_S5_.has_dyn_sized_stack, 0
	.set _ZN9rocsparseL46csrmvn_preprocess_device_32_bins_3phase_phase1ILj256EliEEvT1_PKT0_PS1_S5_.has_recursion, 0
	.set _ZN9rocsparseL46csrmvn_preprocess_device_32_bins_3phase_phase1ILj256EliEEvT1_PKT0_PS1_S5_.has_indirect_call, 0
	.section	.AMDGPU.csdata,"",@progbits
; Kernel info:
; codeLenInByte = 900
; TotalNumSgprs: 16
; NumVgprs: 24
; ScratchSize: 0
; MemoryBound: 0
; FloatMode: 240
; IeeeMode: 1
; LDSByteSize: 0 bytes/workgroup (compile time only)
; SGPRBlocks: 0
; VGPRBlocks: 1
; NumSGPRsForWavesPerEU: 16
; NumVGPRsForWavesPerEU: 24
; NamedBarCnt: 0
; Occupancy: 16
; WaveLimiterHint : 0
; COMPUTE_PGM_RSRC2:SCRATCH_EN: 0
; COMPUTE_PGM_RSRC2:USER_SGPR: 2
; COMPUTE_PGM_RSRC2:TRAP_HANDLER: 0
; COMPUTE_PGM_RSRC2:TGID_X_EN: 1
; COMPUTE_PGM_RSRC2:TGID_Y_EN: 0
; COMPUTE_PGM_RSRC2:TGID_Z_EN: 0
; COMPUTE_PGM_RSRC2:TIDIG_COMP_CNT: 0
	.section	.text._ZN9rocsparseL46csrmvn_preprocess_device_32_bins_3phase_phase3ILj256EliEEvT1_PKT0_PKS1_S6_PS1_,"axG",@progbits,_ZN9rocsparseL46csrmvn_preprocess_device_32_bins_3phase_phase3ILj256EliEEvT1_PKT0_PKS1_S6_PS1_,comdat
	.globl	_ZN9rocsparseL46csrmvn_preprocess_device_32_bins_3phase_phase3ILj256EliEEvT1_PKT0_PKS1_S6_PS1_ ; -- Begin function _ZN9rocsparseL46csrmvn_preprocess_device_32_bins_3phase_phase3ILj256EliEEvT1_PKT0_PKS1_S6_PS1_
	.p2align	8
	.type	_ZN9rocsparseL46csrmvn_preprocess_device_32_bins_3phase_phase3ILj256EliEEvT1_PKT0_PKS1_S6_PS1_,@function
_ZN9rocsparseL46csrmvn_preprocess_device_32_bins_3phase_phase3ILj256EliEEvT1_PKT0_PKS1_S6_PS1_: ; @_ZN9rocsparseL46csrmvn_preprocess_device_32_bins_3phase_phase3ILj256EliEEvT1_PKT0_PKS1_S6_PS1_
; %bb.0:
	s_load_b32 s12, s[0:1], 0x0
	s_bfe_u32 s2, ttmp6, 0x4000c
	s_and_b32 s3, ttmp6, 15
	s_add_co_i32 s2, s2, 1
	s_getreg_b32 s4, hwreg(HW_REG_IB_STS2, 6, 4)
	s_mul_i32 s2, ttmp9, s2
	s_mov_b32 s13, 0
	s_add_co_i32 s3, s3, s2
	s_cmp_eq_u32 s4, 0
	s_cselect_b32 s2, ttmp9, s3
	s_delay_alu instid0(SALU_CYCLE_1) | instskip(SKIP_2) | instid1(VALU_DEP_1)
	v_lshl_or_b32 v4, s2, 8, v0
	s_mov_b32 s2, exec_lo
	s_wait_kmcnt 0x0
	v_cmpx_gt_i32_e64 s12, v4
	s_cbranch_execz .LBB4_5
; %bb.1:
	s_clause 0x1
	s_load_b32 s14, s[0:1], 0x28
	s_load_b256 s[4:11], s[0:1], 0x8
	v_mov_b64_e32 v[6:7], 0x3fc385386b47b09a
	v_mov_b32_e32 v9, 0
	s_wait_xcnt 0x0
	s_mov_b64 s[0:1], 0x3fe5555555555555
	s_mov_b64 s[2:3], 0x3ff71547652b82fe
                                        ; implicit-def: $vgpr0_vgpr1
                                        ; implicit-def: $vgpr0_vgpr1
	;; [unrolled: 1-line block ×5, first 2 shown]
	s_wait_kmcnt 0x0
	s_lshl_b32 s14, s14, 8
	s_branch .LBB4_3
.LBB4_2:                                ;   in Loop: Header=BB4_3 Depth=1
	s_or_b32 exec_lo, exec_lo, s15
	s_delay_alu instid0(VALU_DEP_1)
	v_lshl_add_u64 v[0:1], v[10:11], 2, s[8:9]
	v_lshl_add_u64 v[2:3], v[4:5], 2, s[6:7]
	global_load_b32 v5, v[0:1], off
	global_load_b32 v8, v[2:3], off
	s_wait_loadcnt 0x0
	s_wait_xcnt 0x1
	v_add_nc_u32_e32 v0, v8, v5
	global_store_b32 v0, v4, s[10:11] scale_offset
	s_wait_xcnt 0x0
	v_add_nc_u32_e32 v4, s14, v4
	s_delay_alu instid0(VALU_DEP_1) | instskip(SKIP_1) | instid1(SALU_CYCLE_1)
	v_cmp_le_i32_e32 vcc_lo, s12, v4
	s_or_b32 s13, vcc_lo, s13
	s_and_not1_b32 exec_lo, exec_lo, s13
	s_cbranch_execz .LBB4_5
.LBB4_3:                                ; =>This Inner Loop Header: Depth=1
	v_ashrrev_i32_e32 v5, 31, v4
	v_mov_b64_e32 v[10:11], 0
	s_mov_b32 s15, exec_lo
	s_delay_alu instid0(VALU_DEP_2)
	v_lshl_add_u64 v[0:1], v[4:5], 3, s[4:5]
	global_load_b128 v[0:3], v[0:1], off
	s_wait_loadcnt 0x0
	s_wait_xcnt 0x0
	v_cmpx_ne_u64_e64 v[2:3], v[0:1]
	s_cbranch_execz .LBB4_2
; %bb.4:                                ;   in Loop: Header=BB4_3 Depth=1
	v_sub_nc_u64_e32 v[0:1], v[2:3], v[0:1]
	s_delay_alu instid0(VALU_DEP_1) | instskip(NEXT) | instid1(VALU_DEP_2)
	v_cvt_f64_i32_e32 v[2:3], v1
	v_cvt_f64_u32_e32 v[0:1], v0
	s_delay_alu instid0(VALU_DEP_2) | instskip(NEXT) | instid1(VALU_DEP_1)
	v_ldexp_f64 v[2:3], v[2:3], 32
	v_add_f64_e32 v[0:1], v[2:3], v[0:1]
	s_delay_alu instid0(VALU_DEP_1) | instskip(SKIP_1) | instid1(VALU_DEP_2)
	v_frexp_mant_f64_e32 v[2:3], v[0:1]
	v_frexp_exp_i32_f64_e32 v0, v[0:1]
	v_cmp_gt_f64_e32 vcc_lo, s[0:1], v[2:3]
	v_cndmask_b32_e64 v8, 0, 1, vcc_lo
	s_delay_alu instid0(VALU_DEP_3) | instskip(NEXT) | instid1(VALU_DEP_2)
	v_subrev_co_ci_u32_e64 v0, null, 0, v0, vcc_lo
	v_ldexp_f64 v[2:3], v[2:3], v8
	s_delay_alu instid0(VALU_DEP_2) | instskip(NEXT) | instid1(VALU_DEP_2)
	v_cvt_f64_i32_e32 v[0:1], v0
	v_add_f64_e32 v[10:11], 1.0, v[2:3]
	v_add_f64_e32 v[16:17], -1.0, v[2:3]
	s_delay_alu instid0(VALU_DEP_2) | instskip(SKIP_1) | instid1(VALU_DEP_1)
	v_rcp_f64_e32 v[12:13], v[10:11]
	v_add_f64_e32 v[18:19], -1.0, v[10:11]
	v_add_f64_e64 v[2:3], v[2:3], -v[18:19]
	s_delay_alu instid0(TRANS32_DEP_1) | instskip(NEXT) | instid1(VALU_DEP_1)
	v_fma_f64 v[14:15], -v[10:11], v[12:13], 1.0
	v_fmac_f64_e32 v[12:13], v[14:15], v[12:13]
	s_delay_alu instid0(VALU_DEP_1) | instskip(NEXT) | instid1(VALU_DEP_1)
	v_fma_f64 v[14:15], -v[10:11], v[12:13], 1.0
	v_fmac_f64_e32 v[12:13], v[14:15], v[12:13]
	s_delay_alu instid0(VALU_DEP_1) | instskip(NEXT) | instid1(VALU_DEP_1)
	v_mul_f64_e32 v[14:15], v[16:17], v[12:13]
	v_mul_f64_e32 v[20:21], v[10:11], v[14:15]
	s_delay_alu instid0(VALU_DEP_1) | instskip(NEXT) | instid1(VALU_DEP_1)
	v_fma_f64 v[10:11], v[14:15], v[10:11], -v[20:21]
	v_fmac_f64_e32 v[10:11], v[14:15], v[2:3]
	s_delay_alu instid0(VALU_DEP_1) | instskip(NEXT) | instid1(VALU_DEP_1)
	v_add_f64_e32 v[2:3], v[20:21], v[10:11]
	v_add_f64_e64 v[18:19], v[16:17], -v[2:3]
	v_add_f64_e64 v[20:21], v[2:3], -v[20:21]
	s_delay_alu instid0(VALU_DEP_2) | instskip(NEXT) | instid1(VALU_DEP_2)
	v_add_f64_e64 v[16:17], v[16:17], -v[18:19]
	v_add_f64_e64 v[10:11], v[20:21], -v[10:11]
	s_delay_alu instid0(VALU_DEP_2) | instskip(NEXT) | instid1(VALU_DEP_1)
	v_add_f64_e64 v[2:3], v[16:17], -v[2:3]
	v_add_f64_e32 v[2:3], v[10:11], v[2:3]
	s_delay_alu instid0(VALU_DEP_1) | instskip(NEXT) | instid1(VALU_DEP_1)
	v_add_f64_e32 v[2:3], v[18:19], v[2:3]
	v_mul_f64_e32 v[2:3], v[12:13], v[2:3]
	s_delay_alu instid0(VALU_DEP_1) | instskip(NEXT) | instid1(VALU_DEP_1)
	v_add_f64_e32 v[10:11], v[14:15], v[2:3]
	v_mul_f64_e32 v[12:13], v[10:11], v[10:11]
	s_delay_alu instid0(VALU_DEP_1) | instskip(SKIP_1) | instid1(VALU_DEP_2)
	v_fmamk_f64 v[16:17], v[12:13], 0x3fc3ab76bf559e2b, v[6:7]
	v_mul_f64_e32 v[18:19], v[10:11], v[12:13]
	v_fmaak_f64 v[16:17], v[12:13], v[16:17], 0x3fc7474dd7f4df2e
	s_delay_alu instid0(VALU_DEP_1) | instskip(NEXT) | instid1(VALU_DEP_1)
	v_fmaak_f64 v[16:17], v[12:13], v[16:17], 0x3fcc71c016291751
	v_fmaak_f64 v[16:17], v[12:13], v[16:17], 0x3fd249249b27acf1
	s_delay_alu instid0(VALU_DEP_1) | instskip(NEXT) | instid1(VALU_DEP_1)
	v_fmaak_f64 v[16:17], v[12:13], v[16:17], 0x3fd99999998ef7b6
	v_fmaak_f64 v[12:13], v[12:13], v[16:17], 0x3fe5555555555780
	v_ldexp_f64 v[16:17], v[10:11], 1
	v_add_f64_e64 v[10:11], v[10:11], -v[14:15]
	s_delay_alu instid0(VALU_DEP_3) | instskip(NEXT) | instid1(VALU_DEP_2)
	v_mul_f64_e32 v[12:13], v[18:19], v[12:13]
	v_add_f64_e64 v[2:3], v[2:3], -v[10:11]
	s_delay_alu instid0(VALU_DEP_2) | instskip(NEXT) | instid1(VALU_DEP_2)
	v_add_f64_e32 v[14:15], v[16:17], v[12:13]
	v_ldexp_f64 v[2:3], v[2:3], 1
	s_delay_alu instid0(VALU_DEP_2) | instskip(NEXT) | instid1(VALU_DEP_1)
	v_add_f64_e64 v[10:11], v[14:15], -v[16:17]
	v_add_f64_e64 v[10:11], v[12:13], -v[10:11]
	s_delay_alu instid0(VALU_DEP_1) | instskip(NEXT) | instid1(VALU_DEP_1)
	v_add_f64_e32 v[2:3], v[2:3], v[10:11]
	v_add_f64_e32 v[10:11], v[14:15], v[2:3]
	s_delay_alu instid0(VALU_DEP_1) | instskip(SKIP_1) | instid1(VALU_DEP_2)
	v_add_f64_e64 v[12:13], v[10:11], -v[14:15]
	v_mul_f64_e32 v[14:15], 0x3ff71547652b82fe, v[10:11]
	v_add_f64_e64 v[2:3], v[2:3], -v[12:13]
	s_delay_alu instid0(VALU_DEP_2) | instskip(NEXT) | instid1(VALU_DEP_1)
	v_fma_f64 v[12:13], v[10:11], s[2:3], -v[14:15]
	v_fmac_f64_e32 v[12:13], 0x3ff71547652b82fe, v[2:3]
	s_delay_alu instid0(VALU_DEP_1) | instskip(NEXT) | instid1(VALU_DEP_1)
	v_fmac_f64_e32 v[12:13], 0x3c7777d0ffda0d24, v[10:11]
	v_add_f64_e32 v[2:3], v[14:15], v[12:13]
	s_delay_alu instid0(VALU_DEP_1) | instskip(SKIP_1) | instid1(VALU_DEP_2)
	v_add_f64_e32 v[10:11], v[2:3], v[0:1]
	v_add_f64_e64 v[14:15], v[2:3], -v[14:15]
	v_add_f64_e64 v[16:17], v[10:11], -v[0:1]
	s_delay_alu instid0(VALU_DEP_2) | instskip(NEXT) | instid1(VALU_DEP_2)
	v_add_f64_e64 v[12:13], v[12:13], -v[14:15]
	v_add_f64_e64 v[18:19], v[16:17], -v[10:11]
	;; [unrolled: 1-line block ×3, first 2 shown]
	s_delay_alu instid0(VALU_DEP_2) | instskip(NEXT) | instid1(VALU_DEP_1)
	v_add_f64_e32 v[0:1], v[18:19], v[0:1]
	v_add_f64_e32 v[0:1], v[2:3], v[0:1]
	s_delay_alu instid0(VALU_DEP_1) | instskip(NEXT) | instid1(VALU_DEP_1)
	v_add_f64_e32 v[0:1], v[12:13], v[0:1]
	v_add_f64_e32 v[0:1], v[10:11], v[0:1]
	s_delay_alu instid0(VALU_DEP_1) | instskip(NEXT) | instid1(VALU_DEP_1)
	v_ceil_f64_e32 v[0:1], v[0:1]
	v_cvt_u32_f64_e32 v8, v[0:1]
	s_delay_alu instid0(VALU_DEP_1)
	v_mov_b64_e32 v[10:11], v[8:9]
	s_branch .LBB4_2
.LBB4_5:
	s_endpgm
	.section	.rodata,"a",@progbits
	.p2align	6, 0x0
	.amdhsa_kernel _ZN9rocsparseL46csrmvn_preprocess_device_32_bins_3phase_phase3ILj256EliEEvT1_PKT0_PKS1_S6_PS1_
		.amdhsa_group_segment_fixed_size 0
		.amdhsa_private_segment_fixed_size 0
		.amdhsa_kernarg_size 296
		.amdhsa_user_sgpr_count 2
		.amdhsa_user_sgpr_dispatch_ptr 0
		.amdhsa_user_sgpr_queue_ptr 0
		.amdhsa_user_sgpr_kernarg_segment_ptr 1
		.amdhsa_user_sgpr_dispatch_id 0
		.amdhsa_user_sgpr_kernarg_preload_length 0
		.amdhsa_user_sgpr_kernarg_preload_offset 0
		.amdhsa_user_sgpr_private_segment_size 0
		.amdhsa_wavefront_size32 1
		.amdhsa_uses_dynamic_stack 0
		.amdhsa_enable_private_segment 0
		.amdhsa_system_sgpr_workgroup_id_x 1
		.amdhsa_system_sgpr_workgroup_id_y 0
		.amdhsa_system_sgpr_workgroup_id_z 0
		.amdhsa_system_sgpr_workgroup_info 0
		.amdhsa_system_vgpr_workitem_id 0
		.amdhsa_next_free_vgpr 22
		.amdhsa_next_free_sgpr 16
		.amdhsa_named_barrier_count 0
		.amdhsa_reserve_vcc 1
		.amdhsa_float_round_mode_32 0
		.amdhsa_float_round_mode_16_64 0
		.amdhsa_float_denorm_mode_32 3
		.amdhsa_float_denorm_mode_16_64 3
		.amdhsa_fp16_overflow 0
		.amdhsa_memory_ordered 1
		.amdhsa_forward_progress 1
		.amdhsa_inst_pref_size 8
		.amdhsa_round_robin_scheduling 0
		.amdhsa_exception_fp_ieee_invalid_op 0
		.amdhsa_exception_fp_denorm_src 0
		.amdhsa_exception_fp_ieee_div_zero 0
		.amdhsa_exception_fp_ieee_overflow 0
		.amdhsa_exception_fp_ieee_underflow 0
		.amdhsa_exception_fp_ieee_inexact 0
		.amdhsa_exception_int_div_zero 0
	.end_amdhsa_kernel
	.section	.text._ZN9rocsparseL46csrmvn_preprocess_device_32_bins_3phase_phase3ILj256EliEEvT1_PKT0_PKS1_S6_PS1_,"axG",@progbits,_ZN9rocsparseL46csrmvn_preprocess_device_32_bins_3phase_phase3ILj256EliEEvT1_PKT0_PKS1_S6_PS1_,comdat
.Lfunc_end4:
	.size	_ZN9rocsparseL46csrmvn_preprocess_device_32_bins_3phase_phase3ILj256EliEEvT1_PKT0_PKS1_S6_PS1_, .Lfunc_end4-_ZN9rocsparseL46csrmvn_preprocess_device_32_bins_3phase_phase3ILj256EliEEvT1_PKT0_PKS1_S6_PS1_
                                        ; -- End function
	.set _ZN9rocsparseL46csrmvn_preprocess_device_32_bins_3phase_phase3ILj256EliEEvT1_PKT0_PKS1_S6_PS1_.num_vgpr, 22
	.set _ZN9rocsparseL46csrmvn_preprocess_device_32_bins_3phase_phase3ILj256EliEEvT1_PKT0_PKS1_S6_PS1_.num_agpr, 0
	.set _ZN9rocsparseL46csrmvn_preprocess_device_32_bins_3phase_phase3ILj256EliEEvT1_PKT0_PKS1_S6_PS1_.numbered_sgpr, 16
	.set _ZN9rocsparseL46csrmvn_preprocess_device_32_bins_3phase_phase3ILj256EliEEvT1_PKT0_PKS1_S6_PS1_.num_named_barrier, 0
	.set _ZN9rocsparseL46csrmvn_preprocess_device_32_bins_3phase_phase3ILj256EliEEvT1_PKT0_PKS1_S6_PS1_.private_seg_size, 0
	.set _ZN9rocsparseL46csrmvn_preprocess_device_32_bins_3phase_phase3ILj256EliEEvT1_PKT0_PKS1_S6_PS1_.uses_vcc, 1
	.set _ZN9rocsparseL46csrmvn_preprocess_device_32_bins_3phase_phase3ILj256EliEEvT1_PKT0_PKS1_S6_PS1_.uses_flat_scratch, 0
	.set _ZN9rocsparseL46csrmvn_preprocess_device_32_bins_3phase_phase3ILj256EliEEvT1_PKT0_PKS1_S6_PS1_.has_dyn_sized_stack, 0
	.set _ZN9rocsparseL46csrmvn_preprocess_device_32_bins_3phase_phase3ILj256EliEEvT1_PKT0_PKS1_S6_PS1_.has_recursion, 0
	.set _ZN9rocsparseL46csrmvn_preprocess_device_32_bins_3phase_phase3ILj256EliEEvT1_PKT0_PKS1_S6_PS1_.has_indirect_call, 0
	.section	.AMDGPU.csdata,"",@progbits
; Kernel info:
; codeLenInByte = 916
; TotalNumSgprs: 18
; NumVgprs: 22
; ScratchSize: 0
; MemoryBound: 0
; FloatMode: 240
; IeeeMode: 1
; LDSByteSize: 0 bytes/workgroup (compile time only)
; SGPRBlocks: 0
; VGPRBlocks: 1
; NumSGPRsForWavesPerEU: 18
; NumVGPRsForWavesPerEU: 22
; NamedBarCnt: 0
; Occupancy: 16
; WaveLimiterHint : 1
; COMPUTE_PGM_RSRC2:SCRATCH_EN: 0
; COMPUTE_PGM_RSRC2:USER_SGPR: 2
; COMPUTE_PGM_RSRC2:TRAP_HANDLER: 0
; COMPUTE_PGM_RSRC2:TGID_X_EN: 1
; COMPUTE_PGM_RSRC2:TGID_Y_EN: 0
; COMPUTE_PGM_RSRC2:TGID_Z_EN: 0
; COMPUTE_PGM_RSRC2:TIDIG_COMP_CNT: 0
	.section	.text._ZN9rocsparseL46csrmvn_preprocess_device_32_bins_3phase_phase1ILj256EllEEvT1_PKT0_PS1_S5_,"axG",@progbits,_ZN9rocsparseL46csrmvn_preprocess_device_32_bins_3phase_phase1ILj256EllEEvT1_PKT0_PS1_S5_,comdat
	.globl	_ZN9rocsparseL46csrmvn_preprocess_device_32_bins_3phase_phase1ILj256EllEEvT1_PKT0_PS1_S5_ ; -- Begin function _ZN9rocsparseL46csrmvn_preprocess_device_32_bins_3phase_phase1ILj256EllEEvT1_PKT0_PS1_S5_
	.p2align	8
	.type	_ZN9rocsparseL46csrmvn_preprocess_device_32_bins_3phase_phase1ILj256EllEEvT1_PKT0_PS1_S5_,@function
_ZN9rocsparseL46csrmvn_preprocess_device_32_bins_3phase_phase1ILj256EllEEvT1_PKT0_PS1_S5_: ; @_ZN9rocsparseL46csrmvn_preprocess_device_32_bins_3phase_phase1ILj256EllEEvT1_PKT0_PS1_S5_
; %bb.0:
	s_load_b256 s[4:11], s[0:1], 0x0
	s_bfe_u32 s2, ttmp6, 0x4000c
	s_and_b32 s3, ttmp6, 15
	s_add_co_i32 s2, s2, 1
	s_getreg_b32 s12, hwreg(HW_REG_IB_STS2, 6, 4)
	s_mul_i32 s2, ttmp9, s2
	v_mov_b32_e32 v5, 0
	s_add_co_i32 s3, s3, s2
	s_cmp_eq_u32 s12, 0
	s_cselect_b32 s2, ttmp9, s3
	s_mov_b32 s3, 0
	v_lshl_or_b32 v4, s2, 8, v0
	s_mov_b32 s2, exec_lo
	s_wait_kmcnt 0x0
	s_delay_alu instid0(VALU_DEP_1)
	v_cmpx_gt_i64_e64 s[4:5], v[4:5]
	s_cbranch_execz .LBB5_5
; %bb.1:
	s_load_b32 s2, s[0:1], 0x20
	v_lshlrev_b64_e32 v[6:7], 3, v[4:5]
	v_mov_b64_e32 v[8:9], 0x3fc385386b47b09a
	v_mov_b64_e32 v[10:11], 1
	;; [unrolled: 1-line block ×3, first 2 shown]
	s_wait_xcnt 0x0
	s_mov_b64 s[0:1], 0x3fe5555555555555
	s_mov_b64 s[12:13], 0x3ff71547652b82fe
	s_mov_b32 s16, s3
                                        ; implicit-def: $vgpr0_vgpr1
                                        ; implicit-def: $vgpr0_vgpr1
	;; [unrolled: 1-line block ×5, first 2 shown]
	s_wait_kmcnt 0x0
	s_lshl_b32 s2, s2, 8
	s_delay_alu instid0(SALU_CYCLE_1)
	s_lshl_b64 s[14:15], s[2:3], 3
	s_branch .LBB5_3
.LBB5_2:                                ;   in Loop: Header=BB5_3 Depth=1
	s_or_b32 exec_lo, exec_lo, s17
	s_delay_alu instid0(VALU_DEP_1)
	v_lshl_add_u64 v[0:1], v[14:15], 3, s[10:11]
	v_add_nc_u64_e32 v[12:13], s[2:3], v[12:13]
	v_add_nc_u64_e32 v[2:3], s[8:9], v[6:7]
	;; [unrolled: 1-line block ×3, first 2 shown]
	global_atomic_add_u64 v[0:1], v[0:1], v[10:11], off th:TH_ATOMIC_RETURN scope:SCOPE_DEV
	v_cmp_le_i64_e32 vcc_lo, s[4:5], v[12:13]
	s_or_b32 s16, vcc_lo, s16
	s_wait_loadcnt 0x0
	global_store_b64 v[2:3], v[0:1], off
	s_wait_xcnt 0x0
	s_and_not1_b32 exec_lo, exec_lo, s16
	s_cbranch_execz .LBB5_5
.LBB5_3:                                ; =>This Inner Loop Header: Depth=1
	v_add_nc_u64_e32 v[0:1], s[6:7], v[6:7]
	v_mov_b64_e32 v[14:15], 0
	s_mov_b32 s17, exec_lo
	global_load_b128 v[0:3], v[0:1], off
	s_wait_loadcnt 0x0
	s_wait_xcnt 0x0
	v_cmpx_ne_u64_e64 v[2:3], v[0:1]
	s_cbranch_execz .LBB5_2
; %bb.4:                                ;   in Loop: Header=BB5_3 Depth=1
	v_sub_nc_u64_e32 v[0:1], v[2:3], v[0:1]
	s_delay_alu instid0(VALU_DEP_1) | instskip(NEXT) | instid1(VALU_DEP_2)
	v_cvt_f64_i32_e32 v[2:3], v1
	v_cvt_f64_u32_e32 v[0:1], v0
	s_delay_alu instid0(VALU_DEP_2) | instskip(NEXT) | instid1(VALU_DEP_1)
	v_ldexp_f64 v[2:3], v[2:3], 32
	v_add_f64_e32 v[0:1], v[2:3], v[0:1]
	s_delay_alu instid0(VALU_DEP_1) | instskip(SKIP_1) | instid1(VALU_DEP_2)
	v_frexp_mant_f64_e32 v[2:3], v[0:1]
	v_frexp_exp_i32_f64_e32 v0, v[0:1]
	v_cmp_gt_f64_e32 vcc_lo, s[0:1], v[2:3]
	v_cndmask_b32_e64 v4, 0, 1, vcc_lo
	s_delay_alu instid0(VALU_DEP_3) | instskip(NEXT) | instid1(VALU_DEP_2)
	v_subrev_co_ci_u32_e64 v0, null, 0, v0, vcc_lo
	v_ldexp_f64 v[2:3], v[2:3], v4
	s_delay_alu instid0(VALU_DEP_2) | instskip(NEXT) | instid1(VALU_DEP_2)
	v_cvt_f64_i32_e32 v[0:1], v0
	v_add_f64_e32 v[14:15], 1.0, v[2:3]
	v_add_f64_e32 v[20:21], -1.0, v[2:3]
	s_delay_alu instid0(VALU_DEP_2) | instskip(SKIP_1) | instid1(VALU_DEP_1)
	v_rcp_f64_e32 v[16:17], v[14:15]
	v_add_f64_e32 v[22:23], -1.0, v[14:15]
	v_add_f64_e64 v[2:3], v[2:3], -v[22:23]
	s_delay_alu instid0(TRANS32_DEP_1) | instskip(NEXT) | instid1(VALU_DEP_1)
	v_fma_f64 v[18:19], -v[14:15], v[16:17], 1.0
	v_fmac_f64_e32 v[16:17], v[18:19], v[16:17]
	s_delay_alu instid0(VALU_DEP_1) | instskip(NEXT) | instid1(VALU_DEP_1)
	v_fma_f64 v[18:19], -v[14:15], v[16:17], 1.0
	v_fmac_f64_e32 v[16:17], v[18:19], v[16:17]
	s_delay_alu instid0(VALU_DEP_1) | instskip(NEXT) | instid1(VALU_DEP_1)
	v_mul_f64_e32 v[18:19], v[20:21], v[16:17]
	v_mul_f64_e32 v[24:25], v[14:15], v[18:19]
	s_delay_alu instid0(VALU_DEP_1) | instskip(NEXT) | instid1(VALU_DEP_1)
	v_fma_f64 v[14:15], v[18:19], v[14:15], -v[24:25]
	v_fmac_f64_e32 v[14:15], v[18:19], v[2:3]
	s_delay_alu instid0(VALU_DEP_1) | instskip(NEXT) | instid1(VALU_DEP_1)
	v_add_f64_e32 v[2:3], v[24:25], v[14:15]
	v_add_f64_e64 v[22:23], v[20:21], -v[2:3]
	v_add_f64_e64 v[24:25], v[2:3], -v[24:25]
	s_delay_alu instid0(VALU_DEP_2) | instskip(NEXT) | instid1(VALU_DEP_2)
	v_add_f64_e64 v[20:21], v[20:21], -v[22:23]
	v_add_f64_e64 v[14:15], v[24:25], -v[14:15]
	s_delay_alu instid0(VALU_DEP_2) | instskip(NEXT) | instid1(VALU_DEP_1)
	v_add_f64_e64 v[2:3], v[20:21], -v[2:3]
	v_add_f64_e32 v[2:3], v[14:15], v[2:3]
	s_delay_alu instid0(VALU_DEP_1) | instskip(NEXT) | instid1(VALU_DEP_1)
	v_add_f64_e32 v[2:3], v[22:23], v[2:3]
	v_mul_f64_e32 v[2:3], v[16:17], v[2:3]
	s_delay_alu instid0(VALU_DEP_1) | instskip(NEXT) | instid1(VALU_DEP_1)
	v_add_f64_e32 v[14:15], v[18:19], v[2:3]
	v_mul_f64_e32 v[16:17], v[14:15], v[14:15]
	s_delay_alu instid0(VALU_DEP_1) | instskip(SKIP_1) | instid1(VALU_DEP_2)
	v_fmamk_f64 v[20:21], v[16:17], 0x3fc3ab76bf559e2b, v[8:9]
	v_mul_f64_e32 v[22:23], v[14:15], v[16:17]
	v_fmaak_f64 v[20:21], v[16:17], v[20:21], 0x3fc7474dd7f4df2e
	s_delay_alu instid0(VALU_DEP_1) | instskip(NEXT) | instid1(VALU_DEP_1)
	v_fmaak_f64 v[20:21], v[16:17], v[20:21], 0x3fcc71c016291751
	v_fmaak_f64 v[20:21], v[16:17], v[20:21], 0x3fd249249b27acf1
	s_delay_alu instid0(VALU_DEP_1) | instskip(NEXT) | instid1(VALU_DEP_1)
	v_fmaak_f64 v[20:21], v[16:17], v[20:21], 0x3fd99999998ef7b6
	v_fmaak_f64 v[16:17], v[16:17], v[20:21], 0x3fe5555555555780
	v_ldexp_f64 v[20:21], v[14:15], 1
	v_add_f64_e64 v[14:15], v[14:15], -v[18:19]
	s_delay_alu instid0(VALU_DEP_3) | instskip(NEXT) | instid1(VALU_DEP_2)
	v_mul_f64_e32 v[16:17], v[22:23], v[16:17]
	v_add_f64_e64 v[2:3], v[2:3], -v[14:15]
	s_delay_alu instid0(VALU_DEP_2) | instskip(NEXT) | instid1(VALU_DEP_2)
	v_add_f64_e32 v[18:19], v[20:21], v[16:17]
	v_ldexp_f64 v[2:3], v[2:3], 1
	s_delay_alu instid0(VALU_DEP_2) | instskip(NEXT) | instid1(VALU_DEP_1)
	v_add_f64_e64 v[14:15], v[18:19], -v[20:21]
	v_add_f64_e64 v[14:15], v[16:17], -v[14:15]
	s_delay_alu instid0(VALU_DEP_1) | instskip(NEXT) | instid1(VALU_DEP_1)
	v_add_f64_e32 v[2:3], v[2:3], v[14:15]
	v_add_f64_e32 v[14:15], v[18:19], v[2:3]
	s_delay_alu instid0(VALU_DEP_1) | instskip(SKIP_1) | instid1(VALU_DEP_2)
	v_add_f64_e64 v[16:17], v[14:15], -v[18:19]
	v_mul_f64_e32 v[18:19], 0x3ff71547652b82fe, v[14:15]
	v_add_f64_e64 v[2:3], v[2:3], -v[16:17]
	s_delay_alu instid0(VALU_DEP_2) | instskip(NEXT) | instid1(VALU_DEP_1)
	v_fma_f64 v[16:17], v[14:15], s[12:13], -v[18:19]
	v_fmac_f64_e32 v[16:17], 0x3ff71547652b82fe, v[2:3]
	s_delay_alu instid0(VALU_DEP_1) | instskip(NEXT) | instid1(VALU_DEP_1)
	v_fmac_f64_e32 v[16:17], 0x3c7777d0ffda0d24, v[14:15]
	v_add_f64_e32 v[2:3], v[18:19], v[16:17]
	s_delay_alu instid0(VALU_DEP_1) | instskip(SKIP_1) | instid1(VALU_DEP_2)
	v_add_f64_e32 v[14:15], v[2:3], v[0:1]
	v_add_f64_e64 v[18:19], v[2:3], -v[18:19]
	v_add_f64_e64 v[20:21], v[14:15], -v[0:1]
	s_delay_alu instid0(VALU_DEP_2) | instskip(NEXT) | instid1(VALU_DEP_2)
	v_add_f64_e64 v[16:17], v[16:17], -v[18:19]
	v_add_f64_e64 v[22:23], v[20:21], -v[14:15]
	;; [unrolled: 1-line block ×3, first 2 shown]
	s_delay_alu instid0(VALU_DEP_2) | instskip(NEXT) | instid1(VALU_DEP_1)
	v_add_f64_e32 v[0:1], v[22:23], v[0:1]
	v_add_f64_e32 v[0:1], v[2:3], v[0:1]
	s_delay_alu instid0(VALU_DEP_1) | instskip(NEXT) | instid1(VALU_DEP_1)
	v_add_f64_e32 v[0:1], v[16:17], v[0:1]
	v_add_f64_e32 v[0:1], v[14:15], v[0:1]
	s_delay_alu instid0(VALU_DEP_1) | instskip(NEXT) | instid1(VALU_DEP_1)
	v_ceil_f64_e32 v[0:1], v[0:1]
	v_cvt_u32_f64_e32 v4, v[0:1]
	s_delay_alu instid0(VALU_DEP_1)
	v_mov_b64_e32 v[14:15], v[4:5]
	s_branch .LBB5_2
.LBB5_5:
	s_endpgm
	.section	.rodata,"a",@progbits
	.p2align	6, 0x0
	.amdhsa_kernel _ZN9rocsparseL46csrmvn_preprocess_device_32_bins_3phase_phase1ILj256EllEEvT1_PKT0_PS1_S5_
		.amdhsa_group_segment_fixed_size 0
		.amdhsa_private_segment_fixed_size 0
		.amdhsa_kernarg_size 288
		.amdhsa_user_sgpr_count 2
		.amdhsa_user_sgpr_dispatch_ptr 0
		.amdhsa_user_sgpr_queue_ptr 0
		.amdhsa_user_sgpr_kernarg_segment_ptr 1
		.amdhsa_user_sgpr_dispatch_id 0
		.amdhsa_user_sgpr_kernarg_preload_length 0
		.amdhsa_user_sgpr_kernarg_preload_offset 0
		.amdhsa_user_sgpr_private_segment_size 0
		.amdhsa_wavefront_size32 1
		.amdhsa_uses_dynamic_stack 0
		.amdhsa_enable_private_segment 0
		.amdhsa_system_sgpr_workgroup_id_x 1
		.amdhsa_system_sgpr_workgroup_id_y 0
		.amdhsa_system_sgpr_workgroup_id_z 0
		.amdhsa_system_sgpr_workgroup_info 0
		.amdhsa_system_vgpr_workitem_id 0
		.amdhsa_next_free_vgpr 26
		.amdhsa_next_free_sgpr 18
		.amdhsa_named_barrier_count 0
		.amdhsa_reserve_vcc 1
		.amdhsa_float_round_mode_32 0
		.amdhsa_float_round_mode_16_64 0
		.amdhsa_float_denorm_mode_32 3
		.amdhsa_float_denorm_mode_16_64 3
		.amdhsa_fp16_overflow 0
		.amdhsa_memory_ordered 1
		.amdhsa_forward_progress 1
		.amdhsa_inst_pref_size 7
		.amdhsa_round_robin_scheduling 0
		.amdhsa_exception_fp_ieee_invalid_op 0
		.amdhsa_exception_fp_denorm_src 0
		.amdhsa_exception_fp_ieee_div_zero 0
		.amdhsa_exception_fp_ieee_overflow 0
		.amdhsa_exception_fp_ieee_underflow 0
		.amdhsa_exception_fp_ieee_inexact 0
		.amdhsa_exception_int_div_zero 0
	.end_amdhsa_kernel
	.section	.text._ZN9rocsparseL46csrmvn_preprocess_device_32_bins_3phase_phase1ILj256EllEEvT1_PKT0_PS1_S5_,"axG",@progbits,_ZN9rocsparseL46csrmvn_preprocess_device_32_bins_3phase_phase1ILj256EllEEvT1_PKT0_PS1_S5_,comdat
.Lfunc_end5:
	.size	_ZN9rocsparseL46csrmvn_preprocess_device_32_bins_3phase_phase1ILj256EllEEvT1_PKT0_PS1_S5_, .Lfunc_end5-_ZN9rocsparseL46csrmvn_preprocess_device_32_bins_3phase_phase1ILj256EllEEvT1_PKT0_PS1_S5_
                                        ; -- End function
	.set _ZN9rocsparseL46csrmvn_preprocess_device_32_bins_3phase_phase1ILj256EllEEvT1_PKT0_PS1_S5_.num_vgpr, 26
	.set _ZN9rocsparseL46csrmvn_preprocess_device_32_bins_3phase_phase1ILj256EllEEvT1_PKT0_PS1_S5_.num_agpr, 0
	.set _ZN9rocsparseL46csrmvn_preprocess_device_32_bins_3phase_phase1ILj256EllEEvT1_PKT0_PS1_S5_.numbered_sgpr, 18
	.set _ZN9rocsparseL46csrmvn_preprocess_device_32_bins_3phase_phase1ILj256EllEEvT1_PKT0_PS1_S5_.num_named_barrier, 0
	.set _ZN9rocsparseL46csrmvn_preprocess_device_32_bins_3phase_phase1ILj256EllEEvT1_PKT0_PS1_S5_.private_seg_size, 0
	.set _ZN9rocsparseL46csrmvn_preprocess_device_32_bins_3phase_phase1ILj256EllEEvT1_PKT0_PS1_S5_.uses_vcc, 1
	.set _ZN9rocsparseL46csrmvn_preprocess_device_32_bins_3phase_phase1ILj256EllEEvT1_PKT0_PS1_S5_.uses_flat_scratch, 0
	.set _ZN9rocsparseL46csrmvn_preprocess_device_32_bins_3phase_phase1ILj256EllEEvT1_PKT0_PS1_S5_.has_dyn_sized_stack, 0
	.set _ZN9rocsparseL46csrmvn_preprocess_device_32_bins_3phase_phase1ILj256EllEEvT1_PKT0_PS1_S5_.has_recursion, 0
	.set _ZN9rocsparseL46csrmvn_preprocess_device_32_bins_3phase_phase1ILj256EllEEvT1_PKT0_PS1_S5_.has_indirect_call, 0
	.section	.AMDGPU.csdata,"",@progbits
; Kernel info:
; codeLenInByte = 892
; TotalNumSgprs: 20
; NumVgprs: 26
; ScratchSize: 0
; MemoryBound: 0
; FloatMode: 240
; IeeeMode: 1
; LDSByteSize: 0 bytes/workgroup (compile time only)
; SGPRBlocks: 0
; VGPRBlocks: 1
; NumSGPRsForWavesPerEU: 20
; NumVGPRsForWavesPerEU: 26
; NamedBarCnt: 0
; Occupancy: 16
; WaveLimiterHint : 0
; COMPUTE_PGM_RSRC2:SCRATCH_EN: 0
; COMPUTE_PGM_RSRC2:USER_SGPR: 2
; COMPUTE_PGM_RSRC2:TRAP_HANDLER: 0
; COMPUTE_PGM_RSRC2:TGID_X_EN: 1
; COMPUTE_PGM_RSRC2:TGID_Y_EN: 0
; COMPUTE_PGM_RSRC2:TGID_Z_EN: 0
; COMPUTE_PGM_RSRC2:TIDIG_COMP_CNT: 0
	.section	.text._ZN9rocsparseL46csrmvn_preprocess_device_32_bins_3phase_phase2IlEEvPT_,"axG",@progbits,_ZN9rocsparseL46csrmvn_preprocess_device_32_bins_3phase_phase2IlEEvPT_,comdat
	.globl	_ZN9rocsparseL46csrmvn_preprocess_device_32_bins_3phase_phase2IlEEvPT_ ; -- Begin function _ZN9rocsparseL46csrmvn_preprocess_device_32_bins_3phase_phase2IlEEvPT_
	.p2align	8
	.type	_ZN9rocsparseL46csrmvn_preprocess_device_32_bins_3phase_phase2IlEEvPT_,@function
_ZN9rocsparseL46csrmvn_preprocess_device_32_bins_3phase_phase2IlEEvPT_: ; @_ZN9rocsparseL46csrmvn_preprocess_device_32_bins_3phase_phase2IlEEvPT_
; %bb.0:
	s_load_b64 s[34:35], s[0:1], 0x0
	s_wait_kmcnt 0x0
	s_load_b512 s[0:15], s[34:35], 0x0
	v_mov_b32_e32 v0, 0
	s_clause 0x4
	s_load_b512 s[16:31], s[34:35], 0x40
	s_load_b512 s[36:51], s[34:35], 0x80
	s_load_b64 s[64:65], s[34:35], 0xf0
	s_load_b128 s[60:63], s[34:35], 0xe0
	s_load_b256 s[52:59], s[34:35], 0xc0
	s_wait_kmcnt 0x0
	s_add_nc_u64 s[2:3], s[2:3], s[0:1]
	v_dual_mov_b32 v2, s0 :: v_dual_mov_b32 v1, v0
	v_mov_b32_e32 v3, s1
	s_add_nc_u64 s[0:1], s[4:5], s[2:3]
	v_dual_mov_b32 v4, s2 :: v_dual_mov_b32 v5, s3
	s_add_nc_u64 s[2:3], s[6:7], s[0:1]
	v_dual_mov_b32 v6, s0 :: v_dual_mov_b32 v7, s1
	;; [unrolled: 2-line block ×3, first 2 shown]
	v_dual_mov_b32 v10, s0 :: v_dual_mov_b32 v11, s1
	s_add_nc_u64 s[0:1], s[10:11], s[0:1]
	s_clause 0x1
	global_store_b128 v0, v[0:3], s[34:35]
	global_store_b128 v0, v[4:7], s[34:35] offset:16
	s_add_nc_u64 s[2:3], s[12:13], s[0:1]
	s_wait_xcnt 0x1
	v_dual_mov_b32 v2, s0 :: v_dual_mov_b32 v3, s1
	s_add_nc_u64 s[0:1], s[14:15], s[2:3]
	s_wait_xcnt 0x0
	v_dual_mov_b32 v4, s2 :: v_dual_mov_b32 v5, s3
	s_add_nc_u64 s[2:3], s[16:17], s[0:1]
	v_dual_mov_b32 v12, s0 :: v_dual_mov_b32 v13, s1
	s_add_nc_u64 s[0:1], s[18:19], s[2:3]
	v_dual_mov_b32 v14, s2 :: v_dual_mov_b32 v15, s3
	s_add_nc_u64 s[2:3], s[20:21], s[0:1]
	s_clause 0x1
	global_store_b128 v0, v[8:11], s[34:35] offset:32
	global_store_b128 v0, v[2:5], s[34:35] offset:48
	s_wait_xcnt 0x0
	v_dual_mov_b32 v2, s0 :: v_dual_mov_b32 v3, s1
	s_add_nc_u64 s[0:1], s[22:23], s[2:3]
	v_dual_mov_b32 v4, s2 :: v_dual_mov_b32 v5, s3
	s_add_nc_u64 s[2:3], s[24:25], s[0:1]
	v_dual_mov_b32 v6, s0 :: v_dual_mov_b32 v7, s1
	s_add_nc_u64 s[0:1], s[26:27], s[2:3]
	v_dual_mov_b32 v8, s2 :: v_dual_mov_b32 v9, s3
	s_add_nc_u64 s[2:3], s[28:29], s[0:1]
	s_clause 0x1
	global_store_b128 v0, v[12:15], s[34:35] offset:64
	global_store_b128 v0, v[2:5], s[34:35] offset:80
	s_wait_xcnt 0x0
	v_dual_mov_b32 v2, s0 :: v_dual_mov_b32 v3, s1
	s_add_nc_u64 s[0:1], s[30:31], s[2:3]
	v_dual_mov_b32 v4, s2 :: v_dual_mov_b32 v5, s3
	s_add_nc_u64 s[2:3], s[36:37], s[0:1]
	v_dual_mov_b32 v10, s0 :: v_dual_mov_b32 v11, s1
	s_add_nc_u64 s[0:1], s[38:39], s[2:3]
	v_dual_mov_b32 v12, s2 :: v_dual_mov_b32 v13, s3
	s_add_nc_u64 s[2:3], s[40:41], s[0:1]
	s_clause 0x1
	global_store_b128 v0, v[6:9], s[34:35] offset:96
	global_store_b128 v0, v[2:5], s[34:35] offset:112
	s_wait_xcnt 0x0
	v_dual_mov_b32 v2, s0 :: v_dual_mov_b32 v3, s1
	s_add_nc_u64 s[0:1], s[42:43], s[2:3]
	v_dual_mov_b32 v4, s2 :: v_dual_mov_b32 v5, s3
	s_add_nc_u64 s[2:3], s[44:45], s[0:1]
	v_dual_mov_b32 v6, s0 :: v_dual_mov_b32 v7, s1
	s_add_nc_u64 s[0:1], s[46:47], s[2:3]
	v_dual_mov_b32 v8, s2 :: v_dual_mov_b32 v9, s3
	s_add_nc_u64 s[2:3], s[48:49], s[0:1]
	s_clause 0x1
	global_store_b128 v0, v[10:13], s[34:35] offset:128
	global_store_b128 v0, v[2:5], s[34:35] offset:144
	s_wait_xcnt 0x0
	v_dual_mov_b32 v2, s0 :: v_dual_mov_b32 v3, s1
	s_add_nc_u64 s[0:1], s[50:51], s[2:3]
	v_dual_mov_b32 v4, s2 :: v_dual_mov_b32 v5, s3
	s_add_nc_u64 s[2:3], s[52:53], s[0:1]
	v_dual_mov_b32 v10, s0 :: v_dual_mov_b32 v11, s1
	s_add_nc_u64 s[0:1], s[54:55], s[2:3]
	;; [unrolled: 2-line block ×7, first 2 shown]
	v_dual_mov_b32 v22, s0 :: v_dual_mov_b32 v23, s1
	v_dual_mov_b32 v24, s2 :: v_dual_mov_b32 v25, s3
	s_clause 0x5
	global_store_b128 v0, v[6:9], s[34:35] offset:160
	global_store_b128 v0, v[2:5], s[34:35] offset:176
	;; [unrolled: 1-line block ×6, first 2 shown]
	s_endpgm
	.section	.rodata,"a",@progbits
	.p2align	6, 0x0
	.amdhsa_kernel _ZN9rocsparseL46csrmvn_preprocess_device_32_bins_3phase_phase2IlEEvPT_
		.amdhsa_group_segment_fixed_size 0
		.amdhsa_private_segment_fixed_size 0
		.amdhsa_kernarg_size 8
		.amdhsa_user_sgpr_count 2
		.amdhsa_user_sgpr_dispatch_ptr 0
		.amdhsa_user_sgpr_queue_ptr 0
		.amdhsa_user_sgpr_kernarg_segment_ptr 1
		.amdhsa_user_sgpr_dispatch_id 0
		.amdhsa_user_sgpr_kernarg_preload_length 0
		.amdhsa_user_sgpr_kernarg_preload_offset 0
		.amdhsa_user_sgpr_private_segment_size 0
		.amdhsa_wavefront_size32 1
		.amdhsa_uses_dynamic_stack 0
		.amdhsa_enable_private_segment 0
		.amdhsa_system_sgpr_workgroup_id_x 1
		.amdhsa_system_sgpr_workgroup_id_y 0
		.amdhsa_system_sgpr_workgroup_id_z 0
		.amdhsa_system_sgpr_workgroup_info 0
		.amdhsa_system_vgpr_workitem_id 0
		.amdhsa_next_free_vgpr 26
		.amdhsa_next_free_sgpr 66
		.amdhsa_named_barrier_count 0
		.amdhsa_reserve_vcc 0
		.amdhsa_float_round_mode_32 0
		.amdhsa_float_round_mode_16_64 0
		.amdhsa_float_denorm_mode_32 3
		.amdhsa_float_denorm_mode_16_64 3
		.amdhsa_fp16_overflow 0
		.amdhsa_memory_ordered 1
		.amdhsa_forward_progress 1
		.amdhsa_inst_pref_size 6
		.amdhsa_round_robin_scheduling 0
		.amdhsa_exception_fp_ieee_invalid_op 0
		.amdhsa_exception_fp_denorm_src 0
		.amdhsa_exception_fp_ieee_div_zero 0
		.amdhsa_exception_fp_ieee_overflow 0
		.amdhsa_exception_fp_ieee_underflow 0
		.amdhsa_exception_fp_ieee_inexact 0
		.amdhsa_exception_int_div_zero 0
	.end_amdhsa_kernel
	.section	.text._ZN9rocsparseL46csrmvn_preprocess_device_32_bins_3phase_phase2IlEEvPT_,"axG",@progbits,_ZN9rocsparseL46csrmvn_preprocess_device_32_bins_3phase_phase2IlEEvPT_,comdat
.Lfunc_end6:
	.size	_ZN9rocsparseL46csrmvn_preprocess_device_32_bins_3phase_phase2IlEEvPT_, .Lfunc_end6-_ZN9rocsparseL46csrmvn_preprocess_device_32_bins_3phase_phase2IlEEvPT_
                                        ; -- End function
	.set _ZN9rocsparseL46csrmvn_preprocess_device_32_bins_3phase_phase2IlEEvPT_.num_vgpr, 26
	.set _ZN9rocsparseL46csrmvn_preprocess_device_32_bins_3phase_phase2IlEEvPT_.num_agpr, 0
	.set _ZN9rocsparseL46csrmvn_preprocess_device_32_bins_3phase_phase2IlEEvPT_.numbered_sgpr, 66
	.set _ZN9rocsparseL46csrmvn_preprocess_device_32_bins_3phase_phase2IlEEvPT_.num_named_barrier, 0
	.set _ZN9rocsparseL46csrmvn_preprocess_device_32_bins_3phase_phase2IlEEvPT_.private_seg_size, 0
	.set _ZN9rocsparseL46csrmvn_preprocess_device_32_bins_3phase_phase2IlEEvPT_.uses_vcc, 0
	.set _ZN9rocsparseL46csrmvn_preprocess_device_32_bins_3phase_phase2IlEEvPT_.uses_flat_scratch, 0
	.set _ZN9rocsparseL46csrmvn_preprocess_device_32_bins_3phase_phase2IlEEvPT_.has_dyn_sized_stack, 0
	.set _ZN9rocsparseL46csrmvn_preprocess_device_32_bins_3phase_phase2IlEEvPT_.has_recursion, 0
	.set _ZN9rocsparseL46csrmvn_preprocess_device_32_bins_3phase_phase2IlEEvPT_.has_indirect_call, 0
	.section	.AMDGPU.csdata,"",@progbits
; Kernel info:
; codeLenInByte = 688
; TotalNumSgprs: 66
; NumVgprs: 26
; ScratchSize: 0
; MemoryBound: 1
; FloatMode: 240
; IeeeMode: 1
; LDSByteSize: 0 bytes/workgroup (compile time only)
; SGPRBlocks: 0
; VGPRBlocks: 1
; NumSGPRsForWavesPerEU: 66
; NumVGPRsForWavesPerEU: 26
; NamedBarCnt: 0
; Occupancy: 16
; WaveLimiterHint : 1
; COMPUTE_PGM_RSRC2:SCRATCH_EN: 0
; COMPUTE_PGM_RSRC2:USER_SGPR: 2
; COMPUTE_PGM_RSRC2:TRAP_HANDLER: 0
; COMPUTE_PGM_RSRC2:TGID_X_EN: 1
; COMPUTE_PGM_RSRC2:TGID_Y_EN: 0
; COMPUTE_PGM_RSRC2:TGID_Z_EN: 0
; COMPUTE_PGM_RSRC2:TIDIG_COMP_CNT: 0
	.section	.text._ZN9rocsparseL46csrmvn_preprocess_device_32_bins_3phase_phase3ILj256EllEEvT1_PKT0_PKS1_S6_PS1_,"axG",@progbits,_ZN9rocsparseL46csrmvn_preprocess_device_32_bins_3phase_phase3ILj256EllEEvT1_PKT0_PKS1_S6_PS1_,comdat
	.globl	_ZN9rocsparseL46csrmvn_preprocess_device_32_bins_3phase_phase3ILj256EllEEvT1_PKT0_PKS1_S6_PS1_ ; -- Begin function _ZN9rocsparseL46csrmvn_preprocess_device_32_bins_3phase_phase3ILj256EllEEvT1_PKT0_PKS1_S6_PS1_
	.p2align	8
	.type	_ZN9rocsparseL46csrmvn_preprocess_device_32_bins_3phase_phase3ILj256EllEEvT1_PKT0_PKS1_S6_PS1_,@function
_ZN9rocsparseL46csrmvn_preprocess_device_32_bins_3phase_phase3ILj256EllEEvT1_PKT0_PKS1_S6_PS1_: ; @_ZN9rocsparseL46csrmvn_preprocess_device_32_bins_3phase_phase3ILj256EllEEvT1_PKT0_PKS1_S6_PS1_
; %bb.0:
	s_load_b256 s[4:11], s[0:1], 0x0
	s_bfe_u32 s2, ttmp6, 0x4000c
	s_and_b32 s3, ttmp6, 15
	s_add_co_i32 s2, s2, 1
	s_getreg_b32 s12, hwreg(HW_REG_IB_STS2, 6, 4)
	s_mul_i32 s2, ttmp9, s2
	v_mov_b32_e32 v5, 0
	s_add_co_i32 s3, s3, s2
	s_cmp_eq_u32 s12, 0
	s_cselect_b32 s2, ttmp9, s3
	s_mov_b32 s3, 0
	v_lshl_or_b32 v4, s2, 8, v0
	s_mov_b32 s2, exec_lo
	s_wait_kmcnt 0x0
	s_delay_alu instid0(VALU_DEP_1)
	v_cmpx_gt_i64_e64 s[4:5], v[4:5]
	s_cbranch_execz .LBB7_5
; %bb.1:
	s_load_b96 s[0:2], s[0:1], 0x20
	v_lshlrev_b64_e32 v[6:7], 3, v[4:5]
	v_mov_b64_e32 v[8:9], 0x3fc385386b47b09a
	v_mov_b64_e32 v[10:11], v[4:5]
	s_mov_b64 s[12:13], 0x3fe5555555555555
	s_mov_b64 s[14:15], 0x3ff71547652b82fe
	s_mov_b32 s18, s3
                                        ; implicit-def: $vgpr0_vgpr1
                                        ; implicit-def: $vgpr0_vgpr1
	;; [unrolled: 1-line block ×5, first 2 shown]
	s_wait_kmcnt 0x0
	s_lshl_b32 s2, s2, 8
	s_delay_alu instid0(SALU_CYCLE_1)
	s_lshl_b64 s[16:17], s[2:3], 3
	s_branch .LBB7_3
.LBB7_2:                                ;   in Loop: Header=BB7_3 Depth=1
	s_or_b32 exec_lo, exec_lo, s19
	v_add_nc_u64_e32 v[2:3], s[8:9], v[6:7]
	s_delay_alu instid0(VALU_DEP_2)
	v_lshl_add_u64 v[0:1], v[12:13], 3, s[10:11]
	v_add_nc_u64_e32 v[6:7], s[16:17], v[6:7]
	global_load_b64 v[12:13], v[0:1], off
	global_load_b64 v[14:15], v[2:3], off
	s_wait_loadcnt 0x1
	s_wait_xcnt 0x1
	v_lshl_add_u64 v[0:1], v[12:13], 3, s[0:1]
	s_wait_loadcnt 0x0
	s_delay_alu instid0(VALU_DEP_1) | instskip(SKIP_3) | instid1(VALU_DEP_1)
	v_lshl_add_u64 v[0:1], v[14:15], 3, v[0:1]
	global_store_b64 v[0:1], v[10:11], off
	s_wait_xcnt 0x0
	v_add_nc_u64_e32 v[10:11], s[2:3], v[10:11]
	v_cmp_le_i64_e32 vcc_lo, s[4:5], v[10:11]
	s_or_b32 s18, vcc_lo, s18
	s_delay_alu instid0(SALU_CYCLE_1)
	s_and_not1_b32 exec_lo, exec_lo, s18
	s_cbranch_execz .LBB7_5
.LBB7_3:                                ; =>This Inner Loop Header: Depth=1
	v_add_nc_u64_e32 v[0:1], s[6:7], v[6:7]
	v_mov_b64_e32 v[12:13], 0
	s_mov_b32 s19, exec_lo
	global_load_b128 v[0:3], v[0:1], off
	s_wait_loadcnt 0x0
	s_wait_xcnt 0x0
	v_cmpx_ne_u64_e64 v[2:3], v[0:1]
	s_cbranch_execz .LBB7_2
; %bb.4:                                ;   in Loop: Header=BB7_3 Depth=1
	v_sub_nc_u64_e32 v[0:1], v[2:3], v[0:1]
	s_delay_alu instid0(VALU_DEP_1) | instskip(NEXT) | instid1(VALU_DEP_2)
	v_cvt_f64_i32_e32 v[2:3], v1
	v_cvt_f64_u32_e32 v[0:1], v0
	s_delay_alu instid0(VALU_DEP_2) | instskip(NEXT) | instid1(VALU_DEP_1)
	v_ldexp_f64 v[2:3], v[2:3], 32
	v_add_f64_e32 v[0:1], v[2:3], v[0:1]
	s_delay_alu instid0(VALU_DEP_1) | instskip(SKIP_1) | instid1(VALU_DEP_2)
	v_frexp_mant_f64_e32 v[2:3], v[0:1]
	v_frexp_exp_i32_f64_e32 v0, v[0:1]
	v_cmp_gt_f64_e32 vcc_lo, s[12:13], v[2:3]
	v_cndmask_b32_e64 v4, 0, 1, vcc_lo
	s_delay_alu instid0(VALU_DEP_3) | instskip(NEXT) | instid1(VALU_DEP_2)
	v_subrev_co_ci_u32_e64 v0, null, 0, v0, vcc_lo
	v_ldexp_f64 v[2:3], v[2:3], v4
	s_delay_alu instid0(VALU_DEP_2) | instskip(NEXT) | instid1(VALU_DEP_2)
	v_cvt_f64_i32_e32 v[0:1], v0
	v_add_f64_e32 v[12:13], 1.0, v[2:3]
	v_add_f64_e32 v[18:19], -1.0, v[2:3]
	s_delay_alu instid0(VALU_DEP_2) | instskip(SKIP_1) | instid1(VALU_DEP_1)
	v_rcp_f64_e32 v[14:15], v[12:13]
	v_add_f64_e32 v[20:21], -1.0, v[12:13]
	v_add_f64_e64 v[2:3], v[2:3], -v[20:21]
	s_delay_alu instid0(TRANS32_DEP_1) | instskip(NEXT) | instid1(VALU_DEP_1)
	v_fma_f64 v[16:17], -v[12:13], v[14:15], 1.0
	v_fmac_f64_e32 v[14:15], v[16:17], v[14:15]
	s_delay_alu instid0(VALU_DEP_1) | instskip(NEXT) | instid1(VALU_DEP_1)
	v_fma_f64 v[16:17], -v[12:13], v[14:15], 1.0
	v_fmac_f64_e32 v[14:15], v[16:17], v[14:15]
	s_delay_alu instid0(VALU_DEP_1) | instskip(NEXT) | instid1(VALU_DEP_1)
	v_mul_f64_e32 v[16:17], v[18:19], v[14:15]
	v_mul_f64_e32 v[22:23], v[12:13], v[16:17]
	s_delay_alu instid0(VALU_DEP_1) | instskip(NEXT) | instid1(VALU_DEP_1)
	v_fma_f64 v[12:13], v[16:17], v[12:13], -v[22:23]
	v_fmac_f64_e32 v[12:13], v[16:17], v[2:3]
	s_delay_alu instid0(VALU_DEP_1) | instskip(NEXT) | instid1(VALU_DEP_1)
	v_add_f64_e32 v[2:3], v[22:23], v[12:13]
	v_add_f64_e64 v[20:21], v[18:19], -v[2:3]
	v_add_f64_e64 v[22:23], v[2:3], -v[22:23]
	s_delay_alu instid0(VALU_DEP_2) | instskip(NEXT) | instid1(VALU_DEP_2)
	v_add_f64_e64 v[18:19], v[18:19], -v[20:21]
	v_add_f64_e64 v[12:13], v[22:23], -v[12:13]
	s_delay_alu instid0(VALU_DEP_2) | instskip(NEXT) | instid1(VALU_DEP_1)
	v_add_f64_e64 v[2:3], v[18:19], -v[2:3]
	v_add_f64_e32 v[2:3], v[12:13], v[2:3]
	s_delay_alu instid0(VALU_DEP_1) | instskip(NEXT) | instid1(VALU_DEP_1)
	v_add_f64_e32 v[2:3], v[20:21], v[2:3]
	v_mul_f64_e32 v[2:3], v[14:15], v[2:3]
	s_delay_alu instid0(VALU_DEP_1) | instskip(NEXT) | instid1(VALU_DEP_1)
	v_add_f64_e32 v[12:13], v[16:17], v[2:3]
	v_mul_f64_e32 v[14:15], v[12:13], v[12:13]
	s_delay_alu instid0(VALU_DEP_1) | instskip(SKIP_1) | instid1(VALU_DEP_2)
	v_fmamk_f64 v[18:19], v[14:15], 0x3fc3ab76bf559e2b, v[8:9]
	v_mul_f64_e32 v[20:21], v[12:13], v[14:15]
	v_fmaak_f64 v[18:19], v[14:15], v[18:19], 0x3fc7474dd7f4df2e
	s_delay_alu instid0(VALU_DEP_1) | instskip(NEXT) | instid1(VALU_DEP_1)
	v_fmaak_f64 v[18:19], v[14:15], v[18:19], 0x3fcc71c016291751
	v_fmaak_f64 v[18:19], v[14:15], v[18:19], 0x3fd249249b27acf1
	s_delay_alu instid0(VALU_DEP_1) | instskip(NEXT) | instid1(VALU_DEP_1)
	v_fmaak_f64 v[18:19], v[14:15], v[18:19], 0x3fd99999998ef7b6
	v_fmaak_f64 v[14:15], v[14:15], v[18:19], 0x3fe5555555555780
	v_ldexp_f64 v[18:19], v[12:13], 1
	v_add_f64_e64 v[12:13], v[12:13], -v[16:17]
	s_delay_alu instid0(VALU_DEP_3) | instskip(NEXT) | instid1(VALU_DEP_2)
	v_mul_f64_e32 v[14:15], v[20:21], v[14:15]
	v_add_f64_e64 v[2:3], v[2:3], -v[12:13]
	s_delay_alu instid0(VALU_DEP_2) | instskip(NEXT) | instid1(VALU_DEP_2)
	v_add_f64_e32 v[16:17], v[18:19], v[14:15]
	v_ldexp_f64 v[2:3], v[2:3], 1
	s_delay_alu instid0(VALU_DEP_2) | instskip(NEXT) | instid1(VALU_DEP_1)
	v_add_f64_e64 v[12:13], v[16:17], -v[18:19]
	v_add_f64_e64 v[12:13], v[14:15], -v[12:13]
	s_delay_alu instid0(VALU_DEP_1) | instskip(NEXT) | instid1(VALU_DEP_1)
	v_add_f64_e32 v[2:3], v[2:3], v[12:13]
	v_add_f64_e32 v[12:13], v[16:17], v[2:3]
	s_delay_alu instid0(VALU_DEP_1) | instskip(SKIP_1) | instid1(VALU_DEP_2)
	v_add_f64_e64 v[14:15], v[12:13], -v[16:17]
	v_mul_f64_e32 v[16:17], 0x3ff71547652b82fe, v[12:13]
	v_add_f64_e64 v[2:3], v[2:3], -v[14:15]
	s_delay_alu instid0(VALU_DEP_2) | instskip(NEXT) | instid1(VALU_DEP_1)
	v_fma_f64 v[14:15], v[12:13], s[14:15], -v[16:17]
	v_fmac_f64_e32 v[14:15], 0x3ff71547652b82fe, v[2:3]
	s_delay_alu instid0(VALU_DEP_1) | instskip(NEXT) | instid1(VALU_DEP_1)
	v_fmac_f64_e32 v[14:15], 0x3c7777d0ffda0d24, v[12:13]
	v_add_f64_e32 v[2:3], v[16:17], v[14:15]
	s_delay_alu instid0(VALU_DEP_1) | instskip(SKIP_1) | instid1(VALU_DEP_2)
	v_add_f64_e32 v[12:13], v[2:3], v[0:1]
	v_add_f64_e64 v[16:17], v[2:3], -v[16:17]
	v_add_f64_e64 v[18:19], v[12:13], -v[0:1]
	s_delay_alu instid0(VALU_DEP_2) | instskip(NEXT) | instid1(VALU_DEP_2)
	v_add_f64_e64 v[14:15], v[14:15], -v[16:17]
	v_add_f64_e64 v[20:21], v[18:19], -v[12:13]
	;; [unrolled: 1-line block ×3, first 2 shown]
	s_delay_alu instid0(VALU_DEP_2) | instskip(NEXT) | instid1(VALU_DEP_1)
	v_add_f64_e32 v[0:1], v[20:21], v[0:1]
	v_add_f64_e32 v[0:1], v[2:3], v[0:1]
	s_delay_alu instid0(VALU_DEP_1) | instskip(NEXT) | instid1(VALU_DEP_1)
	v_add_f64_e32 v[0:1], v[14:15], v[0:1]
	v_add_f64_e32 v[0:1], v[12:13], v[0:1]
	s_delay_alu instid0(VALU_DEP_1) | instskip(NEXT) | instid1(VALU_DEP_1)
	v_ceil_f64_e32 v[0:1], v[0:1]
	v_cvt_u32_f64_e32 v4, v[0:1]
	s_delay_alu instid0(VALU_DEP_1)
	v_mov_b64_e32 v[12:13], v[4:5]
	s_branch .LBB7_2
.LBB7_5:
	s_endpgm
	.section	.rodata,"a",@progbits
	.p2align	6, 0x0
	.amdhsa_kernel _ZN9rocsparseL46csrmvn_preprocess_device_32_bins_3phase_phase3ILj256EllEEvT1_PKT0_PKS1_S6_PS1_
		.amdhsa_group_segment_fixed_size 0
		.amdhsa_private_segment_fixed_size 0
		.amdhsa_kernarg_size 296
		.amdhsa_user_sgpr_count 2
		.amdhsa_user_sgpr_dispatch_ptr 0
		.amdhsa_user_sgpr_queue_ptr 0
		.amdhsa_user_sgpr_kernarg_segment_ptr 1
		.amdhsa_user_sgpr_dispatch_id 0
		.amdhsa_user_sgpr_kernarg_preload_length 0
		.amdhsa_user_sgpr_kernarg_preload_offset 0
		.amdhsa_user_sgpr_private_segment_size 0
		.amdhsa_wavefront_size32 1
		.amdhsa_uses_dynamic_stack 0
		.amdhsa_enable_private_segment 0
		.amdhsa_system_sgpr_workgroup_id_x 1
		.amdhsa_system_sgpr_workgroup_id_y 0
		.amdhsa_system_sgpr_workgroup_id_z 0
		.amdhsa_system_sgpr_workgroup_info 0
		.amdhsa_system_vgpr_workitem_id 0
		.amdhsa_next_free_vgpr 24
		.amdhsa_next_free_sgpr 20
		.amdhsa_named_barrier_count 0
		.amdhsa_reserve_vcc 1
		.amdhsa_float_round_mode_32 0
		.amdhsa_float_round_mode_16_64 0
		.amdhsa_float_denorm_mode_32 3
		.amdhsa_float_denorm_mode_16_64 3
		.amdhsa_fp16_overflow 0
		.amdhsa_memory_ordered 1
		.amdhsa_forward_progress 1
		.amdhsa_inst_pref_size 8
		.amdhsa_round_robin_scheduling 0
		.amdhsa_exception_fp_ieee_invalid_op 0
		.amdhsa_exception_fp_denorm_src 0
		.amdhsa_exception_fp_ieee_div_zero 0
		.amdhsa_exception_fp_ieee_overflow 0
		.amdhsa_exception_fp_ieee_underflow 0
		.amdhsa_exception_fp_ieee_inexact 0
		.amdhsa_exception_int_div_zero 0
	.end_amdhsa_kernel
	.section	.text._ZN9rocsparseL46csrmvn_preprocess_device_32_bins_3phase_phase3ILj256EllEEvT1_PKT0_PKS1_S6_PS1_,"axG",@progbits,_ZN9rocsparseL46csrmvn_preprocess_device_32_bins_3phase_phase3ILj256EllEEvT1_PKT0_PKS1_S6_PS1_,comdat
.Lfunc_end7:
	.size	_ZN9rocsparseL46csrmvn_preprocess_device_32_bins_3phase_phase3ILj256EllEEvT1_PKT0_PKS1_S6_PS1_, .Lfunc_end7-_ZN9rocsparseL46csrmvn_preprocess_device_32_bins_3phase_phase3ILj256EllEEvT1_PKT0_PKS1_S6_PS1_
                                        ; -- End function
	.set _ZN9rocsparseL46csrmvn_preprocess_device_32_bins_3phase_phase3ILj256EllEEvT1_PKT0_PKS1_S6_PS1_.num_vgpr, 24
	.set _ZN9rocsparseL46csrmvn_preprocess_device_32_bins_3phase_phase3ILj256EllEEvT1_PKT0_PKS1_S6_PS1_.num_agpr, 0
	.set _ZN9rocsparseL46csrmvn_preprocess_device_32_bins_3phase_phase3ILj256EllEEvT1_PKT0_PKS1_S6_PS1_.numbered_sgpr, 20
	.set _ZN9rocsparseL46csrmvn_preprocess_device_32_bins_3phase_phase3ILj256EllEEvT1_PKT0_PKS1_S6_PS1_.num_named_barrier, 0
	.set _ZN9rocsparseL46csrmvn_preprocess_device_32_bins_3phase_phase3ILj256EllEEvT1_PKT0_PKS1_S6_PS1_.private_seg_size, 0
	.set _ZN9rocsparseL46csrmvn_preprocess_device_32_bins_3phase_phase3ILj256EllEEvT1_PKT0_PKS1_S6_PS1_.uses_vcc, 1
	.set _ZN9rocsparseL46csrmvn_preprocess_device_32_bins_3phase_phase3ILj256EllEEvT1_PKT0_PKS1_S6_PS1_.uses_flat_scratch, 0
	.set _ZN9rocsparseL46csrmvn_preprocess_device_32_bins_3phase_phase3ILj256EllEEvT1_PKT0_PKS1_S6_PS1_.has_dyn_sized_stack, 0
	.set _ZN9rocsparseL46csrmvn_preprocess_device_32_bins_3phase_phase3ILj256EllEEvT1_PKT0_PKS1_S6_PS1_.has_recursion, 0
	.set _ZN9rocsparseL46csrmvn_preprocess_device_32_bins_3phase_phase3ILj256EllEEvT1_PKT0_PKS1_S6_PS1_.has_indirect_call, 0
	.section	.AMDGPU.csdata,"",@progbits
; Kernel info:
; codeLenInByte = 928
; TotalNumSgprs: 22
; NumVgprs: 24
; ScratchSize: 0
; MemoryBound: 0
; FloatMode: 240
; IeeeMode: 1
; LDSByteSize: 0 bytes/workgroup (compile time only)
; SGPRBlocks: 0
; VGPRBlocks: 1
; NumSGPRsForWavesPerEU: 22
; NumVGPRsForWavesPerEU: 24
; NamedBarCnt: 0
; Occupancy: 16
; WaveLimiterHint : 1
; COMPUTE_PGM_RSRC2:SCRATCH_EN: 0
; COMPUTE_PGM_RSRC2:USER_SGPR: 2
; COMPUTE_PGM_RSRC2:TRAP_HANDLER: 0
; COMPUTE_PGM_RSRC2:TGID_X_EN: 1
; COMPUTE_PGM_RSRC2:TGID_Y_EN: 0
; COMPUTE_PGM_RSRC2:TGID_Z_EN: 0
; COMPUTE_PGM_RSRC2:TIDIG_COMP_CNT: 0
	.section	.text._ZN9rocsparseL28csrmvn_lrb_short_rows_kernelIiiffffEEvbT_PT0_S3_jNS_24const_host_device_scalarIT4_EEPKS1_PKS2_PKT1_PKT2_S6_PT3_21rocsparse_index_base_b,"axG",@progbits,_ZN9rocsparseL28csrmvn_lrb_short_rows_kernelIiiffffEEvbT_PT0_S3_jNS_24const_host_device_scalarIT4_EEPKS1_PKS2_PKT1_PKT2_S6_PT3_21rocsparse_index_base_b,comdat
	.globl	_ZN9rocsparseL28csrmvn_lrb_short_rows_kernelIiiffffEEvbT_PT0_S3_jNS_24const_host_device_scalarIT4_EEPKS1_PKS2_PKT1_PKT2_S6_PT3_21rocsparse_index_base_b ; -- Begin function _ZN9rocsparseL28csrmvn_lrb_short_rows_kernelIiiffffEEvbT_PT0_S3_jNS_24const_host_device_scalarIT4_EEPKS1_PKS2_PKT1_PKT2_S6_PT3_21rocsparse_index_base_b
	.p2align	8
	.type	_ZN9rocsparseL28csrmvn_lrb_short_rows_kernelIiiffffEEvbT_PT0_S3_jNS_24const_host_device_scalarIT4_EEPKS1_PKS2_PKT1_PKT2_S6_PT3_21rocsparse_index_base_b,@function
_ZN9rocsparseL28csrmvn_lrb_short_rows_kernelIiiffffEEvbT_PT0_S3_jNS_24const_host_device_scalarIT4_EEPKS1_PKS2_PKT1_PKT2_S6_PT3_21rocsparse_index_base_b: ; @_ZN9rocsparseL28csrmvn_lrb_short_rows_kernelIiiffffEEvbT_PT0_S3_jNS_24const_host_device_scalarIT4_EEPKS1_PKS2_PKT1_PKT2_S6_PT3_21rocsparse_index_base_b
; %bb.0:
	s_clause 0x2
	s_load_b64 s[16:17], s[0:1], 0x58
	s_load_b64 s[18:19], s[0:1], 0x20
	;; [unrolled: 1-line block ×3, first 2 shown]
	s_wait_kmcnt 0x0
	s_bitcmp1_b32 s17, 0
	s_cselect_b32 s4, -1, 0
	s_delay_alu instid0(SALU_CYCLE_1)
	s_and_b32 vcc_lo, exec_lo, s4
	s_xor_b32 s4, s4, -1
	s_cbranch_vccnz .LBB8_2
; %bb.1:
	s_load_b32 s18, s[18:19], 0x0
.LBB8_2:
	s_and_not1_b32 vcc_lo, exec_lo, s4
	s_cbranch_vccnz .LBB8_4
; %bb.3:
	s_load_b32 s2, s[2:3], 0x0
.LBB8_4:
	s_wait_kmcnt 0x0
	s_cmp_neq_f32 s18, 0
	s_cselect_b32 s3, -1, 0
	s_cmp_neq_f32 s2, 1.0
	s_cselect_b32 s4, -1, 0
	s_delay_alu instid0(SALU_CYCLE_1) | instskip(NEXT) | instid1(SALU_CYCLE_1)
	s_or_b32 s3, s3, s4
	s_and_not1_b32 vcc_lo, exec_lo, s3
	s_cbranch_vccnz .LBB8_18
; %bb.5:
	s_clause 0x1
	s_load_b32 s3, s[0:1], 0x18
	s_load_b128 s[12:15], s[0:1], 0x8
	s_and_b32 s6, ttmp6, 15
	s_getreg_b32 s7, hwreg(HW_REG_IB_STS2, 6, 4)
	s_wait_kmcnt 0x0
	s_add_co_i32 s4, s3, 1
	s_clause 0x1
	s_load_b32 s17, s[14:15], s3 offset:0x0 scale_offset
	s_load_b32 s5, s[14:15], s4 offset:0x0 scale_offset
	s_wait_xcnt 0x0
	s_bfe_u32 s4, ttmp6, 0x4000c
	s_delay_alu instid0(SALU_CYCLE_1) | instskip(NEXT) | instid1(SALU_CYCLE_1)
	s_add_co_i32 s4, s4, 1
	s_mul_i32 s4, ttmp9, s4
	s_delay_alu instid0(SALU_CYCLE_1) | instskip(SKIP_4) | instid1(SALU_CYCLE_1)
	s_add_co_i32 s6, s6, s4
	s_wait_kmcnt 0x0
	s_sub_co_i32 s5, s5, s17
	s_cmp_eq_u32 s7, 0
	s_cselect_b32 s4, ttmp9, s6
	s_lshl_b32 s14, s4, 8
	s_delay_alu instid0(SALU_CYCLE_1) | instskip(NEXT) | instid1(SALU_CYCLE_1)
	s_add_co_i32 s4, s14, 0x100
	s_min_u32 s15, s5, s4
	s_cmp_gt_u32 s3, 23
	s_cbranch_scc1 .LBB8_12
; %bb.6:
	s_load_b256 s[4:11], s[0:1], 0x28
	v_bfe_u32 v1, v0, 0, s3
	v_lshl_add_u32 v5, v0, 2, 0
	s_lshl_b32 s19, 0x100, s3
	s_mov_b32 s20, 0
	s_delay_alu instid0(VALU_DEP_2)
	v_subrev_nc_u32_e32 v4, s16, v1
	s_branch .LBB8_9
.LBB8_7:                                ;   in Loop: Header=BB8_9 Depth=1
	s_wait_xcnt 0x0
	s_or_b32 exec_lo, exec_lo, s22
	ds_store_b32 v5, v3
.LBB8_8:                                ;   in Loop: Header=BB8_9 Depth=1
	s_or_b32 exec_lo, exec_lo, s21
	v_add_nc_u32_e32 v5, 0x400, v5
	s_addk_co_i32 s20, 0x100
	s_delay_alu instid0(SALU_CYCLE_1)
	s_cmp_ge_u32 s20, s19
	s_cbranch_scc1 .LBB8_12
.LBB8_9:                                ; =>This Inner Loop Header: Depth=1
	v_add_nc_u32_e32 v2, s20, v0
	s_mov_b32 s21, exec_lo
	s_delay_alu instid0(VALU_DEP_1) | instskip(NEXT) | instid1(VALU_DEP_1)
	v_lshrrev_b32_e32 v2, s3, v2
	v_add_nc_u32_e32 v2, s14, v2
	s_delay_alu instid0(VALU_DEP_1)
	v_cmpx_gt_u32_e64 s15, v2
	s_cbranch_execz .LBB8_8
; %bb.10:                               ;   in Loop: Header=BB8_9 Depth=1
	v_add_nc_u32_e32 v2, s17, v2
	global_load_b32 v2, v2, s[12:13] scale_offset
	s_wait_loadcnt 0x0
	v_ashrrev_i32_e32 v3, 31, v2
	s_wait_kmcnt 0x0
	s_wait_xcnt 0x0
	s_delay_alu instid0(VALU_DEP_1) | instskip(SKIP_4) | instid1(VALU_DEP_1)
	v_lshl_add_u64 v[2:3], v[2:3], 2, s[4:5]
	global_load_b64 v[2:3], v[2:3], off
	s_wait_loadcnt 0x0
	s_wait_xcnt 0x0
	v_sub_nc_u32_e32 v3, v3, v2
	v_cmp_lt_u32_e32 vcc_lo, v1, v3
	v_mov_b32_e32 v3, 0
	s_and_saveexec_b32 s22, vcc_lo
	s_cbranch_execz .LBB8_7
; %bb.11:                               ;   in Loop: Header=BB8_9 Depth=1
	v_add_nc_u32_e32 v2, v4, v2
	s_clause 0x1
	global_load_b32 v3, v2, s[6:7] scale_offset
	global_load_b32 v6, v2, s[8:9] scale_offset
	s_wait_loadcnt 0x1
	s_wait_xcnt 0x0
	v_subrev_nc_u32_e32 v2, s16, v3
	s_wait_loadcnt 0x0
	v_mul_f32_e32 v3, s18, v6
	global_load_b32 v2, v2, s[10:11] scale_offset
	s_wait_loadcnt 0x0
	v_mul_f32_e32 v3, v3, v2
	s_branch .LBB8_7
.LBB8_12:
	s_wait_kmcnt 0x0
	s_sub_co_i32 s4, s15, s14
	s_wait_dscnt 0x0
	v_cmp_gt_u32_e32 vcc_lo, s4, v0
	s_barrier_signal -1
	s_barrier_wait -1
	s_and_saveexec_b32 s4, vcc_lo
	s_cbranch_execz .LBB8_18
; %bb.13:
	v_add3_u32 v1, s17, s14, v0
	s_load_b64 s[0:1], s[0:1], 0x50
	v_dual_lshlrev_b32 v0, s3, v0 :: v_dual_mov_b32 v4, 0
	s_mov_b32 s4, 1
	global_load_b32 v2, v1, s[12:13] scale_offset
	v_lshl_add_u32 v0, v0, 2, 0
.LBB8_14:                               ; =>This Inner Loop Header: Depth=1
	s_wait_xcnt 0x0
	ds_load_b32 v1, v0
	v_add_nc_u32_e32 v0, 4, v0
	s_lshr_b32 s5, s4, s3
	s_add_co_i32 s4, s4, 1
	s_cmp_lg_u32 s5, 0
	s_wait_dscnt 0x0
	v_add_f32_e32 v4, v4, v1
	s_cbranch_scc0 .LBB8_14
; %bb.15:
	s_wait_loadcnt 0x0
	v_ashrrev_i32_e32 v3, 31, v2
	s_cmp_neq_f32 s2, 0
	s_wait_kmcnt 0x0
	s_delay_alu instid0(VALU_DEP_1)
	v_lshl_add_u64 v[0:1], v[2:3], 2, s[0:1]
	s_cbranch_scc0 .LBB8_17
; %bb.16:
	global_load_b32 v2, v[0:1], off
	s_wait_loadcnt 0x0
	v_fmac_f32_e32 v4, s2, v2
.LBB8_17:
	global_store_b32 v[0:1], v4, off
.LBB8_18:
	s_endpgm
	.section	.rodata,"a",@progbits
	.p2align	6, 0x0
	.amdhsa_kernel _ZN9rocsparseL28csrmvn_lrb_short_rows_kernelIiiffffEEvbT_PT0_S3_jNS_24const_host_device_scalarIT4_EEPKS1_PKS2_PKT1_PKT2_S6_PT3_21rocsparse_index_base_b
		.amdhsa_group_segment_fixed_size 0
		.amdhsa_private_segment_fixed_size 0
		.amdhsa_kernarg_size 96
		.amdhsa_user_sgpr_count 2
		.amdhsa_user_sgpr_dispatch_ptr 0
		.amdhsa_user_sgpr_queue_ptr 0
		.amdhsa_user_sgpr_kernarg_segment_ptr 1
		.amdhsa_user_sgpr_dispatch_id 0
		.amdhsa_user_sgpr_kernarg_preload_length 0
		.amdhsa_user_sgpr_kernarg_preload_offset 0
		.amdhsa_user_sgpr_private_segment_size 0
		.amdhsa_wavefront_size32 1
		.amdhsa_uses_dynamic_stack 0
		.amdhsa_enable_private_segment 0
		.amdhsa_system_sgpr_workgroup_id_x 1
		.amdhsa_system_sgpr_workgroup_id_y 0
		.amdhsa_system_sgpr_workgroup_id_z 0
		.amdhsa_system_sgpr_workgroup_info 0
		.amdhsa_system_vgpr_workitem_id 0
		.amdhsa_next_free_vgpr 7
		.amdhsa_next_free_sgpr 23
		.amdhsa_named_barrier_count 0
		.amdhsa_reserve_vcc 1
		.amdhsa_float_round_mode_32 0
		.amdhsa_float_round_mode_16_64 0
		.amdhsa_float_denorm_mode_32 3
		.amdhsa_float_denorm_mode_16_64 3
		.amdhsa_fp16_overflow 0
		.amdhsa_memory_ordered 1
		.amdhsa_forward_progress 1
		.amdhsa_inst_pref_size 6
		.amdhsa_round_robin_scheduling 0
		.amdhsa_exception_fp_ieee_invalid_op 0
		.amdhsa_exception_fp_denorm_src 0
		.amdhsa_exception_fp_ieee_div_zero 0
		.amdhsa_exception_fp_ieee_overflow 0
		.amdhsa_exception_fp_ieee_underflow 0
		.amdhsa_exception_fp_ieee_inexact 0
		.amdhsa_exception_int_div_zero 0
	.end_amdhsa_kernel
	.section	.text._ZN9rocsparseL28csrmvn_lrb_short_rows_kernelIiiffffEEvbT_PT0_S3_jNS_24const_host_device_scalarIT4_EEPKS1_PKS2_PKT1_PKT2_S6_PT3_21rocsparse_index_base_b,"axG",@progbits,_ZN9rocsparseL28csrmvn_lrb_short_rows_kernelIiiffffEEvbT_PT0_S3_jNS_24const_host_device_scalarIT4_EEPKS1_PKS2_PKT1_PKT2_S6_PT3_21rocsparse_index_base_b,comdat
.Lfunc_end8:
	.size	_ZN9rocsparseL28csrmvn_lrb_short_rows_kernelIiiffffEEvbT_PT0_S3_jNS_24const_host_device_scalarIT4_EEPKS1_PKS2_PKT1_PKT2_S6_PT3_21rocsparse_index_base_b, .Lfunc_end8-_ZN9rocsparseL28csrmvn_lrb_short_rows_kernelIiiffffEEvbT_PT0_S3_jNS_24const_host_device_scalarIT4_EEPKS1_PKS2_PKT1_PKT2_S6_PT3_21rocsparse_index_base_b
                                        ; -- End function
	.set _ZN9rocsparseL28csrmvn_lrb_short_rows_kernelIiiffffEEvbT_PT0_S3_jNS_24const_host_device_scalarIT4_EEPKS1_PKS2_PKT1_PKT2_S6_PT3_21rocsparse_index_base_b.num_vgpr, 7
	.set _ZN9rocsparseL28csrmvn_lrb_short_rows_kernelIiiffffEEvbT_PT0_S3_jNS_24const_host_device_scalarIT4_EEPKS1_PKS2_PKT1_PKT2_S6_PT3_21rocsparse_index_base_b.num_agpr, 0
	.set _ZN9rocsparseL28csrmvn_lrb_short_rows_kernelIiiffffEEvbT_PT0_S3_jNS_24const_host_device_scalarIT4_EEPKS1_PKS2_PKT1_PKT2_S6_PT3_21rocsparse_index_base_b.numbered_sgpr, 23
	.set _ZN9rocsparseL28csrmvn_lrb_short_rows_kernelIiiffffEEvbT_PT0_S3_jNS_24const_host_device_scalarIT4_EEPKS1_PKS2_PKT1_PKT2_S6_PT3_21rocsparse_index_base_b.num_named_barrier, 0
	.set _ZN9rocsparseL28csrmvn_lrb_short_rows_kernelIiiffffEEvbT_PT0_S3_jNS_24const_host_device_scalarIT4_EEPKS1_PKS2_PKT1_PKT2_S6_PT3_21rocsparse_index_base_b.private_seg_size, 0
	.set _ZN9rocsparseL28csrmvn_lrb_short_rows_kernelIiiffffEEvbT_PT0_S3_jNS_24const_host_device_scalarIT4_EEPKS1_PKS2_PKT1_PKT2_S6_PT3_21rocsparse_index_base_b.uses_vcc, 1
	.set _ZN9rocsparseL28csrmvn_lrb_short_rows_kernelIiiffffEEvbT_PT0_S3_jNS_24const_host_device_scalarIT4_EEPKS1_PKS2_PKT1_PKT2_S6_PT3_21rocsparse_index_base_b.uses_flat_scratch, 0
	.set _ZN9rocsparseL28csrmvn_lrb_short_rows_kernelIiiffffEEvbT_PT0_S3_jNS_24const_host_device_scalarIT4_EEPKS1_PKS2_PKT1_PKT2_S6_PT3_21rocsparse_index_base_b.has_dyn_sized_stack, 0
	.set _ZN9rocsparseL28csrmvn_lrb_short_rows_kernelIiiffffEEvbT_PT0_S3_jNS_24const_host_device_scalarIT4_EEPKS1_PKS2_PKT1_PKT2_S6_PT3_21rocsparse_index_base_b.has_recursion, 0
	.set _ZN9rocsparseL28csrmvn_lrb_short_rows_kernelIiiffffEEvbT_PT0_S3_jNS_24const_host_device_scalarIT4_EEPKS1_PKS2_PKT1_PKT2_S6_PT3_21rocsparse_index_base_b.has_indirect_call, 0
	.section	.AMDGPU.csdata,"",@progbits
; Kernel info:
; codeLenInByte = 728
; TotalNumSgprs: 25
; NumVgprs: 7
; ScratchSize: 0
; MemoryBound: 0
; FloatMode: 240
; IeeeMode: 1
; LDSByteSize: 0 bytes/workgroup (compile time only)
; SGPRBlocks: 0
; VGPRBlocks: 0
; NumSGPRsForWavesPerEU: 25
; NumVGPRsForWavesPerEU: 7
; NamedBarCnt: 0
; Occupancy: 16
; WaveLimiterHint : 1
; COMPUTE_PGM_RSRC2:SCRATCH_EN: 0
; COMPUTE_PGM_RSRC2:USER_SGPR: 2
; COMPUTE_PGM_RSRC2:TRAP_HANDLER: 0
; COMPUTE_PGM_RSRC2:TGID_X_EN: 1
; COMPUTE_PGM_RSRC2:TGID_Y_EN: 0
; COMPUTE_PGM_RSRC2:TGID_Z_EN: 0
; COMPUTE_PGM_RSRC2:TIDIG_COMP_CNT: 0
	.section	.text._ZN9rocsparseL30csrmvn_lrb_short_rows_2_kernelIiiffffEEvbT_PT0_S3_jNS_24const_host_device_scalarIT4_EEPKS1_PKS2_PKT1_PKT2_S6_PT3_21rocsparse_index_base_b,"axG",@progbits,_ZN9rocsparseL30csrmvn_lrb_short_rows_2_kernelIiiffffEEvbT_PT0_S3_jNS_24const_host_device_scalarIT4_EEPKS1_PKS2_PKT1_PKT2_S6_PT3_21rocsparse_index_base_b,comdat
	.globl	_ZN9rocsparseL30csrmvn_lrb_short_rows_2_kernelIiiffffEEvbT_PT0_S3_jNS_24const_host_device_scalarIT4_EEPKS1_PKS2_PKT1_PKT2_S6_PT3_21rocsparse_index_base_b ; -- Begin function _ZN9rocsparseL30csrmvn_lrb_short_rows_2_kernelIiiffffEEvbT_PT0_S3_jNS_24const_host_device_scalarIT4_EEPKS1_PKS2_PKT1_PKT2_S6_PT3_21rocsparse_index_base_b
	.p2align	8
	.type	_ZN9rocsparseL30csrmvn_lrb_short_rows_2_kernelIiiffffEEvbT_PT0_S3_jNS_24const_host_device_scalarIT4_EEPKS1_PKS2_PKT1_PKT2_S6_PT3_21rocsparse_index_base_b,@function
_ZN9rocsparseL30csrmvn_lrb_short_rows_2_kernelIiiffffEEvbT_PT0_S3_jNS_24const_host_device_scalarIT4_EEPKS1_PKS2_PKT1_PKT2_S6_PT3_21rocsparse_index_base_b: ; @_ZN9rocsparseL30csrmvn_lrb_short_rows_2_kernelIiiffffEEvbT_PT0_S3_jNS_24const_host_device_scalarIT4_EEPKS1_PKS2_PKT1_PKT2_S6_PT3_21rocsparse_index_base_b
; %bb.0:
	s_clause 0x2
	s_load_b64 s[18:19], s[0:1], 0x58
	s_load_b64 s[16:17], s[0:1], 0x20
	;; [unrolled: 1-line block ×3, first 2 shown]
	s_wait_kmcnt 0x0
	s_bitcmp1_b32 s19, 0
	s_cselect_b32 s4, -1, 0
	s_delay_alu instid0(SALU_CYCLE_1)
	s_and_b32 vcc_lo, exec_lo, s4
	s_xor_b32 s4, s4, -1
	s_cbranch_vccnz .LBB9_2
; %bb.1:
	s_load_b32 s16, s[16:17], 0x0
.LBB9_2:
	s_and_not1_b32 vcc_lo, exec_lo, s4
	s_cbranch_vccnz .LBB9_4
; %bb.3:
	s_load_b32 s2, s[2:3], 0x0
.LBB9_4:
	s_wait_kmcnt 0x0
	s_cmp_neq_f32 s16, 0
	s_cselect_b32 s3, -1, 0
	s_cmp_neq_f32 s2, 1.0
	s_cselect_b32 s4, -1, 0
	s_delay_alu instid0(SALU_CYCLE_1) | instskip(NEXT) | instid1(SALU_CYCLE_1)
	s_or_b32 s3, s3, s4
	s_and_not1_b32 vcc_lo, exec_lo, s3
	s_cbranch_vccnz .LBB9_30
; %bb.5:
	s_clause 0x1
	s_load_b32 s3, s[0:1], 0x18
	s_load_b128 s[12:15], s[0:1], 0x8
	s_wait_kmcnt 0x0
	s_add_co_i32 s19, s3, 1
	s_clause 0x1
	s_load_b32 s17, s[14:15], s3 offset:0x0 scale_offset
	s_load_b32 s20, s[14:15], s19 offset:0x0 scale_offset
	s_load_b256 s[4:11], s[0:1], 0x28
	s_wait_xcnt 0x0
	s_bfe_u32 s14, ttmp6, 0x4000c
	s_and_b32 s15, ttmp6, 15
	s_add_co_i32 s14, s14, 1
	s_getreg_b32 s19, hwreg(HW_REG_IB_STS2, 6, 4)
	s_mul_i32 s21, ttmp9, s14
	s_lshr_b32 s14, 0x400, s3
	s_add_co_i32 s15, s15, s21
	v_lshrrev_b32_e32 v1, s3, v0
	v_bfe_u32 v4, v0, 0, s3
	s_wait_kmcnt 0x0
	s_sub_co_i32 s20, s20, s17
	s_cmp_eq_u32 s19, 0
	s_cselect_b32 s15, ttmp9, s15
	s_delay_alu instid0(SALU_CYCLE_1) | instskip(NEXT) | instid1(SALU_CYCLE_1)
	s_mul_i32 s15, s14, s15
	v_add_nc_u32_e32 v2, s15, v1
	v_subrev_nc_u32_e32 v1, s18, v4
	s_add_co_i32 s19, s15, s14
	s_delay_alu instid0(SALU_CYCLE_1)
	s_min_u32 s19, s20, s19
	s_mov_b32 s20, exec_lo
	v_cmpx_gt_u32_e64 s19, v2
	s_cbranch_execz .LBB9_9
; %bb.6:
	v_add_nc_u32_e32 v2, s17, v2
	global_load_b32 v2, v2, s[12:13] scale_offset
	s_wait_loadcnt 0x0
	v_ashrrev_i32_e32 v3, 31, v2
	s_delay_alu instid0(VALU_DEP_1) | instskip(SKIP_3) | instid1(VALU_DEP_1)
	v_lshl_add_u64 v[2:3], v[2:3], 2, s[4:5]
	global_load_b64 v[2:3], v[2:3], off
	s_wait_loadcnt 0x0
	v_sub_nc_u32_e32 v3, v3, v2
	v_cmp_lt_u32_e32 vcc_lo, v4, v3
	v_mov_b32_e32 v3, 0
	s_and_saveexec_b32 s21, vcc_lo
	s_cbranch_execz .LBB9_8
; %bb.7:
	v_add_nc_u32_e32 v2, v2, v1
	s_clause 0x1
	global_load_b32 v3, v2, s[6:7] scale_offset
	global_load_b32 v5, v2, s[8:9] scale_offset
	s_wait_loadcnt 0x1
	s_wait_xcnt 0x0
	v_subrev_nc_u32_e32 v2, s18, v3
	s_wait_loadcnt 0x0
	v_mul_f32_e32 v3, s16, v5
	global_load_b32 v2, v2, s[10:11] scale_offset
	s_wait_loadcnt 0x0
	v_mul_f32_e32 v3, v3, v2
.LBB9_8:
	s_or_b32 exec_lo, exec_lo, s21
	v_lshlrev_b32_e32 v2, 2, v0
	ds_store_b32 v2, v3
.LBB9_9:
	s_or_b32 exec_lo, exec_lo, s20
	s_load_b64 s[0:1], s[0:1], 0x50
	v_or_b32_e32 v2, 0x100, v0
	s_mov_b32 s20, exec_lo
	s_delay_alu instid0(VALU_DEP_1) | instskip(NEXT) | instid1(VALU_DEP_1)
	v_lshrrev_b32_e32 v2, s3, v2
	v_add_nc_u32_e32 v2, s15, v2
	s_delay_alu instid0(VALU_DEP_1)
	v_cmpx_gt_u32_e64 s19, v2
	s_cbranch_execz .LBB9_13
; %bb.10:
	v_add_nc_u32_e32 v2, s17, v2
	global_load_b32 v2, v2, s[12:13] scale_offset
	s_wait_loadcnt 0x0
	v_ashrrev_i32_e32 v3, 31, v2
	s_delay_alu instid0(VALU_DEP_1) | instskip(SKIP_3) | instid1(VALU_DEP_1)
	v_lshl_add_u64 v[2:3], v[2:3], 2, s[4:5]
	global_load_b64 v[2:3], v[2:3], off
	s_wait_loadcnt 0x0
	v_sub_nc_u32_e32 v3, v3, v2
	v_cmp_lt_u32_e32 vcc_lo, v4, v3
	v_mov_b32_e32 v3, 0
	s_and_saveexec_b32 s21, vcc_lo
	s_cbranch_execz .LBB9_12
; %bb.11:
	v_add_nc_u32_e32 v2, v2, v1
	s_clause 0x1
	global_load_b32 v3, v2, s[6:7] scale_offset
	global_load_b32 v5, v2, s[8:9] scale_offset
	s_wait_loadcnt 0x1
	s_wait_xcnt 0x0
	v_subrev_nc_u32_e32 v2, s18, v3
	s_wait_loadcnt 0x0
	v_mul_f32_e32 v3, s16, v5
	global_load_b32 v2, v2, s[10:11] scale_offset
	s_wait_loadcnt 0x0
	v_mul_f32_e32 v3, v3, v2
.LBB9_12:
	s_or_b32 exec_lo, exec_lo, s21
	v_lshlrev_b32_e32 v2, 2, v0
	ds_store_b32 v2, v3 offset:1024
.LBB9_13:
	s_or_b32 exec_lo, exec_lo, s20
	v_or_b32_e32 v2, 0x200, v0
	s_mov_b32 s20, exec_lo
	s_delay_alu instid0(VALU_DEP_1) | instskip(NEXT) | instid1(VALU_DEP_1)
	v_lshrrev_b32_e32 v2, s3, v2
	v_add_nc_u32_e32 v2, s15, v2
	s_delay_alu instid0(VALU_DEP_1)
	v_cmpx_gt_u32_e64 s19, v2
	s_cbranch_execz .LBB9_17
; %bb.14:
	v_add_nc_u32_e32 v2, s17, v2
	global_load_b32 v2, v2, s[12:13] scale_offset
	s_wait_loadcnt 0x0
	v_ashrrev_i32_e32 v3, 31, v2
	s_delay_alu instid0(VALU_DEP_1) | instskip(SKIP_3) | instid1(VALU_DEP_1)
	v_lshl_add_u64 v[2:3], v[2:3], 2, s[4:5]
	global_load_b64 v[2:3], v[2:3], off
	s_wait_loadcnt 0x0
	v_sub_nc_u32_e32 v3, v3, v2
	v_cmp_lt_u32_e32 vcc_lo, v4, v3
	v_mov_b32_e32 v3, 0
	s_and_saveexec_b32 s21, vcc_lo
	s_cbranch_execz .LBB9_16
; %bb.15:
	v_add_nc_u32_e32 v2, v2, v1
	s_clause 0x1
	global_load_b32 v3, v2, s[6:7] scale_offset
	global_load_b32 v5, v2, s[8:9] scale_offset
	s_wait_loadcnt 0x1
	s_wait_xcnt 0x0
	v_subrev_nc_u32_e32 v2, s18, v3
	s_wait_loadcnt 0x0
	v_mul_f32_e32 v3, s16, v5
	global_load_b32 v2, v2, s[10:11] scale_offset
	s_wait_loadcnt 0x0
	v_mul_f32_e32 v3, v3, v2
.LBB9_16:
	s_or_b32 exec_lo, exec_lo, s21
	v_lshlrev_b32_e32 v2, 2, v0
	ds_store_b32 v2, v3 offset:2048
.LBB9_17:
	s_or_b32 exec_lo, exec_lo, s20
	;; [unrolled: 41-line block ×3, first 2 shown]
	s_cmp_lt_u32 s3, 11
	s_wait_dscnt 0x0
	s_barrier_signal -1
	s_barrier_wait -1
	s_cbranch_scc0 .LBB9_30
; %bb.22:
	s_sub_co_i32 s4, s19, s15
	s_add_co_i32 s17, s17, s15
	s_cmp_neq_f32 s2, 0
	s_mov_b32 s5, 0
	s_cselect_b32 s6, -1, 0
	s_branch .LBB9_25
.LBB9_23:                               ;   in Loop: Header=BB9_25 Depth=1
	global_store_b32 v[2:3], v1, off
.LBB9_24:                               ;   in Loop: Header=BB9_25 Depth=1
	s_wait_xcnt 0x0
	s_or_b32 exec_lo, exec_lo, s7
	s_addk_co_i32 s5, 0x100
	s_delay_alu instid0(SALU_CYCLE_1)
	s_cmp_lt_u32 s5, s14
	s_cbranch_scc0 .LBB9_30
.LBB9_25:                               ; =>This Loop Header: Depth=1
                                        ;     Child Loop BB9_27 Depth 2
	v_add_nc_u32_e32 v1, s5, v0
	s_mov_b32 s7, exec_lo
	s_delay_alu instid0(VALU_DEP_1)
	v_cmpx_gt_u32_e64 s4, v1
	s_cbranch_execz .LBB9_24
; %bb.26:                               ;   in Loop: Header=BB9_25 Depth=1
	v_dual_add_nc_u32 v2, s17, v1 :: v_dual_lshlrev_b32 v1, s3, v1
	s_mov_b32 s8, 1
	global_load_b32 v2, v2, s[12:13] scale_offset
	v_dual_lshlrev_b32 v3, 2, v1 :: v_dual_mov_b32 v1, 0
.LBB9_27:                               ;   Parent Loop BB9_25 Depth=1
                                        ; =>  This Inner Loop Header: Depth=2
	ds_load_b32 v4, v3
	v_add_nc_u32_e32 v3, 4, v3
	s_lshr_b32 s9, s8, s3
	s_add_co_i32 s8, s8, 1
	s_cmp_lg_u32 s9, 0
	s_wait_dscnt 0x0
	v_add_f32_e32 v1, v1, v4
	s_cbranch_scc0 .LBB9_27
; %bb.28:                               ;   in Loop: Header=BB9_25 Depth=1
	s_wait_loadcnt 0x0
	v_ashrrev_i32_e32 v3, 31, v2
	s_and_b32 vcc_lo, exec_lo, s6
	s_wait_kmcnt 0x0
	s_wait_xcnt 0x0
	s_delay_alu instid0(VALU_DEP_1)
	v_lshl_add_u64 v[2:3], v[2:3], 2, s[0:1]
	s_cbranch_vccz .LBB9_23
; %bb.29:                               ;   in Loop: Header=BB9_25 Depth=1
	global_load_b32 v4, v[2:3], off
	s_wait_loadcnt 0x0
	v_fmac_f32_e32 v1, s2, v4
	s_branch .LBB9_23
.LBB9_30:
	s_endpgm
	.section	.rodata,"a",@progbits
	.p2align	6, 0x0
	.amdhsa_kernel _ZN9rocsparseL30csrmvn_lrb_short_rows_2_kernelIiiffffEEvbT_PT0_S3_jNS_24const_host_device_scalarIT4_EEPKS1_PKS2_PKT1_PKT2_S6_PT3_21rocsparse_index_base_b
		.amdhsa_group_segment_fixed_size 4096
		.amdhsa_private_segment_fixed_size 0
		.amdhsa_kernarg_size 96
		.amdhsa_user_sgpr_count 2
		.amdhsa_user_sgpr_dispatch_ptr 0
		.amdhsa_user_sgpr_queue_ptr 0
		.amdhsa_user_sgpr_kernarg_segment_ptr 1
		.amdhsa_user_sgpr_dispatch_id 0
		.amdhsa_user_sgpr_kernarg_preload_length 0
		.amdhsa_user_sgpr_kernarg_preload_offset 0
		.amdhsa_user_sgpr_private_segment_size 0
		.amdhsa_wavefront_size32 1
		.amdhsa_uses_dynamic_stack 0
		.amdhsa_enable_private_segment 0
		.amdhsa_system_sgpr_workgroup_id_x 1
		.amdhsa_system_sgpr_workgroup_id_y 0
		.amdhsa_system_sgpr_workgroup_id_z 0
		.amdhsa_system_sgpr_workgroup_info 0
		.amdhsa_system_vgpr_workitem_id 0
		.amdhsa_next_free_vgpr 6
		.amdhsa_next_free_sgpr 22
		.amdhsa_named_barrier_count 0
		.amdhsa_reserve_vcc 1
		.amdhsa_float_round_mode_32 0
		.amdhsa_float_round_mode_16_64 0
		.amdhsa_float_denorm_mode_32 3
		.amdhsa_float_denorm_mode_16_64 3
		.amdhsa_fp16_overflow 0
		.amdhsa_memory_ordered 1
		.amdhsa_forward_progress 1
		.amdhsa_inst_pref_size 11
		.amdhsa_round_robin_scheduling 0
		.amdhsa_exception_fp_ieee_invalid_op 0
		.amdhsa_exception_fp_denorm_src 0
		.amdhsa_exception_fp_ieee_div_zero 0
		.amdhsa_exception_fp_ieee_overflow 0
		.amdhsa_exception_fp_ieee_underflow 0
		.amdhsa_exception_fp_ieee_inexact 0
		.amdhsa_exception_int_div_zero 0
	.end_amdhsa_kernel
	.section	.text._ZN9rocsparseL30csrmvn_lrb_short_rows_2_kernelIiiffffEEvbT_PT0_S3_jNS_24const_host_device_scalarIT4_EEPKS1_PKS2_PKT1_PKT2_S6_PT3_21rocsparse_index_base_b,"axG",@progbits,_ZN9rocsparseL30csrmvn_lrb_short_rows_2_kernelIiiffffEEvbT_PT0_S3_jNS_24const_host_device_scalarIT4_EEPKS1_PKS2_PKT1_PKT2_S6_PT3_21rocsparse_index_base_b,comdat
.Lfunc_end9:
	.size	_ZN9rocsparseL30csrmvn_lrb_short_rows_2_kernelIiiffffEEvbT_PT0_S3_jNS_24const_host_device_scalarIT4_EEPKS1_PKS2_PKT1_PKT2_S6_PT3_21rocsparse_index_base_b, .Lfunc_end9-_ZN9rocsparseL30csrmvn_lrb_short_rows_2_kernelIiiffffEEvbT_PT0_S3_jNS_24const_host_device_scalarIT4_EEPKS1_PKS2_PKT1_PKT2_S6_PT3_21rocsparse_index_base_b
                                        ; -- End function
	.set _ZN9rocsparseL30csrmvn_lrb_short_rows_2_kernelIiiffffEEvbT_PT0_S3_jNS_24const_host_device_scalarIT4_EEPKS1_PKS2_PKT1_PKT2_S6_PT3_21rocsparse_index_base_b.num_vgpr, 6
	.set _ZN9rocsparseL30csrmvn_lrb_short_rows_2_kernelIiiffffEEvbT_PT0_S3_jNS_24const_host_device_scalarIT4_EEPKS1_PKS2_PKT1_PKT2_S6_PT3_21rocsparse_index_base_b.num_agpr, 0
	.set _ZN9rocsparseL30csrmvn_lrb_short_rows_2_kernelIiiffffEEvbT_PT0_S3_jNS_24const_host_device_scalarIT4_EEPKS1_PKS2_PKT1_PKT2_S6_PT3_21rocsparse_index_base_b.numbered_sgpr, 22
	.set _ZN9rocsparseL30csrmvn_lrb_short_rows_2_kernelIiiffffEEvbT_PT0_S3_jNS_24const_host_device_scalarIT4_EEPKS1_PKS2_PKT1_PKT2_S6_PT3_21rocsparse_index_base_b.num_named_barrier, 0
	.set _ZN9rocsparseL30csrmvn_lrb_short_rows_2_kernelIiiffffEEvbT_PT0_S3_jNS_24const_host_device_scalarIT4_EEPKS1_PKS2_PKT1_PKT2_S6_PT3_21rocsparse_index_base_b.private_seg_size, 0
	.set _ZN9rocsparseL30csrmvn_lrb_short_rows_2_kernelIiiffffEEvbT_PT0_S3_jNS_24const_host_device_scalarIT4_EEPKS1_PKS2_PKT1_PKT2_S6_PT3_21rocsparse_index_base_b.uses_vcc, 1
	.set _ZN9rocsparseL30csrmvn_lrb_short_rows_2_kernelIiiffffEEvbT_PT0_S3_jNS_24const_host_device_scalarIT4_EEPKS1_PKS2_PKT1_PKT2_S6_PT3_21rocsparse_index_base_b.uses_flat_scratch, 0
	.set _ZN9rocsparseL30csrmvn_lrb_short_rows_2_kernelIiiffffEEvbT_PT0_S3_jNS_24const_host_device_scalarIT4_EEPKS1_PKS2_PKT1_PKT2_S6_PT3_21rocsparse_index_base_b.has_dyn_sized_stack, 0
	.set _ZN9rocsparseL30csrmvn_lrb_short_rows_2_kernelIiiffffEEvbT_PT0_S3_jNS_24const_host_device_scalarIT4_EEPKS1_PKS2_PKT1_PKT2_S6_PT3_21rocsparse_index_base_b.has_recursion, 0
	.set _ZN9rocsparseL30csrmvn_lrb_short_rows_2_kernelIiiffffEEvbT_PT0_S3_jNS_24const_host_device_scalarIT4_EEPKS1_PKS2_PKT1_PKT2_S6_PT3_21rocsparse_index_base_b.has_indirect_call, 0
	.section	.AMDGPU.csdata,"",@progbits
; Kernel info:
; codeLenInByte = 1312
; TotalNumSgprs: 24
; NumVgprs: 6
; ScratchSize: 0
; MemoryBound: 0
; FloatMode: 240
; IeeeMode: 1
; LDSByteSize: 4096 bytes/workgroup (compile time only)
; SGPRBlocks: 0
; VGPRBlocks: 0
; NumSGPRsForWavesPerEU: 24
; NumVGPRsForWavesPerEU: 6
; NamedBarCnt: 0
; Occupancy: 16
; WaveLimiterHint : 1
; COMPUTE_PGM_RSRC2:SCRATCH_EN: 0
; COMPUTE_PGM_RSRC2:USER_SGPR: 2
; COMPUTE_PGM_RSRC2:TRAP_HANDLER: 0
; COMPUTE_PGM_RSRC2:TGID_X_EN: 1
; COMPUTE_PGM_RSRC2:TGID_Y_EN: 0
; COMPUTE_PGM_RSRC2:TGID_Z_EN: 0
; COMPUTE_PGM_RSRC2:TIDIG_COMP_CNT: 0
	.section	.text._ZN9rocsparseL41csrmvn_lrb_medium_rows_warp_reduce_kernelILj256ELj32EiiffffEEvbT1_lPT2_S3_jNS_24const_host_device_scalarIT6_EEPKS1_PKS2_PKT3_PKT4_S6_PT5_21rocsparse_index_base_b,"axG",@progbits,_ZN9rocsparseL41csrmvn_lrb_medium_rows_warp_reduce_kernelILj256ELj32EiiffffEEvbT1_lPT2_S3_jNS_24const_host_device_scalarIT6_EEPKS1_PKS2_PKT3_PKT4_S6_PT5_21rocsparse_index_base_b,comdat
	.globl	_ZN9rocsparseL41csrmvn_lrb_medium_rows_warp_reduce_kernelILj256ELj32EiiffffEEvbT1_lPT2_S3_jNS_24const_host_device_scalarIT6_EEPKS1_PKS2_PKT3_PKT4_S6_PT5_21rocsparse_index_base_b ; -- Begin function _ZN9rocsparseL41csrmvn_lrb_medium_rows_warp_reduce_kernelILj256ELj32EiiffffEEvbT1_lPT2_S3_jNS_24const_host_device_scalarIT6_EEPKS1_PKS2_PKT3_PKT4_S6_PT5_21rocsparse_index_base_b
	.p2align	8
	.type	_ZN9rocsparseL41csrmvn_lrb_medium_rows_warp_reduce_kernelILj256ELj32EiiffffEEvbT1_lPT2_S3_jNS_24const_host_device_scalarIT6_EEPKS1_PKS2_PKT3_PKT4_S6_PT5_21rocsparse_index_base_b,@function
_ZN9rocsparseL41csrmvn_lrb_medium_rows_warp_reduce_kernelILj256ELj32EiiffffEEvbT1_lPT2_S3_jNS_24const_host_device_scalarIT6_EEPKS1_PKS2_PKT3_PKT4_S6_PT5_21rocsparse_index_base_b: ; @_ZN9rocsparseL41csrmvn_lrb_medium_rows_warp_reduce_kernelILj256ELj32EiiffffEEvbT1_lPT2_S3_jNS_24const_host_device_scalarIT6_EEPKS1_PKS2_PKT3_PKT4_S6_PT5_21rocsparse_index_base_b
; %bb.0:
	s_clause 0x2
	s_load_b64 s[8:9], s[0:1], 0x60
	s_load_b64 s[10:11], s[0:1], 0x28
	;; [unrolled: 1-line block ×3, first 2 shown]
	s_wait_kmcnt 0x0
	s_bitcmp1_b32 s9, 0
	s_cselect_b32 s4, -1, 0
	s_delay_alu instid0(SALU_CYCLE_1)
	s_and_b32 vcc_lo, exec_lo, s4
	s_xor_b32 s4, s4, -1
	s_cbranch_vccnz .LBB10_2
; %bb.1:
	s_load_b32 s10, s[10:11], 0x0
.LBB10_2:
	s_and_not1_b32 vcc_lo, exec_lo, s4
	s_cbranch_vccnz .LBB10_4
; %bb.3:
	s_load_b32 s2, s[2:3], 0x0
.LBB10_4:
	s_wait_kmcnt 0x0
	s_cmp_neq_f32 s10, 0
	s_cselect_b32 s3, -1, 0
	s_cmp_neq_f32 s2, 1.0
	s_cselect_b32 s4, -1, 0
	s_delay_alu instid0(SALU_CYCLE_1) | instskip(NEXT) | instid1(SALU_CYCLE_1)
	s_or_b32 s3, s3, s4
	s_and_not1_b32 vcc_lo, exec_lo, s3
	s_cbranch_vccnz .LBB10_14
; %bb.5:
	s_bfe_u32 s3, ttmp6, 0x4000c
	s_load_b64 s[4:5], s[0:1], 0x8
	s_add_co_i32 s3, s3, 1
	s_and_b32 s6, ttmp6, 15
	s_mul_i32 s3, ttmp9, s3
	s_getreg_b32 s7, hwreg(HW_REG_IB_STS2, 6, 4)
	v_lshrrev_b32_e32 v1, 5, v0
	s_add_co_i32 s6, s6, s3
	s_cmp_eq_u32 s7, 0
	s_cselect_b32 s3, ttmp9, s6
	s_delay_alu instid0(VALU_DEP_1) | instid1(SALU_CYCLE_1)
	v_lshl_or_b32 v2, s3, 3, v1
	s_mov_b32 s3, exec_lo
	s_delay_alu instid0(VALU_DEP_1) | instskip(SKIP_1) | instid1(VALU_DEP_1)
	v_ashrrev_i32_e32 v3, 31, v2
	s_wait_kmcnt 0x0
	v_cmpx_gt_i64_e64 s[4:5], v[2:3]
	s_cbranch_execz .LBB10_14
; %bb.6:
	s_clause 0x1
	s_load_b128 s[4:7], s[0:1], 0x10
	s_load_b32 s3, s[0:1], 0x20
	s_wait_kmcnt 0x0
	s_load_b32 s3, s[6:7], s3 offset:0x0 scale_offset
	s_wait_kmcnt 0x0
	v_add_nc_u32_e32 v1, s3, v2
	s_mov_b32 s3, exec_lo
	global_load_b32 v2, v1, s[4:5] scale_offset
	s_wait_xcnt 0x0
	s_load_b64 s[4:5], s[0:1], 0x30
	s_wait_loadcnt 0x0
	v_ashrrev_i32_e32 v3, 31, v2
	s_wait_kmcnt 0x0
	s_delay_alu instid0(VALU_DEP_1) | instskip(SKIP_2) | instid1(VALU_DEP_1)
	v_lshl_add_u64 v[4:5], v[2:3], 2, s[4:5]
	global_load_b64 v[6:7], v[4:5], off
	v_and_b32_e32 v0, 31, v0
	v_subrev_nc_u32_e32 v1, s8, v0
	s_wait_loadcnt 0x0
	v_subrev_nc_u32_e32 v4, s8, v7
	s_delay_alu instid0(VALU_DEP_2) | instskip(NEXT) | instid1(VALU_DEP_1)
	v_dual_add_nc_u32 v5, v6, v1 :: v_dual_mov_b32 v1, 0
	v_cmpx_lt_i32_e64 v5, v4
	s_cbranch_execz .LBB10_10
; %bb.7:
	s_clause 0x1
	s_load_b128 s[4:7], s[0:1], 0x38
	s_load_b64 s[12:13], s[0:1], 0x48
	v_mov_b32_e32 v1, 0
	s_mov_b32 s9, 0
.LBB10_8:                               ; =>This Inner Loop Header: Depth=1
	s_wait_kmcnt 0x0
	s_clause 0x1
	global_load_b32 v6, v5, s[4:5] scale_offset
	global_load_b32 v7, v5, s[6:7] scale_offset
	s_wait_xcnt 0x0
	v_add_nc_u32_e32 v5, 32, v5
	s_wait_loadcnt 0x1
	v_subrev_nc_u32_e32 v6, s8, v6
	s_wait_loadcnt 0x0
	v_mul_f32_e32 v7, s10, v7
	v_cmp_ge_i32_e32 vcc_lo, v5, v4
	global_load_b32 v6, v6, s[12:13] scale_offset
	s_or_b32 s9, vcc_lo, s9
	s_wait_loadcnt 0x0
	v_fmac_f32_e32 v1, v7, v6
	s_and_not1_b32 exec_lo, exec_lo, s9
	s_cbranch_execnz .LBB10_8
; %bb.9:
	s_or_b32 exec_lo, exec_lo, s9
.LBB10_10:
	s_delay_alu instid0(SALU_CYCLE_1) | instskip(SKIP_2) | instid1(VALU_DEP_1)
	s_or_b32 exec_lo, exec_lo, s3
	v_mbcnt_lo_u32_b32 v4, -1, 0
	s_load_b64 s[0:1], s[0:1], 0x58
	v_xor_b32_e32 v6, 8, v4
	v_xor_b32_e32 v5, 16, v4
	s_delay_alu instid0(VALU_DEP_1) | instskip(SKIP_1) | instid1(VALU_DEP_4)
	v_cmp_gt_i32_e32 vcc_lo, 32, v5
	v_cndmask_b32_e32 v5, v4, v5, vcc_lo
	v_cmp_gt_i32_e32 vcc_lo, 32, v6
	v_cndmask_b32_e32 v6, v4, v6, vcc_lo
	s_delay_alu instid0(VALU_DEP_1)
	v_dual_lshlrev_b32 v6, 2, v6 :: v_dual_lshlrev_b32 v5, 2, v5
	ds_bpermute_b32 v5, v5, v1
	s_wait_dscnt 0x0
	v_add_f32_e32 v1, v1, v5
	ds_bpermute_b32 v5, v6, v1
	v_xor_b32_e32 v6, 4, v4
	s_delay_alu instid0(VALU_DEP_1) | instskip(SKIP_2) | instid1(VALU_DEP_1)
	v_cmp_gt_i32_e32 vcc_lo, 32, v6
	s_wait_dscnt 0x0
	v_dual_cndmask_b32 v6, v4, v6 :: v_dual_add_f32 v1, v1, v5
	v_lshlrev_b32_e32 v6, 2, v6
	ds_bpermute_b32 v5, v6, v1
	s_wait_dscnt 0x0
	v_dual_add_f32 v1, v1, v5 :: v_dual_bitop2_b32 v6, 2, v4 bitop3:0x14
	s_delay_alu instid0(VALU_DEP_1) | instskip(SKIP_1) | instid1(VALU_DEP_1)
	v_cmp_gt_i32_e32 vcc_lo, 32, v6
	v_cndmask_b32_e32 v6, v4, v6, vcc_lo
	v_lshlrev_b32_e32 v6, 2, v6
	ds_bpermute_b32 v5, v6, v1
	v_xor_b32_e32 v6, 1, v4
	s_delay_alu instid0(VALU_DEP_1) | instskip(SKIP_3) | instid1(VALU_DEP_2)
	v_cmp_gt_i32_e32 vcc_lo, 32, v6
	v_cndmask_b32_e32 v4, v4, v6, vcc_lo
	v_cmp_eq_u32_e32 vcc_lo, 31, v0
	s_wait_dscnt 0x0
	v_dual_add_f32 v1, v1, v5 :: v_dual_lshlrev_b32 v4, 2, v4
	ds_bpermute_b32 v4, v4, v1
	s_and_b32 exec_lo, exec_lo, vcc_lo
	s_cbranch_execz .LBB10_14
; %bb.11:
	s_wait_dscnt 0x0
	v_add_f32_e32 v4, v1, v4
	s_wait_kmcnt 0x0
	v_lshl_add_u64 v[0:1], v[2:3], 2, s[0:1]
	s_cmp_eq_f32 s2, 0
	s_cbranch_scc1 .LBB10_13
; %bb.12:
	global_load_b32 v2, v[0:1], off
	s_wait_loadcnt 0x0
	v_fmac_f32_e32 v4, s2, v2
.LBB10_13:
	global_store_b32 v[0:1], v4, off
.LBB10_14:
	s_endpgm
	.section	.rodata,"a",@progbits
	.p2align	6, 0x0
	.amdhsa_kernel _ZN9rocsparseL41csrmvn_lrb_medium_rows_warp_reduce_kernelILj256ELj32EiiffffEEvbT1_lPT2_S3_jNS_24const_host_device_scalarIT6_EEPKS1_PKS2_PKT3_PKT4_S6_PT5_21rocsparse_index_base_b
		.amdhsa_group_segment_fixed_size 0
		.amdhsa_private_segment_fixed_size 0
		.amdhsa_kernarg_size 104
		.amdhsa_user_sgpr_count 2
		.amdhsa_user_sgpr_dispatch_ptr 0
		.amdhsa_user_sgpr_queue_ptr 0
		.amdhsa_user_sgpr_kernarg_segment_ptr 1
		.amdhsa_user_sgpr_dispatch_id 0
		.amdhsa_user_sgpr_kernarg_preload_length 0
		.amdhsa_user_sgpr_kernarg_preload_offset 0
		.amdhsa_user_sgpr_private_segment_size 0
		.amdhsa_wavefront_size32 1
		.amdhsa_uses_dynamic_stack 0
		.amdhsa_enable_private_segment 0
		.amdhsa_system_sgpr_workgroup_id_x 1
		.amdhsa_system_sgpr_workgroup_id_y 0
		.amdhsa_system_sgpr_workgroup_id_z 0
		.amdhsa_system_sgpr_workgroup_info 0
		.amdhsa_system_vgpr_workitem_id 0
		.amdhsa_next_free_vgpr 8
		.amdhsa_next_free_sgpr 14
		.amdhsa_named_barrier_count 0
		.amdhsa_reserve_vcc 1
		.amdhsa_float_round_mode_32 0
		.amdhsa_float_round_mode_16_64 0
		.amdhsa_float_denorm_mode_32 3
		.amdhsa_float_denorm_mode_16_64 3
		.amdhsa_fp16_overflow 0
		.amdhsa_memory_ordered 1
		.amdhsa_forward_progress 1
		.amdhsa_inst_pref_size 6
		.amdhsa_round_robin_scheduling 0
		.amdhsa_exception_fp_ieee_invalid_op 0
		.amdhsa_exception_fp_denorm_src 0
		.amdhsa_exception_fp_ieee_div_zero 0
		.amdhsa_exception_fp_ieee_overflow 0
		.amdhsa_exception_fp_ieee_underflow 0
		.amdhsa_exception_fp_ieee_inexact 0
		.amdhsa_exception_int_div_zero 0
	.end_amdhsa_kernel
	.section	.text._ZN9rocsparseL41csrmvn_lrb_medium_rows_warp_reduce_kernelILj256ELj32EiiffffEEvbT1_lPT2_S3_jNS_24const_host_device_scalarIT6_EEPKS1_PKS2_PKT3_PKT4_S6_PT5_21rocsparse_index_base_b,"axG",@progbits,_ZN9rocsparseL41csrmvn_lrb_medium_rows_warp_reduce_kernelILj256ELj32EiiffffEEvbT1_lPT2_S3_jNS_24const_host_device_scalarIT6_EEPKS1_PKS2_PKT3_PKT4_S6_PT5_21rocsparse_index_base_b,comdat
.Lfunc_end10:
	.size	_ZN9rocsparseL41csrmvn_lrb_medium_rows_warp_reduce_kernelILj256ELj32EiiffffEEvbT1_lPT2_S3_jNS_24const_host_device_scalarIT6_EEPKS1_PKS2_PKT3_PKT4_S6_PT5_21rocsparse_index_base_b, .Lfunc_end10-_ZN9rocsparseL41csrmvn_lrb_medium_rows_warp_reduce_kernelILj256ELj32EiiffffEEvbT1_lPT2_S3_jNS_24const_host_device_scalarIT6_EEPKS1_PKS2_PKT3_PKT4_S6_PT5_21rocsparse_index_base_b
                                        ; -- End function
	.set _ZN9rocsparseL41csrmvn_lrb_medium_rows_warp_reduce_kernelILj256ELj32EiiffffEEvbT1_lPT2_S3_jNS_24const_host_device_scalarIT6_EEPKS1_PKS2_PKT3_PKT4_S6_PT5_21rocsparse_index_base_b.num_vgpr, 8
	.set _ZN9rocsparseL41csrmvn_lrb_medium_rows_warp_reduce_kernelILj256ELj32EiiffffEEvbT1_lPT2_S3_jNS_24const_host_device_scalarIT6_EEPKS1_PKS2_PKT3_PKT4_S6_PT5_21rocsparse_index_base_b.num_agpr, 0
	.set _ZN9rocsparseL41csrmvn_lrb_medium_rows_warp_reduce_kernelILj256ELj32EiiffffEEvbT1_lPT2_S3_jNS_24const_host_device_scalarIT6_EEPKS1_PKS2_PKT3_PKT4_S6_PT5_21rocsparse_index_base_b.numbered_sgpr, 14
	.set _ZN9rocsparseL41csrmvn_lrb_medium_rows_warp_reduce_kernelILj256ELj32EiiffffEEvbT1_lPT2_S3_jNS_24const_host_device_scalarIT6_EEPKS1_PKS2_PKT3_PKT4_S6_PT5_21rocsparse_index_base_b.num_named_barrier, 0
	.set _ZN9rocsparseL41csrmvn_lrb_medium_rows_warp_reduce_kernelILj256ELj32EiiffffEEvbT1_lPT2_S3_jNS_24const_host_device_scalarIT6_EEPKS1_PKS2_PKT3_PKT4_S6_PT5_21rocsparse_index_base_b.private_seg_size, 0
	.set _ZN9rocsparseL41csrmvn_lrb_medium_rows_warp_reduce_kernelILj256ELj32EiiffffEEvbT1_lPT2_S3_jNS_24const_host_device_scalarIT6_EEPKS1_PKS2_PKT3_PKT4_S6_PT5_21rocsparse_index_base_b.uses_vcc, 1
	.set _ZN9rocsparseL41csrmvn_lrb_medium_rows_warp_reduce_kernelILj256ELj32EiiffffEEvbT1_lPT2_S3_jNS_24const_host_device_scalarIT6_EEPKS1_PKS2_PKT3_PKT4_S6_PT5_21rocsparse_index_base_b.uses_flat_scratch, 0
	.set _ZN9rocsparseL41csrmvn_lrb_medium_rows_warp_reduce_kernelILj256ELj32EiiffffEEvbT1_lPT2_S3_jNS_24const_host_device_scalarIT6_EEPKS1_PKS2_PKT3_PKT4_S6_PT5_21rocsparse_index_base_b.has_dyn_sized_stack, 0
	.set _ZN9rocsparseL41csrmvn_lrb_medium_rows_warp_reduce_kernelILj256ELj32EiiffffEEvbT1_lPT2_S3_jNS_24const_host_device_scalarIT6_EEPKS1_PKS2_PKT3_PKT4_S6_PT5_21rocsparse_index_base_b.has_recursion, 0
	.set _ZN9rocsparseL41csrmvn_lrb_medium_rows_warp_reduce_kernelILj256ELj32EiiffffEEvbT1_lPT2_S3_jNS_24const_host_device_scalarIT6_EEPKS1_PKS2_PKT3_PKT4_S6_PT5_21rocsparse_index_base_b.has_indirect_call, 0
	.section	.AMDGPU.csdata,"",@progbits
; Kernel info:
; codeLenInByte = 756
; TotalNumSgprs: 16
; NumVgprs: 8
; ScratchSize: 0
; MemoryBound: 0
; FloatMode: 240
; IeeeMode: 1
; LDSByteSize: 0 bytes/workgroup (compile time only)
; SGPRBlocks: 0
; VGPRBlocks: 0
; NumSGPRsForWavesPerEU: 16
; NumVGPRsForWavesPerEU: 8
; NamedBarCnt: 0
; Occupancy: 16
; WaveLimiterHint : 1
; COMPUTE_PGM_RSRC2:SCRATCH_EN: 0
; COMPUTE_PGM_RSRC2:USER_SGPR: 2
; COMPUTE_PGM_RSRC2:TRAP_HANDLER: 0
; COMPUTE_PGM_RSRC2:TGID_X_EN: 1
; COMPUTE_PGM_RSRC2:TGID_Y_EN: 0
; COMPUTE_PGM_RSRC2:TGID_Z_EN: 0
; COMPUTE_PGM_RSRC2:TIDIG_COMP_CNT: 0
	.section	.text._ZN9rocsparseL41csrmvn_lrb_medium_rows_warp_reduce_kernelILj256ELj64EiiffffEEvbT1_lPT2_S3_jNS_24const_host_device_scalarIT6_EEPKS1_PKS2_PKT3_PKT4_S6_PT5_21rocsparse_index_base_b,"axG",@progbits,_ZN9rocsparseL41csrmvn_lrb_medium_rows_warp_reduce_kernelILj256ELj64EiiffffEEvbT1_lPT2_S3_jNS_24const_host_device_scalarIT6_EEPKS1_PKS2_PKT3_PKT4_S6_PT5_21rocsparse_index_base_b,comdat
	.globl	_ZN9rocsparseL41csrmvn_lrb_medium_rows_warp_reduce_kernelILj256ELj64EiiffffEEvbT1_lPT2_S3_jNS_24const_host_device_scalarIT6_EEPKS1_PKS2_PKT3_PKT4_S6_PT5_21rocsparse_index_base_b ; -- Begin function _ZN9rocsparseL41csrmvn_lrb_medium_rows_warp_reduce_kernelILj256ELj64EiiffffEEvbT1_lPT2_S3_jNS_24const_host_device_scalarIT6_EEPKS1_PKS2_PKT3_PKT4_S6_PT5_21rocsparse_index_base_b
	.p2align	8
	.type	_ZN9rocsparseL41csrmvn_lrb_medium_rows_warp_reduce_kernelILj256ELj64EiiffffEEvbT1_lPT2_S3_jNS_24const_host_device_scalarIT6_EEPKS1_PKS2_PKT3_PKT4_S6_PT5_21rocsparse_index_base_b,@function
_ZN9rocsparseL41csrmvn_lrb_medium_rows_warp_reduce_kernelILj256ELj64EiiffffEEvbT1_lPT2_S3_jNS_24const_host_device_scalarIT6_EEPKS1_PKS2_PKT3_PKT4_S6_PT5_21rocsparse_index_base_b: ; @_ZN9rocsparseL41csrmvn_lrb_medium_rows_warp_reduce_kernelILj256ELj64EiiffffEEvbT1_lPT2_S3_jNS_24const_host_device_scalarIT6_EEPKS1_PKS2_PKT3_PKT4_S6_PT5_21rocsparse_index_base_b
; %bb.0:
	s_clause 0x2
	s_load_b64 s[8:9], s[0:1], 0x60
	s_load_b64 s[10:11], s[0:1], 0x28
	s_load_b64 s[2:3], s[0:1], 0x50
	s_wait_kmcnt 0x0
	s_bitcmp1_b32 s9, 0
	s_cselect_b32 s4, -1, 0
	s_delay_alu instid0(SALU_CYCLE_1)
	s_and_b32 vcc_lo, exec_lo, s4
	s_xor_b32 s4, s4, -1
	s_cbranch_vccnz .LBB11_2
; %bb.1:
	s_load_b32 s10, s[10:11], 0x0
.LBB11_2:
	s_and_not1_b32 vcc_lo, exec_lo, s4
	s_cbranch_vccnz .LBB11_4
; %bb.3:
	s_load_b32 s2, s[2:3], 0x0
.LBB11_4:
	s_wait_kmcnt 0x0
	s_cmp_neq_f32 s10, 0
	s_cselect_b32 s3, -1, 0
	s_cmp_neq_f32 s2, 1.0
	s_cselect_b32 s4, -1, 0
	s_delay_alu instid0(SALU_CYCLE_1) | instskip(NEXT) | instid1(SALU_CYCLE_1)
	s_or_b32 s3, s3, s4
	s_and_not1_b32 vcc_lo, exec_lo, s3
	s_cbranch_vccnz .LBB11_14
; %bb.5:
	s_bfe_u32 s3, ttmp6, 0x4000c
	s_load_b64 s[4:5], s[0:1], 0x8
	s_add_co_i32 s3, s3, 1
	s_and_b32 s6, ttmp6, 15
	s_mul_i32 s3, ttmp9, s3
	s_getreg_b32 s7, hwreg(HW_REG_IB_STS2, 6, 4)
	v_lshrrev_b32_e32 v1, 6, v0
	s_add_co_i32 s6, s6, s3
	s_cmp_eq_u32 s7, 0
	s_cselect_b32 s3, ttmp9, s6
	s_delay_alu instid0(VALU_DEP_1) | instid1(SALU_CYCLE_1)
	v_lshl_or_b32 v2, s3, 2, v1
	s_mov_b32 s3, exec_lo
	s_delay_alu instid0(VALU_DEP_1) | instskip(SKIP_1) | instid1(VALU_DEP_1)
	v_ashrrev_i32_e32 v3, 31, v2
	s_wait_kmcnt 0x0
	v_cmpx_gt_i64_e64 s[4:5], v[2:3]
	s_cbranch_execz .LBB11_14
; %bb.6:
	s_clause 0x1
	s_load_b128 s[4:7], s[0:1], 0x10
	s_load_b32 s3, s[0:1], 0x20
	s_wait_kmcnt 0x0
	s_load_b32 s3, s[6:7], s3 offset:0x0 scale_offset
	s_wait_kmcnt 0x0
	v_add_nc_u32_e32 v1, s3, v2
	s_mov_b32 s3, exec_lo
	global_load_b32 v2, v1, s[4:5] scale_offset
	s_wait_xcnt 0x0
	s_load_b64 s[4:5], s[0:1], 0x30
	s_wait_loadcnt 0x0
	v_ashrrev_i32_e32 v3, 31, v2
	s_wait_kmcnt 0x0
	s_delay_alu instid0(VALU_DEP_1) | instskip(SKIP_2) | instid1(VALU_DEP_1)
	v_lshl_add_u64 v[4:5], v[2:3], 2, s[4:5]
	global_load_b64 v[6:7], v[4:5], off
	v_and_b32_e32 v0, 63, v0
	v_subrev_nc_u32_e32 v1, s8, v0
	s_wait_loadcnt 0x0
	v_subrev_nc_u32_e32 v4, s8, v7
	s_delay_alu instid0(VALU_DEP_2) | instskip(NEXT) | instid1(VALU_DEP_1)
	v_dual_add_nc_u32 v5, v6, v1 :: v_dual_mov_b32 v1, 0
	v_cmpx_lt_i32_e64 v5, v4
	s_cbranch_execz .LBB11_10
; %bb.7:
	s_clause 0x1
	s_load_b128 s[4:7], s[0:1], 0x38
	s_load_b64 s[12:13], s[0:1], 0x48
	v_mov_b32_e32 v1, 0
	s_mov_b32 s9, 0
.LBB11_8:                               ; =>This Inner Loop Header: Depth=1
	s_wait_kmcnt 0x0
	s_clause 0x1
	global_load_b32 v6, v5, s[4:5] scale_offset
	global_load_b32 v7, v5, s[6:7] scale_offset
	s_wait_xcnt 0x0
	v_add_nc_u32_e32 v5, 64, v5
	s_wait_loadcnt 0x1
	v_subrev_nc_u32_e32 v6, s8, v6
	s_wait_loadcnt 0x0
	v_mul_f32_e32 v7, s10, v7
	v_cmp_ge_i32_e32 vcc_lo, v5, v4
	global_load_b32 v6, v6, s[12:13] scale_offset
	s_or_b32 s9, vcc_lo, s9
	s_wait_loadcnt 0x0
	v_fmac_f32_e32 v1, v7, v6
	s_and_not1_b32 exec_lo, exec_lo, s9
	s_cbranch_execnz .LBB11_8
; %bb.9:
	s_or_b32 exec_lo, exec_lo, s9
.LBB11_10:
	s_delay_alu instid0(SALU_CYCLE_1) | instskip(SKIP_2) | instid1(VALU_DEP_1)
	s_or_b32 exec_lo, exec_lo, s3
	v_mbcnt_lo_u32_b32 v4, -1, 0
	s_load_b64 s[0:1], s[0:1], 0x58
	v_xor_b32_e32 v6, 16, v4
	v_or_b32_e32 v5, 32, v4
	s_delay_alu instid0(VALU_DEP_1) | instskip(SKIP_1) | instid1(VALU_DEP_4)
	v_cmp_gt_i32_e32 vcc_lo, 32, v5
	v_cndmask_b32_e32 v5, v4, v5, vcc_lo
	v_cmp_gt_i32_e32 vcc_lo, 32, v6
	v_cndmask_b32_e32 v6, v4, v6, vcc_lo
	s_delay_alu instid0(VALU_DEP_1)
	v_dual_lshlrev_b32 v6, 2, v6 :: v_dual_lshlrev_b32 v5, 2, v5
	ds_bpermute_b32 v5, v5, v1
	s_wait_dscnt 0x0
	v_add_f32_e32 v1, v1, v5
	ds_bpermute_b32 v5, v6, v1
	v_xor_b32_e32 v6, 8, v4
	s_delay_alu instid0(VALU_DEP_1) | instskip(SKIP_2) | instid1(VALU_DEP_1)
	v_cmp_gt_i32_e32 vcc_lo, 32, v6
	s_wait_dscnt 0x0
	v_dual_cndmask_b32 v6, v4, v6 :: v_dual_add_f32 v1, v1, v5
	v_lshlrev_b32_e32 v6, 2, v6
	ds_bpermute_b32 v5, v6, v1
	s_wait_dscnt 0x0
	v_dual_add_f32 v1, v1, v5 :: v_dual_bitop2_b32 v6, 4, v4 bitop3:0x14
	s_delay_alu instid0(VALU_DEP_1) | instskip(SKIP_1) | instid1(VALU_DEP_1)
	v_cmp_gt_i32_e32 vcc_lo, 32, v6
	v_cndmask_b32_e32 v6, v4, v6, vcc_lo
	v_lshlrev_b32_e32 v6, 2, v6
	ds_bpermute_b32 v5, v6, v1
	v_xor_b32_e32 v6, 2, v4
	s_delay_alu instid0(VALU_DEP_1) | instskip(SKIP_2) | instid1(VALU_DEP_1)
	v_cmp_gt_i32_e32 vcc_lo, 32, v6
	v_cndmask_b32_e32 v6, v4, v6, vcc_lo
	s_wait_dscnt 0x0
	v_dual_add_f32 v1, v1, v5 :: v_dual_lshlrev_b32 v6, 2, v6
	ds_bpermute_b32 v5, v6, v1
	v_xor_b32_e32 v6, 1, v4
	s_delay_alu instid0(VALU_DEP_1) | instskip(SKIP_3) | instid1(VALU_DEP_2)
	v_cmp_gt_i32_e32 vcc_lo, 32, v6
	v_cndmask_b32_e32 v4, v4, v6, vcc_lo
	v_cmp_eq_u32_e32 vcc_lo, 63, v0
	s_wait_dscnt 0x0
	v_dual_add_f32 v1, v1, v5 :: v_dual_lshlrev_b32 v4, 2, v4
	ds_bpermute_b32 v4, v4, v1
	s_and_b32 exec_lo, exec_lo, vcc_lo
	s_cbranch_execz .LBB11_14
; %bb.11:
	s_wait_dscnt 0x0
	v_add_f32_e32 v4, v1, v4
	s_wait_kmcnt 0x0
	v_lshl_add_u64 v[0:1], v[2:3], 2, s[0:1]
	s_cmp_eq_f32 s2, 0
	s_cbranch_scc1 .LBB11_13
; %bb.12:
	global_load_b32 v2, v[0:1], off
	s_wait_loadcnt 0x0
	v_fmac_f32_e32 v4, s2, v2
.LBB11_13:
	global_store_b32 v[0:1], v4, off
.LBB11_14:
	s_endpgm
	.section	.rodata,"a",@progbits
	.p2align	6, 0x0
	.amdhsa_kernel _ZN9rocsparseL41csrmvn_lrb_medium_rows_warp_reduce_kernelILj256ELj64EiiffffEEvbT1_lPT2_S3_jNS_24const_host_device_scalarIT6_EEPKS1_PKS2_PKT3_PKT4_S6_PT5_21rocsparse_index_base_b
		.amdhsa_group_segment_fixed_size 0
		.amdhsa_private_segment_fixed_size 0
		.amdhsa_kernarg_size 104
		.amdhsa_user_sgpr_count 2
		.amdhsa_user_sgpr_dispatch_ptr 0
		.amdhsa_user_sgpr_queue_ptr 0
		.amdhsa_user_sgpr_kernarg_segment_ptr 1
		.amdhsa_user_sgpr_dispatch_id 0
		.amdhsa_user_sgpr_kernarg_preload_length 0
		.amdhsa_user_sgpr_kernarg_preload_offset 0
		.amdhsa_user_sgpr_private_segment_size 0
		.amdhsa_wavefront_size32 1
		.amdhsa_uses_dynamic_stack 0
		.amdhsa_enable_private_segment 0
		.amdhsa_system_sgpr_workgroup_id_x 1
		.amdhsa_system_sgpr_workgroup_id_y 0
		.amdhsa_system_sgpr_workgroup_id_z 0
		.amdhsa_system_sgpr_workgroup_info 0
		.amdhsa_system_vgpr_workitem_id 0
		.amdhsa_next_free_vgpr 8
		.amdhsa_next_free_sgpr 14
		.amdhsa_named_barrier_count 0
		.amdhsa_reserve_vcc 1
		.amdhsa_float_round_mode_32 0
		.amdhsa_float_round_mode_16_64 0
		.amdhsa_float_denorm_mode_32 3
		.amdhsa_float_denorm_mode_16_64 3
		.amdhsa_fp16_overflow 0
		.amdhsa_memory_ordered 1
		.amdhsa_forward_progress 1
		.amdhsa_inst_pref_size 7
		.amdhsa_round_robin_scheduling 0
		.amdhsa_exception_fp_ieee_invalid_op 0
		.amdhsa_exception_fp_denorm_src 0
		.amdhsa_exception_fp_ieee_div_zero 0
		.amdhsa_exception_fp_ieee_overflow 0
		.amdhsa_exception_fp_ieee_underflow 0
		.amdhsa_exception_fp_ieee_inexact 0
		.amdhsa_exception_int_div_zero 0
	.end_amdhsa_kernel
	.section	.text._ZN9rocsparseL41csrmvn_lrb_medium_rows_warp_reduce_kernelILj256ELj64EiiffffEEvbT1_lPT2_S3_jNS_24const_host_device_scalarIT6_EEPKS1_PKS2_PKT3_PKT4_S6_PT5_21rocsparse_index_base_b,"axG",@progbits,_ZN9rocsparseL41csrmvn_lrb_medium_rows_warp_reduce_kernelILj256ELj64EiiffffEEvbT1_lPT2_S3_jNS_24const_host_device_scalarIT6_EEPKS1_PKS2_PKT3_PKT4_S6_PT5_21rocsparse_index_base_b,comdat
.Lfunc_end11:
	.size	_ZN9rocsparseL41csrmvn_lrb_medium_rows_warp_reduce_kernelILj256ELj64EiiffffEEvbT1_lPT2_S3_jNS_24const_host_device_scalarIT6_EEPKS1_PKS2_PKT3_PKT4_S6_PT5_21rocsparse_index_base_b, .Lfunc_end11-_ZN9rocsparseL41csrmvn_lrb_medium_rows_warp_reduce_kernelILj256ELj64EiiffffEEvbT1_lPT2_S3_jNS_24const_host_device_scalarIT6_EEPKS1_PKS2_PKT3_PKT4_S6_PT5_21rocsparse_index_base_b
                                        ; -- End function
	.set _ZN9rocsparseL41csrmvn_lrb_medium_rows_warp_reduce_kernelILj256ELj64EiiffffEEvbT1_lPT2_S3_jNS_24const_host_device_scalarIT6_EEPKS1_PKS2_PKT3_PKT4_S6_PT5_21rocsparse_index_base_b.num_vgpr, 8
	.set _ZN9rocsparseL41csrmvn_lrb_medium_rows_warp_reduce_kernelILj256ELj64EiiffffEEvbT1_lPT2_S3_jNS_24const_host_device_scalarIT6_EEPKS1_PKS2_PKT3_PKT4_S6_PT5_21rocsparse_index_base_b.num_agpr, 0
	.set _ZN9rocsparseL41csrmvn_lrb_medium_rows_warp_reduce_kernelILj256ELj64EiiffffEEvbT1_lPT2_S3_jNS_24const_host_device_scalarIT6_EEPKS1_PKS2_PKT3_PKT4_S6_PT5_21rocsparse_index_base_b.numbered_sgpr, 14
	.set _ZN9rocsparseL41csrmvn_lrb_medium_rows_warp_reduce_kernelILj256ELj64EiiffffEEvbT1_lPT2_S3_jNS_24const_host_device_scalarIT6_EEPKS1_PKS2_PKT3_PKT4_S6_PT5_21rocsparse_index_base_b.num_named_barrier, 0
	.set _ZN9rocsparseL41csrmvn_lrb_medium_rows_warp_reduce_kernelILj256ELj64EiiffffEEvbT1_lPT2_S3_jNS_24const_host_device_scalarIT6_EEPKS1_PKS2_PKT3_PKT4_S6_PT5_21rocsparse_index_base_b.private_seg_size, 0
	.set _ZN9rocsparseL41csrmvn_lrb_medium_rows_warp_reduce_kernelILj256ELj64EiiffffEEvbT1_lPT2_S3_jNS_24const_host_device_scalarIT6_EEPKS1_PKS2_PKT3_PKT4_S6_PT5_21rocsparse_index_base_b.uses_vcc, 1
	.set _ZN9rocsparseL41csrmvn_lrb_medium_rows_warp_reduce_kernelILj256ELj64EiiffffEEvbT1_lPT2_S3_jNS_24const_host_device_scalarIT6_EEPKS1_PKS2_PKT3_PKT4_S6_PT5_21rocsparse_index_base_b.uses_flat_scratch, 0
	.set _ZN9rocsparseL41csrmvn_lrb_medium_rows_warp_reduce_kernelILj256ELj64EiiffffEEvbT1_lPT2_S3_jNS_24const_host_device_scalarIT6_EEPKS1_PKS2_PKT3_PKT4_S6_PT5_21rocsparse_index_base_b.has_dyn_sized_stack, 0
	.set _ZN9rocsparseL41csrmvn_lrb_medium_rows_warp_reduce_kernelILj256ELj64EiiffffEEvbT1_lPT2_S3_jNS_24const_host_device_scalarIT6_EEPKS1_PKS2_PKT3_PKT4_S6_PT5_21rocsparse_index_base_b.has_recursion, 0
	.set _ZN9rocsparseL41csrmvn_lrb_medium_rows_warp_reduce_kernelILj256ELj64EiiffffEEvbT1_lPT2_S3_jNS_24const_host_device_scalarIT6_EEPKS1_PKS2_PKT3_PKT4_S6_PT5_21rocsparse_index_base_b.has_indirect_call, 0
	.section	.AMDGPU.csdata,"",@progbits
; Kernel info:
; codeLenInByte = 792
; TotalNumSgprs: 16
; NumVgprs: 8
; ScratchSize: 0
; MemoryBound: 0
; FloatMode: 240
; IeeeMode: 1
; LDSByteSize: 0 bytes/workgroup (compile time only)
; SGPRBlocks: 0
; VGPRBlocks: 0
; NumSGPRsForWavesPerEU: 16
; NumVGPRsForWavesPerEU: 8
; NamedBarCnt: 0
; Occupancy: 16
; WaveLimiterHint : 1
; COMPUTE_PGM_RSRC2:SCRATCH_EN: 0
; COMPUTE_PGM_RSRC2:USER_SGPR: 2
; COMPUTE_PGM_RSRC2:TRAP_HANDLER: 0
; COMPUTE_PGM_RSRC2:TGID_X_EN: 1
; COMPUTE_PGM_RSRC2:TGID_Y_EN: 0
; COMPUTE_PGM_RSRC2:TGID_Z_EN: 0
; COMPUTE_PGM_RSRC2:TIDIG_COMP_CNT: 0
	.section	.text._ZN9rocsparseL29csrmvn_lrb_medium_rows_kernelILj256EiiffffEEvbT0_PT1_S3_jNS_24const_host_device_scalarIT5_EEPKS1_PKS2_PKT2_PKT3_S6_PT4_21rocsparse_index_base_b,"axG",@progbits,_ZN9rocsparseL29csrmvn_lrb_medium_rows_kernelILj256EiiffffEEvbT0_PT1_S3_jNS_24const_host_device_scalarIT5_EEPKS1_PKS2_PKT2_PKT3_S6_PT4_21rocsparse_index_base_b,comdat
	.globl	_ZN9rocsparseL29csrmvn_lrb_medium_rows_kernelILj256EiiffffEEvbT0_PT1_S3_jNS_24const_host_device_scalarIT5_EEPKS1_PKS2_PKT2_PKT3_S6_PT4_21rocsparse_index_base_b ; -- Begin function _ZN9rocsparseL29csrmvn_lrb_medium_rows_kernelILj256EiiffffEEvbT0_PT1_S3_jNS_24const_host_device_scalarIT5_EEPKS1_PKS2_PKT2_PKT3_S6_PT4_21rocsparse_index_base_b
	.p2align	8
	.type	_ZN9rocsparseL29csrmvn_lrb_medium_rows_kernelILj256EiiffffEEvbT0_PT1_S3_jNS_24const_host_device_scalarIT5_EEPKS1_PKS2_PKT2_PKT3_S6_PT4_21rocsparse_index_base_b,@function
_ZN9rocsparseL29csrmvn_lrb_medium_rows_kernelILj256EiiffffEEvbT0_PT1_S3_jNS_24const_host_device_scalarIT5_EEPKS1_PKS2_PKT2_PKT3_S6_PT4_21rocsparse_index_base_b: ; @_ZN9rocsparseL29csrmvn_lrb_medium_rows_kernelILj256EiiffffEEvbT0_PT1_S3_jNS_24const_host_device_scalarIT5_EEPKS1_PKS2_PKT2_PKT3_S6_PT4_21rocsparse_index_base_b
; %bb.0:
	s_clause 0x2
	s_load_b64 s[10:11], s[0:1], 0x58
	s_load_b64 s[12:13], s[0:1], 0x20
	;; [unrolled: 1-line block ×3, first 2 shown]
	s_wait_kmcnt 0x0
	s_bitcmp1_b32 s11, 0
	s_cselect_b32 s4, -1, 0
	s_delay_alu instid0(SALU_CYCLE_1)
	s_and_b32 vcc_lo, exec_lo, s4
	s_xor_b32 s4, s4, -1
	s_cbranch_vccnz .LBB12_2
; %bb.1:
	s_load_b32 s12, s[12:13], 0x0
.LBB12_2:
	s_and_not1_b32 vcc_lo, exec_lo, s4
	s_cbranch_vccnz .LBB12_4
; %bb.3:
	s_load_b32 s2, s[2:3], 0x0
.LBB12_4:
	s_wait_kmcnt 0x0
	s_cmp_neq_f32 s12, 0
	s_cselect_b32 s3, -1, 0
	s_cmp_neq_f32 s2, 1.0
	s_cselect_b32 s4, -1, 0
	s_delay_alu instid0(SALU_CYCLE_1) | instskip(NEXT) | instid1(SALU_CYCLE_1)
	s_or_b32 s3, s3, s4
	s_and_not1_b32 vcc_lo, exec_lo, s3
	s_cbranch_vccnz .LBB12_29
; %bb.5:
	s_clause 0x1
	s_load_b128 s[4:7], s[0:1], 0x8
	s_load_b32 s3, s[0:1], 0x18
	s_getreg_b32 s8, hwreg(HW_REG_IB_STS2, 6, 4)
	v_subrev_nc_u32_e32 v1, s10, v0
	v_mov_b32_e32 v2, 0
	s_wait_kmcnt 0x0
	s_load_b32 s3, s[6:7], s3 offset:0x0 scale_offset
	s_wait_xcnt 0x0
	s_bfe_u32 s6, ttmp6, 0x4000c
	s_and_b32 s7, ttmp6, 15
	s_add_co_i32 s6, s6, 1
	s_delay_alu instid0(SALU_CYCLE_1) | instskip(NEXT) | instid1(SALU_CYCLE_1)
	s_mul_i32 s6, ttmp9, s6
	s_add_co_i32 s7, s7, s6
	s_cmp_eq_u32 s8, 0
	s_cselect_b32 s6, ttmp9, s7
	s_wait_kmcnt 0x0
	s_add_co_i32 s6, s3, s6
	s_mov_b32 s3, exec_lo
	s_ashr_i32 s7, s6, 31
	s_delay_alu instid0(SALU_CYCLE_1) | instskip(NEXT) | instid1(SALU_CYCLE_1)
	s_lshl_b64 s[6:7], s[6:7], 2
	s_add_nc_u64 s[4:5], s[4:5], s[6:7]
	s_load_b32 s6, s[4:5], 0x0
	s_load_b64 s[14:15], s[0:1], 0x28
	s_wait_kmcnt 0x0
	s_ashr_i32 s7, s6, 31
	s_delay_alu instid0(SALU_CYCLE_1) | instskip(NEXT) | instid1(SALU_CYCLE_1)
	s_lshl_b64 s[8:9], s[6:7], 2
	s_add_nc_u64 s[4:5], s[14:15], s[8:9]
	s_load_b64 s[6:7], s[4:5], 0x0
	s_wait_kmcnt 0x0
	v_add_nc_u32_e32 v1, s6, v1
	s_sub_co_i32 s11, s7, s10
	s_delay_alu instid0(VALU_DEP_1) | instid1(SALU_CYCLE_1)
	v_cmpx_gt_i32_e64 s11, v1
	s_cbranch_execz .LBB12_9
; %bb.6:
	s_clause 0x1
	s_load_b128 s[4:7], s[0:1], 0x30
	s_load_b64 s[14:15], s[0:1], 0x40
	v_mov_b32_e32 v2, 0
	s_mov_b32 s13, 0
.LBB12_7:                               ; =>This Inner Loop Header: Depth=1
	s_wait_kmcnt 0x0
	s_clause 0x1
	global_load_b32 v3, v1, s[4:5] scale_offset
	global_load_b32 v4, v1, s[6:7] scale_offset
	s_wait_xcnt 0x0
	v_add_nc_u32_e32 v1, 0x100, v1
	s_wait_loadcnt 0x1
	v_subrev_nc_u32_e32 v3, s10, v3
	s_wait_loadcnt 0x0
	v_mul_f32_e32 v4, s12, v4
	v_cmp_le_i32_e32 vcc_lo, s11, v1
	global_load_b32 v3, v3, s[14:15] scale_offset
	s_or_b32 s13, vcc_lo, s13
	s_wait_loadcnt 0x0
	v_fmac_f32_e32 v2, v4, v3
	s_and_not1_b32 exec_lo, exec_lo, s13
	s_cbranch_execnz .LBB12_7
; %bb.8:
	s_or_b32 exec_lo, exec_lo, s13
.LBB12_9:
	s_delay_alu instid0(SALU_CYCLE_1)
	s_or_b32 exec_lo, exec_lo, s3
	s_load_b64 s[0:1], s[0:1], 0x50
	v_lshlrev_b32_e32 v1, 2, v0
	s_mov_b32 s3, exec_lo
	ds_store_b32 v1, v2
	s_wait_dscnt 0x0
	s_barrier_signal -1
	s_barrier_wait -1
	v_cmpx_gt_u32_e32 0x80, v0
	s_cbranch_execz .LBB12_11
; %bb.10:
	ds_load_2addr_stride64_b32 v[2:3], v1 offset1:2
	s_wait_dscnt 0x0
	v_add_f32_e32 v2, v2, v3
	ds_store_b32 v1, v2
.LBB12_11:
	s_or_b32 exec_lo, exec_lo, s3
	s_delay_alu instid0(SALU_CYCLE_1)
	s_mov_b32 s3, exec_lo
	s_wait_dscnt 0x0
	s_barrier_signal -1
	s_barrier_wait -1
	v_cmpx_gt_u32_e32 64, v0
	s_cbranch_execz .LBB12_13
; %bb.12:
	ds_load_2addr_stride64_b32 v[2:3], v1 offset1:1
	s_wait_dscnt 0x0
	v_add_f32_e32 v2, v2, v3
	ds_store_b32 v1, v2
.LBB12_13:
	s_or_b32 exec_lo, exec_lo, s3
	s_delay_alu instid0(SALU_CYCLE_1)
	s_mov_b32 s3, exec_lo
	s_wait_dscnt 0x0
	s_barrier_signal -1
	s_barrier_wait -1
	v_cmpx_gt_u32_e32 32, v0
	s_cbranch_execz .LBB12_15
; %bb.14:
	ds_load_2addr_b32 v[2:3], v1 offset1:32
	s_wait_dscnt 0x0
	v_add_f32_e32 v2, v2, v3
	ds_store_b32 v1, v2
.LBB12_15:
	s_or_b32 exec_lo, exec_lo, s3
	s_delay_alu instid0(SALU_CYCLE_1)
	s_mov_b32 s3, exec_lo
	s_wait_dscnt 0x0
	s_barrier_signal -1
	s_barrier_wait -1
	v_cmpx_gt_u32_e32 16, v0
	s_cbranch_execz .LBB12_17
; %bb.16:
	ds_load_2addr_b32 v[2:3], v1 offset1:16
	s_wait_dscnt 0x0
	v_add_f32_e32 v2, v2, v3
	ds_store_b32 v1, v2
.LBB12_17:
	;; [unrolled: 14-line block ×5, first 2 shown]
	s_or_b32 exec_lo, exec_lo, s3
	v_cmp_eq_u32_e32 vcc_lo, 0, v0
	s_wait_dscnt 0x0
	s_barrier_signal -1
	s_barrier_wait -1
	s_and_saveexec_b32 s3, vcc_lo
	s_cbranch_execz .LBB12_25
; %bb.24:
	v_mov_b32_e32 v2, 0
	ds_load_b64 v[0:1], v2
	s_wait_dscnt 0x0
	v_add_f32_e32 v0, v0, v1
	ds_store_b32 v2, v0
.LBB12_25:
	s_or_b32 exec_lo, exec_lo, s3
	s_wait_dscnt 0x0
	s_barrier_signal -1
	s_barrier_wait -1
	s_and_saveexec_b32 s3, vcc_lo
	s_cbranch_execz .LBB12_29
; %bb.26:
	v_mov_b32_e32 v0, 0
	s_cmp_eq_f32 s2, 0
	ds_load_b32 v1, v0
	s_cbranch_scc1 .LBB12_28
; %bb.27:
	s_wait_kmcnt 0x0
	s_add_nc_u64 s[4:5], s[0:1], s[8:9]
	s_load_b32 s3, s[4:5], 0x0
	s_wait_dscnt 0x0
	s_wait_kmcnt 0x0
	v_fmac_f32_e64 v1, s2, s3
.LBB12_28:
	s_wait_kmcnt 0x0
	s_add_nc_u64 s[0:1], s[0:1], s[8:9]
	s_wait_dscnt 0x0
	global_store_b32 v0, v1, s[0:1]
.LBB12_29:
	s_endpgm
	.section	.rodata,"a",@progbits
	.p2align	6, 0x0
	.amdhsa_kernel _ZN9rocsparseL29csrmvn_lrb_medium_rows_kernelILj256EiiffffEEvbT0_PT1_S3_jNS_24const_host_device_scalarIT5_EEPKS1_PKS2_PKT2_PKT3_S6_PT4_21rocsparse_index_base_b
		.amdhsa_group_segment_fixed_size 1024
		.amdhsa_private_segment_fixed_size 0
		.amdhsa_kernarg_size 96
		.amdhsa_user_sgpr_count 2
		.amdhsa_user_sgpr_dispatch_ptr 0
		.amdhsa_user_sgpr_queue_ptr 0
		.amdhsa_user_sgpr_kernarg_segment_ptr 1
		.amdhsa_user_sgpr_dispatch_id 0
		.amdhsa_user_sgpr_kernarg_preload_length 0
		.amdhsa_user_sgpr_kernarg_preload_offset 0
		.amdhsa_user_sgpr_private_segment_size 0
		.amdhsa_wavefront_size32 1
		.amdhsa_uses_dynamic_stack 0
		.amdhsa_enable_private_segment 0
		.amdhsa_system_sgpr_workgroup_id_x 1
		.amdhsa_system_sgpr_workgroup_id_y 0
		.amdhsa_system_sgpr_workgroup_id_z 0
		.amdhsa_system_sgpr_workgroup_info 0
		.amdhsa_system_vgpr_workitem_id 0
		.amdhsa_next_free_vgpr 5
		.amdhsa_next_free_sgpr 16
		.amdhsa_named_barrier_count 0
		.amdhsa_reserve_vcc 1
		.amdhsa_float_round_mode_32 0
		.amdhsa_float_round_mode_16_64 0
		.amdhsa_float_denorm_mode_32 3
		.amdhsa_float_denorm_mode_16_64 3
		.amdhsa_fp16_overflow 0
		.amdhsa_memory_ordered 1
		.amdhsa_forward_progress 1
		.amdhsa_inst_pref_size 8
		.amdhsa_round_robin_scheduling 0
		.amdhsa_exception_fp_ieee_invalid_op 0
		.amdhsa_exception_fp_denorm_src 0
		.amdhsa_exception_fp_ieee_div_zero 0
		.amdhsa_exception_fp_ieee_overflow 0
		.amdhsa_exception_fp_ieee_underflow 0
		.amdhsa_exception_fp_ieee_inexact 0
		.amdhsa_exception_int_div_zero 0
	.end_amdhsa_kernel
	.section	.text._ZN9rocsparseL29csrmvn_lrb_medium_rows_kernelILj256EiiffffEEvbT0_PT1_S3_jNS_24const_host_device_scalarIT5_EEPKS1_PKS2_PKT2_PKT3_S6_PT4_21rocsparse_index_base_b,"axG",@progbits,_ZN9rocsparseL29csrmvn_lrb_medium_rows_kernelILj256EiiffffEEvbT0_PT1_S3_jNS_24const_host_device_scalarIT5_EEPKS1_PKS2_PKT2_PKT3_S6_PT4_21rocsparse_index_base_b,comdat
.Lfunc_end12:
	.size	_ZN9rocsparseL29csrmvn_lrb_medium_rows_kernelILj256EiiffffEEvbT0_PT1_S3_jNS_24const_host_device_scalarIT5_EEPKS1_PKS2_PKT2_PKT3_S6_PT4_21rocsparse_index_base_b, .Lfunc_end12-_ZN9rocsparseL29csrmvn_lrb_medium_rows_kernelILj256EiiffffEEvbT0_PT1_S3_jNS_24const_host_device_scalarIT5_EEPKS1_PKS2_PKT2_PKT3_S6_PT4_21rocsparse_index_base_b
                                        ; -- End function
	.set _ZN9rocsparseL29csrmvn_lrb_medium_rows_kernelILj256EiiffffEEvbT0_PT1_S3_jNS_24const_host_device_scalarIT5_EEPKS1_PKS2_PKT2_PKT3_S6_PT4_21rocsparse_index_base_b.num_vgpr, 5
	.set _ZN9rocsparseL29csrmvn_lrb_medium_rows_kernelILj256EiiffffEEvbT0_PT1_S3_jNS_24const_host_device_scalarIT5_EEPKS1_PKS2_PKT2_PKT3_S6_PT4_21rocsparse_index_base_b.num_agpr, 0
	.set _ZN9rocsparseL29csrmvn_lrb_medium_rows_kernelILj256EiiffffEEvbT0_PT1_S3_jNS_24const_host_device_scalarIT5_EEPKS1_PKS2_PKT2_PKT3_S6_PT4_21rocsparse_index_base_b.numbered_sgpr, 16
	.set _ZN9rocsparseL29csrmvn_lrb_medium_rows_kernelILj256EiiffffEEvbT0_PT1_S3_jNS_24const_host_device_scalarIT5_EEPKS1_PKS2_PKT2_PKT3_S6_PT4_21rocsparse_index_base_b.num_named_barrier, 0
	.set _ZN9rocsparseL29csrmvn_lrb_medium_rows_kernelILj256EiiffffEEvbT0_PT1_S3_jNS_24const_host_device_scalarIT5_EEPKS1_PKS2_PKT2_PKT3_S6_PT4_21rocsparse_index_base_b.private_seg_size, 0
	.set _ZN9rocsparseL29csrmvn_lrb_medium_rows_kernelILj256EiiffffEEvbT0_PT1_S3_jNS_24const_host_device_scalarIT5_EEPKS1_PKS2_PKT2_PKT3_S6_PT4_21rocsparse_index_base_b.uses_vcc, 1
	.set _ZN9rocsparseL29csrmvn_lrb_medium_rows_kernelILj256EiiffffEEvbT0_PT1_S3_jNS_24const_host_device_scalarIT5_EEPKS1_PKS2_PKT2_PKT3_S6_PT4_21rocsparse_index_base_b.uses_flat_scratch, 0
	.set _ZN9rocsparseL29csrmvn_lrb_medium_rows_kernelILj256EiiffffEEvbT0_PT1_S3_jNS_24const_host_device_scalarIT5_EEPKS1_PKS2_PKT2_PKT3_S6_PT4_21rocsparse_index_base_b.has_dyn_sized_stack, 0
	.set _ZN9rocsparseL29csrmvn_lrb_medium_rows_kernelILj256EiiffffEEvbT0_PT1_S3_jNS_24const_host_device_scalarIT5_EEPKS1_PKS2_PKT2_PKT3_S6_PT4_21rocsparse_index_base_b.has_recursion, 0
	.set _ZN9rocsparseL29csrmvn_lrb_medium_rows_kernelILj256EiiffffEEvbT0_PT1_S3_jNS_24const_host_device_scalarIT5_EEPKS1_PKS2_PKT2_PKT3_S6_PT4_21rocsparse_index_base_b.has_indirect_call, 0
	.section	.AMDGPU.csdata,"",@progbits
; Kernel info:
; codeLenInByte = 1004
; TotalNumSgprs: 18
; NumVgprs: 5
; ScratchSize: 0
; MemoryBound: 0
; FloatMode: 240
; IeeeMode: 1
; LDSByteSize: 1024 bytes/workgroup (compile time only)
; SGPRBlocks: 0
; VGPRBlocks: 0
; NumSGPRsForWavesPerEU: 18
; NumVGPRsForWavesPerEU: 5
; NamedBarCnt: 0
; Occupancy: 16
; WaveLimiterHint : 1
; COMPUTE_PGM_RSRC2:SCRATCH_EN: 0
; COMPUTE_PGM_RSRC2:USER_SGPR: 2
; COMPUTE_PGM_RSRC2:TRAP_HANDLER: 0
; COMPUTE_PGM_RSRC2:TGID_X_EN: 1
; COMPUTE_PGM_RSRC2:TGID_Y_EN: 0
; COMPUTE_PGM_RSRC2:TGID_Z_EN: 0
; COMPUTE_PGM_RSRC2:TIDIG_COMP_CNT: 0
	.section	.text._ZN9rocsparseL27csrmvn_lrb_long_rows_kernelIiiffffEEvbT_PjPT0_S4_jNS_24const_host_device_scalarIT4_EEPKS1_PKS3_PKT1_PKT2_S7_PT3_21rocsparse_index_base_b,"axG",@progbits,_ZN9rocsparseL27csrmvn_lrb_long_rows_kernelIiiffffEEvbT_PjPT0_S4_jNS_24const_host_device_scalarIT4_EEPKS1_PKS3_PKT1_PKT2_S7_PT3_21rocsparse_index_base_b,comdat
	.globl	_ZN9rocsparseL27csrmvn_lrb_long_rows_kernelIiiffffEEvbT_PjPT0_S4_jNS_24const_host_device_scalarIT4_EEPKS1_PKS3_PKT1_PKT2_S7_PT3_21rocsparse_index_base_b ; -- Begin function _ZN9rocsparseL27csrmvn_lrb_long_rows_kernelIiiffffEEvbT_PjPT0_S4_jNS_24const_host_device_scalarIT4_EEPKS1_PKS3_PKT1_PKT2_S7_PT3_21rocsparse_index_base_b
	.p2align	8
	.type	_ZN9rocsparseL27csrmvn_lrb_long_rows_kernelIiiffffEEvbT_PjPT0_S4_jNS_24const_host_device_scalarIT4_EEPKS1_PKS3_PKT1_PKT2_S7_PT3_21rocsparse_index_base_b,@function
_ZN9rocsparseL27csrmvn_lrb_long_rows_kernelIiiffffEEvbT_PjPT0_S4_jNS_24const_host_device_scalarIT4_EEPKS1_PKS3_PKT1_PKT2_S7_PT3_21rocsparse_index_base_b: ; @_ZN9rocsparseL27csrmvn_lrb_long_rows_kernelIiiffffEEvbT_PjPT0_S4_jNS_24const_host_device_scalarIT4_EEPKS1_PKS3_PKT1_PKT2_S7_PT3_21rocsparse_index_base_b
; %bb.0:
	s_clause 0x2
	s_load_b64 s[16:17], s[0:1], 0x60
	s_load_b64 s[18:19], s[0:1], 0x28
	;; [unrolled: 1-line block ×3, first 2 shown]
	s_wait_kmcnt 0x0
	s_bitcmp1_b32 s17, 0
	s_cselect_b32 s2, -1, 0
	s_delay_alu instid0(SALU_CYCLE_1)
	s_and_b32 vcc_lo, exec_lo, s2
	s_xor_b32 s2, s2, -1
	s_cbranch_vccnz .LBB13_2
; %bb.1:
	s_load_b32 s18, s[18:19], 0x0
.LBB13_2:
	s_and_not1_b32 vcc_lo, exec_lo, s2
	s_cbranch_vccnz .LBB13_4
; %bb.3:
	s_load_b32 s8, s[8:9], 0x0
.LBB13_4:
	s_wait_kmcnt 0x0
	s_cmp_neq_f32 s18, 0
	s_cselect_b32 s2, -1, 0
	s_cmp_neq_f32 s8, 1.0
	s_cselect_b32 s3, -1, 0
	s_delay_alu instid0(SALU_CYCLE_1) | instskip(NEXT) | instid1(SALU_CYCLE_1)
	s_or_b32 s2, s2, s3
	s_and_not1_b32 vcc_lo, exec_lo, s2
	s_cbranch_vccnz .LBB13_38
; %bb.5:
	s_load_b96 s[4:6], s[0:1], 0x18
	s_bfe_u32 s10, ttmp6, 0x4000c
	s_and_b32 s7, ttmp6, 15
	s_add_co_i32 s10, s10, 1
	s_getreg_b32 s11, hwreg(HW_REG_IB_STS2, 6, 4)
	s_mul_i32 s10, ttmp9, s10
	v_mov_b32_e32 v2, 0
	s_add_co_i32 s7, s7, s10
	s_wait_kmcnt 0x0
	s_lshl_b32 s2, -1, s6
	s_load_b32 s10, s[4:5], s6 offset:0x0 scale_offset
	s_not_b32 s2, s2
	s_delay_alu instid0(SALU_CYCLE_1) | instskip(NEXT) | instid1(SALU_CYCLE_1)
	s_mul_hi_u32 s2, s2, 0x2aaaaaab
	s_lshr_b32 s2, s2, 7
	s_delay_alu instid0(SALU_CYCLE_1) | instskip(SKIP_2) | instid1(SALU_CYCLE_3)
	s_add_co_i32 s9, s2, 1
	s_not_b32 s2, s2
	s_cvt_f32_u32 s3, s9
	v_rcp_iflag_f32_e32 v1, s3
	v_nop
	s_delay_alu instid0(TRANS32_DEP_1) | instskip(SKIP_1) | instid1(SALU_CYCLE_3)
	v_readfirstlane_b32 s3, v1
	s_mul_f32 s3, s3, 0x4f7ffffe
	s_cvt_u32_f32 s3, s3
	s_delay_alu instid0(SALU_CYCLE_3) | instskip(NEXT) | instid1(SALU_CYCLE_1)
	s_mul_i32 s2, s2, s3
	s_mul_hi_u32 s2, s3, s2
	s_delay_alu instid0(SALU_CYCLE_1)
	s_add_co_i32 s3, s3, s2
	s_cmp_eq_u32 s11, 0
	s_cselect_b32 s20, ttmp9, s7
	s_wait_xcnt 0x0
	s_load_b128 s[4:7], s[0:1], 0x8
	s_mul_hi_u32 s2, s20, s3
	s_delay_alu instid0(SALU_CYCLE_1) | instskip(SKIP_2) | instid1(SALU_CYCLE_1)
	s_mul_i32 s3, s2, s9
	s_add_co_i32 s11, s2, 1
	s_sub_co_i32 s3, s20, s3
	s_sub_co_i32 s12, s3, s9
	s_cmp_ge_u32 s3, s9
	s_cselect_b32 s2, s11, s2
	s_cselect_b32 s3, s12, s3
	s_add_co_i32 s11, s2, 1
	s_cmp_ge_u32 s3, s9
	s_cselect_b32 s19, s11, s2
	s_ashr_i32 s21, s20, 31
	s_wait_kmcnt 0x0
	s_add_co_i32 s2, s19, s10
	s_delay_alu instid0(SALU_CYCLE_1) | instskip(NEXT) | instid1(SALU_CYCLE_1)
	s_ashr_i32 s3, s2, 31
	s_lshl_b64 s[2:3], s[2:3], 2
	s_delay_alu instid0(SALU_CYCLE_1)
	s_add_nc_u64 s[6:7], s[6:7], s[2:3]
	s_load_b32 s10, s[6:7], 0x0
	s_clause 0x1
	s_load_b64 s[12:13], s[0:1], 0x30
	s_load_b64 s[2:3], s[0:1], 0x58
	s_wait_kmcnt 0x0
	s_ashr_i32 s11, s10, 31
	s_delay_alu instid0(SALU_CYCLE_1)
	s_lshl_b64 s[6:7], s[10:11], 2
	s_lshl_b64 s[10:11], s[20:21], 2
	s_add_nc_u64 s[14:15], s[12:13], s[6:7]
	s_add_nc_u64 s[12:13], s[4:5], s[10:11]
	s_load_b64 s[10:11], s[14:15], 0x0
	s_load_b32 s17, s[12:13], 0x0
	s_wait_xcnt 0x0
	s_mul_i32 s14, s19, s9
	s_mov_b32 s9, exec_lo
	s_sub_co_i32 s15, s20, s14
	s_delay_alu instid0(SALU_CYCLE_1) | instskip(NEXT) | instid1(VALU_DEP_1)
	v_or_b32_e32 v1, s15, v0
	v_cmpx_eq_u32_e32 0, v1
	s_cbranch_execz .LBB13_9
; %bb.6:
	s_add_nc_u64 s[20:21], s[2:3], s[6:7]
	s_add_f32 s8, s8, -1.0
	s_load_b32 s20, s[20:21], 0x0
	s_mov_b32 s19, exec_lo
	global_wb scope:SCOPE_DEV
	s_wait_storecnt 0x0
	global_inv scope:SCOPE_DEV
	v_mbcnt_lo_u32_b32 v1, s19, 0
	s_wait_kmcnt 0x0
	s_mul_f32 s8, s8, s20
	s_mov_b32 s20, exec_lo
	s_delay_alu instid0(VALU_DEP_1)
	v_cmpx_eq_u32_e32 0, v1
	s_cbranch_execz .LBB13_8
; %bb.7:
	s_bcnt1_i32_b32 s19, s19
	s_delay_alu instid0(SALU_CYCLE_1) | instskip(NEXT) | instid1(SALU_CYCLE_1)
	s_and_b32 s19, s19, 1
	v_dual_mov_b32 v1, s14 :: v_dual_mov_b32 v2, s19
	global_atomic_xor_b32 v1, v2, s[4:5] scale_offset scope:SCOPE_DEV
.LBB13_8:
	s_wait_xcnt 0x0
	s_or_b32 exec_lo, exec_lo, s20
	v_mov_b32_e32 v2, s8
.LBB13_9:
	s_or_b32 exec_lo, exec_lo, s9
	s_mul_i32 s8, s15, 0x300
	s_wait_kmcnt 0x0
	s_sub_co_i32 s9, s11, s16
	s_sub_co_i32 s8, s8, s16
	s_mov_b32 s19, exec_lo
	s_add_co_i32 s8, s8, s10
	s_delay_alu instid0(SALU_CYCLE_1) | instskip(SKIP_1) | instid1(SALU_CYCLE_1)
	v_add_nc_u32_e32 v1, s8, v0
	s_addk_co_i32 s8, 0x300
	s_min_i32 s22, s8, s9
	s_delay_alu instid0(VALU_DEP_1) | instid1(SALU_CYCLE_1)
	v_cmpx_gt_i32_e64 s22, v1
	s_cbranch_execz .LBB13_13
; %bb.10:
	s_clause 0x1
	s_load_b64 s[20:21], s[0:1], 0x48
	s_load_b128 s[8:11], s[0:1], 0x38
	s_wait_xcnt 0x0
	s_mov_b32 s0, 0
.LBB13_11:                              ; =>This Inner Loop Header: Depth=1
	s_wait_kmcnt 0x0
	s_clause 0x1
	global_load_b32 v3, v1, s[8:9] scale_offset
	global_load_b32 v4, v1, s[10:11] scale_offset
	s_wait_xcnt 0x0
	v_add_nc_u32_e32 v1, 0x100, v1
	s_wait_loadcnt 0x1
	v_subrev_nc_u32_e32 v3, s16, v3
	s_wait_loadcnt 0x0
	v_mul_f32_e32 v4, s18, v4
	v_cmp_le_i32_e32 vcc_lo, s22, v1
	global_load_b32 v3, v3, s[20:21] scale_offset
	s_or_b32 s0, vcc_lo, s0
	s_wait_loadcnt 0x0
	v_fmac_f32_e32 v2, v4, v3
	s_wait_xcnt 0x0
	s_and_not1_b32 exec_lo, exec_lo, s0
	s_cbranch_execnz .LBB13_11
; %bb.12:
	s_or_b32 exec_lo, exec_lo, s0
.LBB13_13:
	s_delay_alu instid0(SALU_CYCLE_1)
	s_or_b32 exec_lo, exec_lo, s19
	v_lshlrev_b32_e32 v1, 2, v0
	s_mov_b32 s0, exec_lo
	ds_store_b32 v1, v2
	s_wait_storecnt 0x0
	s_wait_loadcnt_dscnt 0x0
	s_barrier_signal -1
	s_barrier_wait -1
	v_cmpx_gt_u32_e32 0x80, v0
	s_cbranch_execz .LBB13_15
; %bb.14:
	ds_load_2addr_stride64_b32 v[2:3], v1 offset1:2
	s_wait_dscnt 0x0
	v_add_f32_e32 v2, v2, v3
	ds_store_b32 v1, v2
.LBB13_15:
	s_or_b32 exec_lo, exec_lo, s0
	s_delay_alu instid0(SALU_CYCLE_1)
	s_mov_b32 s0, exec_lo
	s_wait_dscnt 0x0
	s_barrier_signal -1
	s_barrier_wait -1
	v_cmpx_gt_u32_e32 64, v0
	s_cbranch_execz .LBB13_17
; %bb.16:
	ds_load_2addr_stride64_b32 v[2:3], v1 offset1:1
	s_wait_dscnt 0x0
	v_add_f32_e32 v2, v2, v3
	ds_store_b32 v1, v2
.LBB13_17:
	s_or_b32 exec_lo, exec_lo, s0
	s_delay_alu instid0(SALU_CYCLE_1)
	s_mov_b32 s0, exec_lo
	s_wait_dscnt 0x0
	s_barrier_signal -1
	s_barrier_wait -1
	v_cmpx_gt_u32_e32 32, v0
	s_cbranch_execz .LBB13_19
; %bb.18:
	ds_load_2addr_b32 v[2:3], v1 offset1:32
	s_wait_dscnt 0x0
	v_add_f32_e32 v2, v2, v3
	ds_store_b32 v1, v2
.LBB13_19:
	s_or_b32 exec_lo, exec_lo, s0
	s_delay_alu instid0(SALU_CYCLE_1)
	s_mov_b32 s0, exec_lo
	s_wait_dscnt 0x0
	s_barrier_signal -1
	s_barrier_wait -1
	v_cmpx_gt_u32_e32 16, v0
	s_cbranch_execz .LBB13_21
; %bb.20:
	ds_load_2addr_b32 v[2:3], v1 offset1:16
	s_wait_dscnt 0x0
	v_add_f32_e32 v2, v2, v3
	ds_store_b32 v1, v2
.LBB13_21:
	;; [unrolled: 14-line block ×5, first 2 shown]
	s_or_b32 exec_lo, exec_lo, s0
	v_cmp_eq_u32_e32 vcc_lo, 0, v0
	s_wait_dscnt 0x0
	s_barrier_signal -1
	s_barrier_wait -1
	s_and_saveexec_b32 s0, vcc_lo
	s_cbranch_execz .LBB13_29
; %bb.28:
	v_mov_b32_e32 v2, 0
	ds_load_b64 v[0:1], v2
	s_wait_dscnt 0x0
	v_add_f32_e32 v0, v0, v1
	ds_store_b32 v2, v0
.LBB13_29:
	s_or_b32 exec_lo, exec_lo, s0
	s_wait_dscnt 0x0
	s_barrier_signal -1
	s_barrier_wait -1
	s_and_saveexec_b32 s0, vcc_lo
	s_cbranch_execz .LBB13_38
; %bb.30:
	s_cmp_eq_u32 s15, 0
	s_cbranch_scc1 .LBB13_36
; %bb.31:
	s_ashr_i32 s15, s14, 31
	v_mov_b32_e32 v0, 0
	s_lshl_b64 s[0:1], s[14:15], 2
	s_delay_alu instid0(SALU_CYCLE_1)
	s_add_nc_u64 s[0:1], s[4:5], s[0:1]
	s_branch .LBB13_33
.LBB13_32:                              ;   in Loop: Header=BB13_33 Depth=1
	s_wait_xcnt 0x0
	s_or_b32 exec_lo, exec_lo, s4
	s_wait_loadcnt 0x0
	v_readfirstlane_b32 s4, v1
	s_cmp_eq_u32 s4, s17
	s_cbranch_scc0 .LBB13_35
.LBB13_33:                              ; =>This Inner Loop Header: Depth=1
	v_mbcnt_lo_u32_b32 v1, exec_lo, 0
	s_delay_alu instid0(VALU_DEP_1)
	v_cmp_eq_u32_e32 vcc_lo, 0, v1
                                        ; implicit-def: $vgpr1
	s_and_saveexec_b32 s4, vcc_lo
	s_cbranch_execz .LBB13_32
; %bb.34:                               ;   in Loop: Header=BB13_33 Depth=1
	global_load_b32 v1, v0, s[0:1] scope:SCOPE_DEV
	s_branch .LBB13_32
.LBB13_35:
	v_mov_b32_e32 v0, 0
	global_load_u16 v1, v0, s[12:13]
	s_wait_loadcnt 0x0
	v_xor_b32_e32 v1, 1, v1
	global_store_b16 v0, v1, s[12:13]
.LBB13_36:
	s_mov_b32 s0, exec_lo
	s_wait_xcnt 0x0
	v_mbcnt_lo_u32_b32 v0, s0, 0
	s_delay_alu instid0(VALU_DEP_1) | instskip(SKIP_1) | instid1(SALU_CYCLE_1)
	v_cmp_eq_u32_e32 vcc_lo, 0, v0
	s_and_b32 s1, exec_lo, vcc_lo
	s_mov_b32 exec_lo, s1
	s_cbranch_execz .LBB13_38
; %bb.37:
	s_bcnt1_i32_b32 s0, s0
	s_delay_alu instid0(SALU_CYCLE_1)
	v_cvt_f32_ubyte0_e32 v2, s0
	v_mov_b32_e32 v0, 0
	s_add_nc_u64 s[0:1], s[2:3], s[6:7]
	ds_load_b32 v1, v0
	s_wait_dscnt 0x0
	v_mul_f32_e32 v1, v1, v2
	global_atomic_add_f32 v0, v1, s[0:1] scope:SCOPE_DEV
.LBB13_38:
	s_endpgm
	.section	.rodata,"a",@progbits
	.p2align	6, 0x0
	.amdhsa_kernel _ZN9rocsparseL27csrmvn_lrb_long_rows_kernelIiiffffEEvbT_PjPT0_S4_jNS_24const_host_device_scalarIT4_EEPKS1_PKS3_PKT1_PKT2_S7_PT3_21rocsparse_index_base_b
		.amdhsa_group_segment_fixed_size 1024
		.amdhsa_private_segment_fixed_size 0
		.amdhsa_kernarg_size 104
		.amdhsa_user_sgpr_count 2
		.amdhsa_user_sgpr_dispatch_ptr 0
		.amdhsa_user_sgpr_queue_ptr 0
		.amdhsa_user_sgpr_kernarg_segment_ptr 1
		.amdhsa_user_sgpr_dispatch_id 0
		.amdhsa_user_sgpr_kernarg_preload_length 0
		.amdhsa_user_sgpr_kernarg_preload_offset 0
		.amdhsa_user_sgpr_private_segment_size 0
		.amdhsa_wavefront_size32 1
		.amdhsa_uses_dynamic_stack 0
		.amdhsa_enable_private_segment 0
		.amdhsa_system_sgpr_workgroup_id_x 1
		.amdhsa_system_sgpr_workgroup_id_y 0
		.amdhsa_system_sgpr_workgroup_id_z 0
		.amdhsa_system_sgpr_workgroup_info 0
		.amdhsa_system_vgpr_workitem_id 0
		.amdhsa_next_free_vgpr 5
		.amdhsa_next_free_sgpr 23
		.amdhsa_named_barrier_count 0
		.amdhsa_reserve_vcc 1
		.amdhsa_float_round_mode_32 0
		.amdhsa_float_round_mode_16_64 0
		.amdhsa_float_denorm_mode_32 3
		.amdhsa_float_denorm_mode_16_64 3
		.amdhsa_fp16_overflow 0
		.amdhsa_memory_ordered 1
		.amdhsa_forward_progress 1
		.amdhsa_inst_pref_size 12
		.amdhsa_round_robin_scheduling 0
		.amdhsa_exception_fp_ieee_invalid_op 0
		.amdhsa_exception_fp_denorm_src 0
		.amdhsa_exception_fp_ieee_div_zero 0
		.amdhsa_exception_fp_ieee_overflow 0
		.amdhsa_exception_fp_ieee_underflow 0
		.amdhsa_exception_fp_ieee_inexact 0
		.amdhsa_exception_int_div_zero 0
	.end_amdhsa_kernel
	.section	.text._ZN9rocsparseL27csrmvn_lrb_long_rows_kernelIiiffffEEvbT_PjPT0_S4_jNS_24const_host_device_scalarIT4_EEPKS1_PKS3_PKT1_PKT2_S7_PT3_21rocsparse_index_base_b,"axG",@progbits,_ZN9rocsparseL27csrmvn_lrb_long_rows_kernelIiiffffEEvbT_PjPT0_S4_jNS_24const_host_device_scalarIT4_EEPKS1_PKS3_PKT1_PKT2_S7_PT3_21rocsparse_index_base_b,comdat
.Lfunc_end13:
	.size	_ZN9rocsparseL27csrmvn_lrb_long_rows_kernelIiiffffEEvbT_PjPT0_S4_jNS_24const_host_device_scalarIT4_EEPKS1_PKS3_PKT1_PKT2_S7_PT3_21rocsparse_index_base_b, .Lfunc_end13-_ZN9rocsparseL27csrmvn_lrb_long_rows_kernelIiiffffEEvbT_PjPT0_S4_jNS_24const_host_device_scalarIT4_EEPKS1_PKS3_PKT1_PKT2_S7_PT3_21rocsparse_index_base_b
                                        ; -- End function
	.set _ZN9rocsparseL27csrmvn_lrb_long_rows_kernelIiiffffEEvbT_PjPT0_S4_jNS_24const_host_device_scalarIT4_EEPKS1_PKS3_PKT1_PKT2_S7_PT3_21rocsparse_index_base_b.num_vgpr, 5
	.set _ZN9rocsparseL27csrmvn_lrb_long_rows_kernelIiiffffEEvbT_PjPT0_S4_jNS_24const_host_device_scalarIT4_EEPKS1_PKS3_PKT1_PKT2_S7_PT3_21rocsparse_index_base_b.num_agpr, 0
	.set _ZN9rocsparseL27csrmvn_lrb_long_rows_kernelIiiffffEEvbT_PjPT0_S4_jNS_24const_host_device_scalarIT4_EEPKS1_PKS3_PKT1_PKT2_S7_PT3_21rocsparse_index_base_b.numbered_sgpr, 23
	.set _ZN9rocsparseL27csrmvn_lrb_long_rows_kernelIiiffffEEvbT_PjPT0_S4_jNS_24const_host_device_scalarIT4_EEPKS1_PKS3_PKT1_PKT2_S7_PT3_21rocsparse_index_base_b.num_named_barrier, 0
	.set _ZN9rocsparseL27csrmvn_lrb_long_rows_kernelIiiffffEEvbT_PjPT0_S4_jNS_24const_host_device_scalarIT4_EEPKS1_PKS3_PKT1_PKT2_S7_PT3_21rocsparse_index_base_b.private_seg_size, 0
	.set _ZN9rocsparseL27csrmvn_lrb_long_rows_kernelIiiffffEEvbT_PjPT0_S4_jNS_24const_host_device_scalarIT4_EEPKS1_PKS3_PKT1_PKT2_S7_PT3_21rocsparse_index_base_b.uses_vcc, 1
	.set _ZN9rocsparseL27csrmvn_lrb_long_rows_kernelIiiffffEEvbT_PjPT0_S4_jNS_24const_host_device_scalarIT4_EEPKS1_PKS3_PKT1_PKT2_S7_PT3_21rocsparse_index_base_b.uses_flat_scratch, 0
	.set _ZN9rocsparseL27csrmvn_lrb_long_rows_kernelIiiffffEEvbT_PjPT0_S4_jNS_24const_host_device_scalarIT4_EEPKS1_PKS3_PKT1_PKT2_S7_PT3_21rocsparse_index_base_b.has_dyn_sized_stack, 0
	.set _ZN9rocsparseL27csrmvn_lrb_long_rows_kernelIiiffffEEvbT_PjPT0_S4_jNS_24const_host_device_scalarIT4_EEPKS1_PKS3_PKT1_PKT2_S7_PT3_21rocsparse_index_base_b.has_recursion, 0
	.set _ZN9rocsparseL27csrmvn_lrb_long_rows_kernelIiiffffEEvbT_PjPT0_S4_jNS_24const_host_device_scalarIT4_EEPKS1_PKS3_PKT1_PKT2_S7_PT3_21rocsparse_index_base_b.has_indirect_call, 0
	.section	.AMDGPU.csdata,"",@progbits
; Kernel info:
; codeLenInByte = 1492
; TotalNumSgprs: 25
; NumVgprs: 5
; ScratchSize: 0
; MemoryBound: 0
; FloatMode: 240
; IeeeMode: 1
; LDSByteSize: 1024 bytes/workgroup (compile time only)
; SGPRBlocks: 0
; VGPRBlocks: 0
; NumSGPRsForWavesPerEU: 25
; NumVGPRsForWavesPerEU: 5
; NamedBarCnt: 0
; Occupancy: 16
; WaveLimiterHint : 1
; COMPUTE_PGM_RSRC2:SCRATCH_EN: 0
; COMPUTE_PGM_RSRC2:USER_SGPR: 2
; COMPUTE_PGM_RSRC2:TRAP_HANDLER: 0
; COMPUTE_PGM_RSRC2:TGID_X_EN: 1
; COMPUTE_PGM_RSRC2:TGID_Y_EN: 0
; COMPUTE_PGM_RSRC2:TGID_Z_EN: 0
; COMPUTE_PGM_RSRC2:TIDIG_COMP_CNT: 0
	.section	.text._ZN9rocsparseL28csrmvn_lrb_short_rows_kernelIliffffEEvbT_PT0_S3_jNS_24const_host_device_scalarIT4_EEPKS1_PKS2_PKT1_PKT2_S6_PT3_21rocsparse_index_base_b,"axG",@progbits,_ZN9rocsparseL28csrmvn_lrb_short_rows_kernelIliffffEEvbT_PT0_S3_jNS_24const_host_device_scalarIT4_EEPKS1_PKS2_PKT1_PKT2_S6_PT3_21rocsparse_index_base_b,comdat
	.globl	_ZN9rocsparseL28csrmvn_lrb_short_rows_kernelIliffffEEvbT_PT0_S3_jNS_24const_host_device_scalarIT4_EEPKS1_PKS2_PKT1_PKT2_S6_PT3_21rocsparse_index_base_b ; -- Begin function _ZN9rocsparseL28csrmvn_lrb_short_rows_kernelIliffffEEvbT_PT0_S3_jNS_24const_host_device_scalarIT4_EEPKS1_PKS2_PKT1_PKT2_S6_PT3_21rocsparse_index_base_b
	.p2align	8
	.type	_ZN9rocsparseL28csrmvn_lrb_short_rows_kernelIliffffEEvbT_PT0_S3_jNS_24const_host_device_scalarIT4_EEPKS1_PKS2_PKT1_PKT2_S6_PT3_21rocsparse_index_base_b,@function
_ZN9rocsparseL28csrmvn_lrb_short_rows_kernelIliffffEEvbT_PT0_S3_jNS_24const_host_device_scalarIT4_EEPKS1_PKS2_PKT1_PKT2_S6_PT3_21rocsparse_index_base_b: ; @_ZN9rocsparseL28csrmvn_lrb_short_rows_kernelIliffffEEvbT_PT0_S3_jNS_24const_host_device_scalarIT4_EEPKS1_PKS2_PKT1_PKT2_S6_PT3_21rocsparse_index_base_b
; %bb.0:
	s_clause 0x2
	s_load_b64 s[16:17], s[0:1], 0x60
	s_load_b64 s[18:19], s[0:1], 0x28
	;; [unrolled: 1-line block ×3, first 2 shown]
	s_wait_kmcnt 0x0
	s_bitcmp1_b32 s17, 0
	s_cselect_b32 s4, -1, 0
	s_delay_alu instid0(SALU_CYCLE_1)
	s_and_b32 vcc_lo, exec_lo, s4
	s_xor_b32 s4, s4, -1
	s_cbranch_vccnz .LBB14_2
; %bb.1:
	s_load_b32 s18, s[18:19], 0x0
.LBB14_2:
	s_and_not1_b32 vcc_lo, exec_lo, s4
	s_cbranch_vccnz .LBB14_4
; %bb.3:
	s_load_b32 s2, s[2:3], 0x0
.LBB14_4:
	s_wait_kmcnt 0x0
	s_cmp_neq_f32 s18, 0
	s_cselect_b32 s3, -1, 0
	s_cmp_neq_f32 s2, 1.0
	s_cselect_b32 s4, -1, 0
	s_delay_alu instid0(SALU_CYCLE_1) | instskip(NEXT) | instid1(SALU_CYCLE_1)
	s_or_b32 s3, s3, s4
	s_and_not1_b32 vcc_lo, exec_lo, s3
	s_cbranch_vccnz .LBB14_18
; %bb.5:
	s_clause 0x1
	s_load_b32 s3, s[0:1], 0x20
	s_load_b128 s[12:15], s[0:1], 0x10
	s_and_b32 s6, ttmp6, 15
	s_getreg_b32 s7, hwreg(HW_REG_IB_STS2, 6, 4)
	s_wait_kmcnt 0x0
	s_add_co_i32 s4, s3, 1
	s_clause 0x1
	s_load_b32 s19, s[14:15], s3 offset:0x0 scale_offset
	s_load_b32 s5, s[14:15], s4 offset:0x0 scale_offset
	s_wait_xcnt 0x0
	s_bfe_u32 s4, ttmp6, 0x4000c
	s_delay_alu instid0(SALU_CYCLE_1) | instskip(NEXT) | instid1(SALU_CYCLE_1)
	s_add_co_i32 s4, s4, 1
	s_mul_i32 s4, ttmp9, s4
	s_delay_alu instid0(SALU_CYCLE_1) | instskip(SKIP_4) | instid1(SALU_CYCLE_1)
	s_add_co_i32 s6, s6, s4
	s_wait_kmcnt 0x0
	s_sub_co_i32 s5, s5, s19
	s_cmp_eq_u32 s7, 0
	s_cselect_b32 s4, ttmp9, s6
	s_lshl_b32 s14, s4, 8
	s_delay_alu instid0(SALU_CYCLE_1) | instskip(NEXT) | instid1(SALU_CYCLE_1)
	s_add_co_i32 s4, s14, 0x100
	s_min_u32 s15, s5, s4
	s_cmp_gt_u32 s3, 23
	s_cbranch_scc1 .LBB14_12
; %bb.6:
	s_load_b256 s[4:11], s[0:1], 0x30
	v_bfe_u32 v6, v0, 0, s3
	v_mov_b32_e32 v7, 0
	v_lshl_add_u32 v1, v0, 2, 0
	s_mov_b32 s17, 0
	s_lshl_b32 s20, 0x100, s3
	s_mov_b32 s21, s17
	s_branch .LBB14_9
.LBB14_7:                               ;   in Loop: Header=BB14_9 Depth=1
	s_wait_xcnt 0x0
	s_or_b32 exec_lo, exec_lo, s23
	ds_store_b32 v1, v4
.LBB14_8:                               ;   in Loop: Header=BB14_9 Depth=1
	s_or_b32 exec_lo, exec_lo, s22
	v_add_nc_u32_e32 v1, 0x400, v1
	s_addk_co_i32 s21, 0x100
	s_delay_alu instid0(SALU_CYCLE_1)
	s_cmp_ge_u32 s21, s20
	s_cbranch_scc1 .LBB14_12
.LBB14_9:                               ; =>This Inner Loop Header: Depth=1
	v_add_nc_u32_e32 v2, s21, v0
	s_mov_b32 s22, exec_lo
	s_delay_alu instid0(VALU_DEP_1) | instskip(NEXT) | instid1(VALU_DEP_1)
	v_lshrrev_b32_e32 v2, s3, v2
	v_add_nc_u32_e32 v2, s14, v2
	s_delay_alu instid0(VALU_DEP_1)
	v_cmpx_gt_u32_e64 s15, v2
	s_cbranch_execz .LBB14_8
; %bb.10:                               ;   in Loop: Header=BB14_9 Depth=1
	v_add_nc_u32_e32 v2, s19, v2
	global_load_b32 v2, v2, s[12:13] scale_offset
	s_wait_loadcnt 0x0
	v_ashrrev_i32_e32 v3, 31, v2
	s_wait_kmcnt 0x0
	s_wait_xcnt 0x0
	s_delay_alu instid0(VALU_DEP_1) | instskip(SKIP_3) | instid1(VALU_DEP_1)
	v_lshl_add_u64 v[2:3], v[2:3], 3, s[4:5]
	global_load_b128 v[2:5], v[2:3], off
	s_wait_loadcnt 0x0
	v_sub_nc_u64_e32 v[4:5], v[4:5], v[2:3]
	v_cmp_gt_i64_e32 vcc_lo, v[4:5], v[6:7]
	v_mov_b32_e32 v4, 0
	s_wait_xcnt 0x0
	s_and_saveexec_b32 s23, vcc_lo
	s_cbranch_execz .LBB14_7
; %bb.11:                               ;   in Loop: Header=BB14_9 Depth=1
	v_sub_nc_u64_e64 v[2:3], v[2:3], s[16:17]
	s_delay_alu instid0(VALU_DEP_1) | instskip(NEXT) | instid1(VALU_DEP_1)
	v_add_nc_u64_e32 v[2:3], v[2:3], v[6:7]
	v_lshlrev_b64_e32 v[2:3], 2, v[2:3]
	s_delay_alu instid0(VALU_DEP_1)
	v_add_nc_u64_e32 v[4:5], s[6:7], v[2:3]
	v_add_nc_u64_e32 v[2:3], s[8:9], v[2:3]
	global_load_b32 v4, v[4:5], off
	global_load_b32 v2, v[2:3], off
	s_wait_loadcnt 0x1
	s_wait_xcnt 0x0
	v_subrev_nc_u32_e32 v3, s16, v4
	s_wait_loadcnt 0x0
	v_mul_f32_e32 v2, s18, v2
	global_load_b32 v3, v3, s[10:11] scale_offset
	s_wait_loadcnt 0x0
	v_mul_f32_e32 v4, v2, v3
	s_branch .LBB14_7
.LBB14_12:
	s_wait_kmcnt 0x0
	s_sub_co_i32 s4, s15, s14
	s_wait_dscnt 0x0
	v_cmp_gt_u32_e32 vcc_lo, s4, v0
	s_barrier_signal -1
	s_barrier_wait -1
	s_and_saveexec_b32 s4, vcc_lo
	s_cbranch_execz .LBB14_18
; %bb.13:
	v_add3_u32 v1, s19, s14, v0
	s_load_b64 s[0:1], s[0:1], 0x58
	v_dual_lshlrev_b32 v0, s3, v0 :: v_dual_mov_b32 v4, 0
	s_mov_b32 s4, 1
	global_load_b32 v2, v1, s[12:13] scale_offset
	v_lshl_add_u32 v0, v0, 2, 0
.LBB14_14:                              ; =>This Inner Loop Header: Depth=1
	s_wait_xcnt 0x0
	ds_load_b32 v1, v0
	v_add_nc_u32_e32 v0, 4, v0
	s_lshr_b32 s5, s4, s3
	s_add_co_i32 s4, s4, 1
	s_cmp_lg_u32 s5, 0
	s_wait_dscnt 0x0
	v_add_f32_e32 v4, v4, v1
	s_cbranch_scc0 .LBB14_14
; %bb.15:
	s_wait_loadcnt 0x0
	v_ashrrev_i32_e32 v3, 31, v2
	s_cmp_neq_f32 s2, 0
	s_wait_kmcnt 0x0
	s_delay_alu instid0(VALU_DEP_1)
	v_lshl_add_u64 v[0:1], v[2:3], 2, s[0:1]
	s_cbranch_scc0 .LBB14_17
; %bb.16:
	global_load_b32 v2, v[0:1], off
	s_wait_loadcnt 0x0
	v_fmac_f32_e32 v4, s2, v2
.LBB14_17:
	global_store_b32 v[0:1], v4, off
.LBB14_18:
	s_endpgm
	.section	.rodata,"a",@progbits
	.p2align	6, 0x0
	.amdhsa_kernel _ZN9rocsparseL28csrmvn_lrb_short_rows_kernelIliffffEEvbT_PT0_S3_jNS_24const_host_device_scalarIT4_EEPKS1_PKS2_PKT1_PKT2_S6_PT3_21rocsparse_index_base_b
		.amdhsa_group_segment_fixed_size 0
		.amdhsa_private_segment_fixed_size 0
		.amdhsa_kernarg_size 104
		.amdhsa_user_sgpr_count 2
		.amdhsa_user_sgpr_dispatch_ptr 0
		.amdhsa_user_sgpr_queue_ptr 0
		.amdhsa_user_sgpr_kernarg_segment_ptr 1
		.amdhsa_user_sgpr_dispatch_id 0
		.amdhsa_user_sgpr_kernarg_preload_length 0
		.amdhsa_user_sgpr_kernarg_preload_offset 0
		.amdhsa_user_sgpr_private_segment_size 0
		.amdhsa_wavefront_size32 1
		.amdhsa_uses_dynamic_stack 0
		.amdhsa_enable_private_segment 0
		.amdhsa_system_sgpr_workgroup_id_x 1
		.amdhsa_system_sgpr_workgroup_id_y 0
		.amdhsa_system_sgpr_workgroup_id_z 0
		.amdhsa_system_sgpr_workgroup_info 0
		.amdhsa_system_vgpr_workitem_id 0
		.amdhsa_next_free_vgpr 8
		.amdhsa_next_free_sgpr 24
		.amdhsa_named_barrier_count 0
		.amdhsa_reserve_vcc 1
		.amdhsa_float_round_mode_32 0
		.amdhsa_float_round_mode_16_64 0
		.amdhsa_float_denorm_mode_32 3
		.amdhsa_float_denorm_mode_16_64 3
		.amdhsa_fp16_overflow 0
		.amdhsa_memory_ordered 1
		.amdhsa_forward_progress 1
		.amdhsa_inst_pref_size 6
		.amdhsa_round_robin_scheduling 0
		.amdhsa_exception_fp_ieee_invalid_op 0
		.amdhsa_exception_fp_denorm_src 0
		.amdhsa_exception_fp_ieee_div_zero 0
		.amdhsa_exception_fp_ieee_overflow 0
		.amdhsa_exception_fp_ieee_underflow 0
		.amdhsa_exception_fp_ieee_inexact 0
		.amdhsa_exception_int_div_zero 0
	.end_amdhsa_kernel
	.section	.text._ZN9rocsparseL28csrmvn_lrb_short_rows_kernelIliffffEEvbT_PT0_S3_jNS_24const_host_device_scalarIT4_EEPKS1_PKS2_PKT1_PKT2_S6_PT3_21rocsparse_index_base_b,"axG",@progbits,_ZN9rocsparseL28csrmvn_lrb_short_rows_kernelIliffffEEvbT_PT0_S3_jNS_24const_host_device_scalarIT4_EEPKS1_PKS2_PKT1_PKT2_S6_PT3_21rocsparse_index_base_b,comdat
.Lfunc_end14:
	.size	_ZN9rocsparseL28csrmvn_lrb_short_rows_kernelIliffffEEvbT_PT0_S3_jNS_24const_host_device_scalarIT4_EEPKS1_PKS2_PKT1_PKT2_S6_PT3_21rocsparse_index_base_b, .Lfunc_end14-_ZN9rocsparseL28csrmvn_lrb_short_rows_kernelIliffffEEvbT_PT0_S3_jNS_24const_host_device_scalarIT4_EEPKS1_PKS2_PKT1_PKT2_S6_PT3_21rocsparse_index_base_b
                                        ; -- End function
	.set _ZN9rocsparseL28csrmvn_lrb_short_rows_kernelIliffffEEvbT_PT0_S3_jNS_24const_host_device_scalarIT4_EEPKS1_PKS2_PKT1_PKT2_S6_PT3_21rocsparse_index_base_b.num_vgpr, 8
	.set _ZN9rocsparseL28csrmvn_lrb_short_rows_kernelIliffffEEvbT_PT0_S3_jNS_24const_host_device_scalarIT4_EEPKS1_PKS2_PKT1_PKT2_S6_PT3_21rocsparse_index_base_b.num_agpr, 0
	.set _ZN9rocsparseL28csrmvn_lrb_short_rows_kernelIliffffEEvbT_PT0_S3_jNS_24const_host_device_scalarIT4_EEPKS1_PKS2_PKT1_PKT2_S6_PT3_21rocsparse_index_base_b.numbered_sgpr, 24
	.set _ZN9rocsparseL28csrmvn_lrb_short_rows_kernelIliffffEEvbT_PT0_S3_jNS_24const_host_device_scalarIT4_EEPKS1_PKS2_PKT1_PKT2_S6_PT3_21rocsparse_index_base_b.num_named_barrier, 0
	.set _ZN9rocsparseL28csrmvn_lrb_short_rows_kernelIliffffEEvbT_PT0_S3_jNS_24const_host_device_scalarIT4_EEPKS1_PKS2_PKT1_PKT2_S6_PT3_21rocsparse_index_base_b.private_seg_size, 0
	.set _ZN9rocsparseL28csrmvn_lrb_short_rows_kernelIliffffEEvbT_PT0_S3_jNS_24const_host_device_scalarIT4_EEPKS1_PKS2_PKT1_PKT2_S6_PT3_21rocsparse_index_base_b.uses_vcc, 1
	.set _ZN9rocsparseL28csrmvn_lrb_short_rows_kernelIliffffEEvbT_PT0_S3_jNS_24const_host_device_scalarIT4_EEPKS1_PKS2_PKT1_PKT2_S6_PT3_21rocsparse_index_base_b.uses_flat_scratch, 0
	.set _ZN9rocsparseL28csrmvn_lrb_short_rows_kernelIliffffEEvbT_PT0_S3_jNS_24const_host_device_scalarIT4_EEPKS1_PKS2_PKT1_PKT2_S6_PT3_21rocsparse_index_base_b.has_dyn_sized_stack, 0
	.set _ZN9rocsparseL28csrmvn_lrb_short_rows_kernelIliffffEEvbT_PT0_S3_jNS_24const_host_device_scalarIT4_EEPKS1_PKS2_PKT1_PKT2_S6_PT3_21rocsparse_index_base_b.has_recursion, 0
	.set _ZN9rocsparseL28csrmvn_lrb_short_rows_kernelIliffffEEvbT_PT0_S3_jNS_24const_host_device_scalarIT4_EEPKS1_PKS2_PKT1_PKT2_S6_PT3_21rocsparse_index_base_b.has_indirect_call, 0
	.section	.AMDGPU.csdata,"",@progbits
; Kernel info:
; codeLenInByte = 752
; TotalNumSgprs: 26
; NumVgprs: 8
; ScratchSize: 0
; MemoryBound: 0
; FloatMode: 240
; IeeeMode: 1
; LDSByteSize: 0 bytes/workgroup (compile time only)
; SGPRBlocks: 0
; VGPRBlocks: 0
; NumSGPRsForWavesPerEU: 26
; NumVGPRsForWavesPerEU: 8
; NamedBarCnt: 0
; Occupancy: 16
; WaveLimiterHint : 1
; COMPUTE_PGM_RSRC2:SCRATCH_EN: 0
; COMPUTE_PGM_RSRC2:USER_SGPR: 2
; COMPUTE_PGM_RSRC2:TRAP_HANDLER: 0
; COMPUTE_PGM_RSRC2:TGID_X_EN: 1
; COMPUTE_PGM_RSRC2:TGID_Y_EN: 0
; COMPUTE_PGM_RSRC2:TGID_Z_EN: 0
; COMPUTE_PGM_RSRC2:TIDIG_COMP_CNT: 0
	.section	.text._ZN9rocsparseL30csrmvn_lrb_short_rows_2_kernelIliffffEEvbT_PT0_S3_jNS_24const_host_device_scalarIT4_EEPKS1_PKS2_PKT1_PKT2_S6_PT3_21rocsparse_index_base_b,"axG",@progbits,_ZN9rocsparseL30csrmvn_lrb_short_rows_2_kernelIliffffEEvbT_PT0_S3_jNS_24const_host_device_scalarIT4_EEPKS1_PKS2_PKT1_PKT2_S6_PT3_21rocsparse_index_base_b,comdat
	.globl	_ZN9rocsparseL30csrmvn_lrb_short_rows_2_kernelIliffffEEvbT_PT0_S3_jNS_24const_host_device_scalarIT4_EEPKS1_PKS2_PKT1_PKT2_S6_PT3_21rocsparse_index_base_b ; -- Begin function _ZN9rocsparseL30csrmvn_lrb_short_rows_2_kernelIliffffEEvbT_PT0_S3_jNS_24const_host_device_scalarIT4_EEPKS1_PKS2_PKT1_PKT2_S6_PT3_21rocsparse_index_base_b
	.p2align	8
	.type	_ZN9rocsparseL30csrmvn_lrb_short_rows_2_kernelIliffffEEvbT_PT0_S3_jNS_24const_host_device_scalarIT4_EEPKS1_PKS2_PKT1_PKT2_S6_PT3_21rocsparse_index_base_b,@function
_ZN9rocsparseL30csrmvn_lrb_short_rows_2_kernelIliffffEEvbT_PT0_S3_jNS_24const_host_device_scalarIT4_EEPKS1_PKS2_PKT1_PKT2_S6_PT3_21rocsparse_index_base_b: ; @_ZN9rocsparseL30csrmvn_lrb_short_rows_2_kernelIliffffEEvbT_PT0_S3_jNS_24const_host_device_scalarIT4_EEPKS1_PKS2_PKT1_PKT2_S6_PT3_21rocsparse_index_base_b
; %bb.0:
	s_clause 0x2
	s_load_b64 s[18:19], s[0:1], 0x60
	s_load_b64 s[16:17], s[0:1], 0x28
	s_load_b64 s[2:3], s[0:1], 0x50
	s_wait_kmcnt 0x0
	s_bitcmp1_b32 s19, 0
	s_cselect_b32 s4, -1, 0
	s_delay_alu instid0(SALU_CYCLE_1)
	s_and_b32 vcc_lo, exec_lo, s4
	s_xor_b32 s4, s4, -1
	s_cbranch_vccnz .LBB15_2
; %bb.1:
	s_load_b32 s16, s[16:17], 0x0
.LBB15_2:
	s_and_not1_b32 vcc_lo, exec_lo, s4
	s_cbranch_vccnz .LBB15_4
; %bb.3:
	s_load_b32 s2, s[2:3], 0x0
.LBB15_4:
	s_wait_kmcnt 0x0
	s_cmp_neq_f32 s16, 0
	s_mov_b32 s19, 0
	s_cselect_b32 s3, -1, 0
	s_cmp_neq_f32 s2, 1.0
	s_cselect_b32 s4, -1, 0
	s_delay_alu instid0(SALU_CYCLE_1) | instskip(NEXT) | instid1(SALU_CYCLE_1)
	s_or_b32 s3, s3, s4
	s_and_not1_b32 vcc_lo, exec_lo, s3
	s_cbranch_vccnz .LBB15_30
; %bb.5:
	s_clause 0x1
	s_load_b32 s3, s[0:1], 0x20
	s_load_b128 s[12:15], s[0:1], 0x10
	s_getreg_b32 s21, hwreg(HW_REG_IB_STS2, 6, 4)
	s_wait_kmcnt 0x0
	v_dual_mov_b32 v7, 0 :: v_dual_lshrrev_b32 v1, s3, v0
	s_add_co_i32 s4, s3, 1
	s_clause 0x1
	s_load_b32 s17, s[14:15], s3 offset:0x0 scale_offset
	s_load_b32 s20, s[14:15], s4 offset:0x0 scale_offset
	s_wait_xcnt 0x0
	s_bfe_u32 s14, ttmp6, 0x4000c
	s_load_b256 s[4:11], s[0:1], 0x30
	s_add_co_i32 s14, s14, 1
	s_and_b32 s15, ttmp6, 15
	s_mul_i32 s14, ttmp9, s14
	v_bfe_u32 v6, v0, 0, s3
	s_add_co_i32 s15, s15, s14
	s_lshr_b32 s14, 0x400, s3
	s_wait_kmcnt 0x0
	s_sub_co_i32 s20, s20, s17
	s_cmp_eq_u32 s21, 0
	s_cselect_b32 s15, ttmp9, s15
	s_delay_alu instid0(SALU_CYCLE_1) | instskip(NEXT) | instid1(SALU_CYCLE_1)
	s_mul_i32 s15, s14, s15
	v_add_nc_u32_e32 v1, s15, v1
	s_add_co_i32 s21, s15, s14
	s_delay_alu instid0(SALU_CYCLE_1) | instskip(SKIP_1) | instid1(VALU_DEP_1)
	s_min_u32 s20, s20, s21
	s_mov_b32 s21, exec_lo
	v_cmpx_gt_u32_e64 s20, v1
	s_cbranch_execz .LBB15_9
; %bb.6:
	v_add_nc_u32_e32 v1, s17, v1
	s_mov_b32 s22, exec_lo
	global_load_b32 v2, v1, s[12:13] scale_offset
	s_wait_loadcnt 0x0
	v_dual_mov_b32 v1, v7 :: v_dual_ashrrev_i32 v3, 31, v2
	s_delay_alu instid0(VALU_DEP_1) | instskip(SKIP_3) | instid1(VALU_DEP_1)
	v_lshl_add_u64 v[2:3], v[2:3], 3, s[4:5]
	global_load_b128 v[2:5], v[2:3], off
	s_wait_loadcnt 0x0
	v_sub_nc_u64_e32 v[4:5], v[4:5], v[2:3]
	v_cmpx_gt_i64_e64 v[4:5], v[6:7]
	s_cbranch_execz .LBB15_8
; %bb.7:
	v_sub_nc_u64_e64 v[2:3], v[2:3], s[18:19]
	s_delay_alu instid0(VALU_DEP_1) | instskip(NEXT) | instid1(VALU_DEP_1)
	v_add_nc_u64_e32 v[2:3], v[2:3], v[6:7]
	v_lshlrev_b64_e32 v[2:3], 2, v[2:3]
	s_delay_alu instid0(VALU_DEP_1)
	v_add_nc_u64_e32 v[4:5], s[6:7], v[2:3]
	v_add_nc_u64_e32 v[2:3], s[8:9], v[2:3]
	global_load_b32 v1, v[4:5], off
	global_load_b32 v2, v[2:3], off
	s_wait_loadcnt 0x1
	v_subrev_nc_u32_e32 v1, s18, v1
	s_wait_loadcnt 0x0
	v_mul_f32_e32 v2, s16, v2
	global_load_b32 v1, v1, s[10:11] scale_offset
	s_wait_loadcnt 0x0
	v_mul_f32_e32 v1, v2, v1
.LBB15_8:
	s_or_b32 exec_lo, exec_lo, s22
	v_lshlrev_b32_e32 v2, 2, v0
	ds_store_b32 v2, v1
.LBB15_9:
	s_or_b32 exec_lo, exec_lo, s21
	s_load_b64 s[0:1], s[0:1], 0x58
	v_or_b32_e32 v1, 0x100, v0
	s_mov_b32 s21, exec_lo
	s_delay_alu instid0(VALU_DEP_1) | instskip(NEXT) | instid1(VALU_DEP_1)
	v_lshrrev_b32_e32 v1, s3, v1
	v_add_nc_u32_e32 v1, s15, v1
	s_delay_alu instid0(VALU_DEP_1)
	v_cmpx_gt_u32_e64 s20, v1
	s_cbranch_execz .LBB15_13
; %bb.10:
	v_add_nc_u32_e32 v1, s17, v1
	s_mov_b32 s22, exec_lo
	global_load_b32 v2, v1, s[12:13] scale_offset
	s_wait_loadcnt 0x0
	v_dual_mov_b32 v1, 0 :: v_dual_ashrrev_i32 v3, 31, v2
	s_delay_alu instid0(VALU_DEP_1) | instskip(SKIP_3) | instid1(VALU_DEP_1)
	v_lshl_add_u64 v[2:3], v[2:3], 3, s[4:5]
	global_load_b128 v[2:5], v[2:3], off
	s_wait_loadcnt 0x0
	v_sub_nc_u64_e32 v[4:5], v[4:5], v[2:3]
	v_cmpx_gt_i64_e64 v[4:5], v[6:7]
	s_cbranch_execz .LBB15_12
; %bb.11:
	v_sub_nc_u64_e64 v[2:3], v[2:3], s[18:19]
	s_delay_alu instid0(VALU_DEP_1) | instskip(NEXT) | instid1(VALU_DEP_1)
	v_add_nc_u64_e32 v[2:3], v[2:3], v[6:7]
	v_lshlrev_b64_e32 v[2:3], 2, v[2:3]
	s_delay_alu instid0(VALU_DEP_1)
	v_add_nc_u64_e32 v[4:5], s[6:7], v[2:3]
	v_add_nc_u64_e32 v[2:3], s[8:9], v[2:3]
	global_load_b32 v1, v[4:5], off
	global_load_b32 v2, v[2:3], off
	s_wait_loadcnt 0x1
	v_subrev_nc_u32_e32 v1, s18, v1
	s_wait_loadcnt 0x0
	v_mul_f32_e32 v2, s16, v2
	global_load_b32 v1, v1, s[10:11] scale_offset
	s_wait_loadcnt 0x0
	v_mul_f32_e32 v1, v2, v1
.LBB15_12:
	s_or_b32 exec_lo, exec_lo, s22
	v_lshlrev_b32_e32 v2, 2, v0
	ds_store_b32 v2, v1 offset:1024
.LBB15_13:
	s_or_b32 exec_lo, exec_lo, s21
	v_or_b32_e32 v1, 0x200, v0
	s_mov_b32 s21, exec_lo
	s_delay_alu instid0(VALU_DEP_1) | instskip(NEXT) | instid1(VALU_DEP_1)
	v_lshrrev_b32_e32 v1, s3, v1
	v_add_nc_u32_e32 v1, s15, v1
	s_delay_alu instid0(VALU_DEP_1)
	v_cmpx_gt_u32_e64 s20, v1
	s_cbranch_execz .LBB15_17
; %bb.14:
	v_add_nc_u32_e32 v1, s17, v1
	s_mov_b32 s22, exec_lo
	global_load_b32 v2, v1, s[12:13] scale_offset
	s_wait_loadcnt 0x0
	v_dual_mov_b32 v1, 0 :: v_dual_ashrrev_i32 v3, 31, v2
	s_delay_alu instid0(VALU_DEP_1) | instskip(SKIP_3) | instid1(VALU_DEP_1)
	v_lshl_add_u64 v[2:3], v[2:3], 3, s[4:5]
	global_load_b128 v[2:5], v[2:3], off
	s_wait_loadcnt 0x0
	v_sub_nc_u64_e32 v[4:5], v[4:5], v[2:3]
	v_cmpx_gt_i64_e64 v[4:5], v[6:7]
	s_cbranch_execz .LBB15_16
; %bb.15:
	v_sub_nc_u64_e64 v[2:3], v[2:3], s[18:19]
	s_delay_alu instid0(VALU_DEP_1) | instskip(NEXT) | instid1(VALU_DEP_1)
	v_add_nc_u64_e32 v[2:3], v[2:3], v[6:7]
	v_lshlrev_b64_e32 v[2:3], 2, v[2:3]
	s_delay_alu instid0(VALU_DEP_1)
	v_add_nc_u64_e32 v[4:5], s[6:7], v[2:3]
	v_add_nc_u64_e32 v[2:3], s[8:9], v[2:3]
	global_load_b32 v1, v[4:5], off
	global_load_b32 v2, v[2:3], off
	s_wait_loadcnt 0x1
	v_subrev_nc_u32_e32 v1, s18, v1
	s_wait_loadcnt 0x0
	v_mul_f32_e32 v2, s16, v2
	global_load_b32 v1, v1, s[10:11] scale_offset
	s_wait_loadcnt 0x0
	v_mul_f32_e32 v1, v2, v1
.LBB15_16:
	s_or_b32 exec_lo, exec_lo, s22
	v_lshlrev_b32_e32 v2, 2, v0
	ds_store_b32 v2, v1 offset:2048
.LBB15_17:
	s_or_b32 exec_lo, exec_lo, s21
	v_or_b32_e32 v1, 0x300, v0
	s_mov_b32 s21, exec_lo
	s_delay_alu instid0(VALU_DEP_1) | instskip(NEXT) | instid1(VALU_DEP_1)
	v_lshrrev_b32_e32 v1, s3, v1
	v_add_nc_u32_e32 v1, s15, v1
	s_delay_alu instid0(VALU_DEP_1)
	v_cmpx_gt_u32_e64 s20, v1
	s_cbranch_execz .LBB15_21
; %bb.18:
	v_add_nc_u32_e32 v1, s17, v1
	global_load_b32 v2, v1, s[12:13] scale_offset
	s_wait_loadcnt 0x0
	v_dual_mov_b32 v1, 0 :: v_dual_ashrrev_i32 v3, 31, v2
	s_delay_alu instid0(VALU_DEP_1) | instskip(SKIP_4) | instid1(VALU_DEP_1)
	v_lshl_add_u64 v[2:3], v[2:3], 3, s[4:5]
	s_mov_b32 s4, exec_lo
	global_load_b128 v[2:5], v[2:3], off
	s_wait_loadcnt 0x0
	v_sub_nc_u64_e32 v[4:5], v[4:5], v[2:3]
	v_cmpx_gt_i64_e64 v[4:5], v[6:7]
	s_cbranch_execz .LBB15_20
; %bb.19:
	v_sub_nc_u64_e64 v[2:3], v[2:3], s[18:19]
	s_delay_alu instid0(VALU_DEP_1) | instskip(NEXT) | instid1(VALU_DEP_1)
	v_add_nc_u64_e32 v[2:3], v[2:3], v[6:7]
	v_lshlrev_b64_e32 v[2:3], 2, v[2:3]
	s_delay_alu instid0(VALU_DEP_1)
	v_add_nc_u64_e32 v[4:5], s[6:7], v[2:3]
	v_add_nc_u64_e32 v[2:3], s[8:9], v[2:3]
	global_load_b32 v1, v[4:5], off
	global_load_b32 v2, v[2:3], off
	s_wait_loadcnt 0x1
	v_subrev_nc_u32_e32 v1, s18, v1
	s_wait_loadcnt 0x0
	v_mul_f32_e32 v2, s16, v2
	global_load_b32 v1, v1, s[10:11] scale_offset
	s_wait_loadcnt 0x0
	v_mul_f32_e32 v1, v2, v1
.LBB15_20:
	s_or_b32 exec_lo, exec_lo, s4
	v_lshlrev_b32_e32 v2, 2, v0
	ds_store_b32 v2, v1 offset:3072
.LBB15_21:
	s_or_b32 exec_lo, exec_lo, s21
	s_cmp_lt_u32 s3, 11
	s_wait_dscnt 0x0
	s_barrier_signal -1
	s_barrier_wait -1
	s_cbranch_scc0 .LBB15_30
; %bb.22:
	s_sub_co_i32 s4, s20, s15
	s_add_co_i32 s17, s17, s15
	s_cmp_neq_f32 s2, 0
	s_mov_b32 s5, 0
	s_cselect_b32 s6, -1, 0
	s_branch .LBB15_25
.LBB15_23:                              ;   in Loop: Header=BB15_25 Depth=1
	global_store_b32 v[2:3], v1, off
.LBB15_24:                              ;   in Loop: Header=BB15_25 Depth=1
	s_wait_xcnt 0x0
	s_or_b32 exec_lo, exec_lo, s7
	s_addk_co_i32 s5, 0x100
	s_delay_alu instid0(SALU_CYCLE_1)
	s_cmp_lt_u32 s5, s14
	s_cbranch_scc0 .LBB15_30
.LBB15_25:                              ; =>This Loop Header: Depth=1
                                        ;     Child Loop BB15_27 Depth 2
	v_add_nc_u32_e32 v1, s5, v0
	s_mov_b32 s7, exec_lo
	s_delay_alu instid0(VALU_DEP_1)
	v_cmpx_gt_u32_e64 s4, v1
	s_cbranch_execz .LBB15_24
; %bb.26:                               ;   in Loop: Header=BB15_25 Depth=1
	v_dual_add_nc_u32 v2, s17, v1 :: v_dual_lshlrev_b32 v1, s3, v1
	s_mov_b32 s8, 1
	global_load_b32 v2, v2, s[12:13] scale_offset
	v_dual_lshlrev_b32 v3, 2, v1 :: v_dual_mov_b32 v1, 0
.LBB15_27:                              ;   Parent Loop BB15_25 Depth=1
                                        ; =>  This Inner Loop Header: Depth=2
	ds_load_b32 v4, v3
	v_add_nc_u32_e32 v3, 4, v3
	s_lshr_b32 s9, s8, s3
	s_add_co_i32 s8, s8, 1
	s_cmp_lg_u32 s9, 0
	s_wait_dscnt 0x0
	v_add_f32_e32 v1, v1, v4
	s_cbranch_scc0 .LBB15_27
; %bb.28:                               ;   in Loop: Header=BB15_25 Depth=1
	s_wait_loadcnt 0x0
	v_ashrrev_i32_e32 v3, 31, v2
	s_and_b32 vcc_lo, exec_lo, s6
	s_wait_kmcnt 0x0
	s_wait_xcnt 0x0
	s_delay_alu instid0(VALU_DEP_1)
	v_lshl_add_u64 v[2:3], v[2:3], 2, s[0:1]
	s_cbranch_vccz .LBB15_23
; %bb.29:                               ;   in Loop: Header=BB15_25 Depth=1
	global_load_b32 v4, v[2:3], off
	s_wait_loadcnt 0x0
	v_fmac_f32_e32 v1, s2, v4
	s_branch .LBB15_23
.LBB15_30:
	s_endpgm
	.section	.rodata,"a",@progbits
	.p2align	6, 0x0
	.amdhsa_kernel _ZN9rocsparseL30csrmvn_lrb_short_rows_2_kernelIliffffEEvbT_PT0_S3_jNS_24const_host_device_scalarIT4_EEPKS1_PKS2_PKT1_PKT2_S6_PT3_21rocsparse_index_base_b
		.amdhsa_group_segment_fixed_size 4096
		.amdhsa_private_segment_fixed_size 0
		.amdhsa_kernarg_size 104
		.amdhsa_user_sgpr_count 2
		.amdhsa_user_sgpr_dispatch_ptr 0
		.amdhsa_user_sgpr_queue_ptr 0
		.amdhsa_user_sgpr_kernarg_segment_ptr 1
		.amdhsa_user_sgpr_dispatch_id 0
		.amdhsa_user_sgpr_kernarg_preload_length 0
		.amdhsa_user_sgpr_kernarg_preload_offset 0
		.amdhsa_user_sgpr_private_segment_size 0
		.amdhsa_wavefront_size32 1
		.amdhsa_uses_dynamic_stack 0
		.amdhsa_enable_private_segment 0
		.amdhsa_system_sgpr_workgroup_id_x 1
		.amdhsa_system_sgpr_workgroup_id_y 0
		.amdhsa_system_sgpr_workgroup_id_z 0
		.amdhsa_system_sgpr_workgroup_info 0
		.amdhsa_system_vgpr_workitem_id 0
		.amdhsa_next_free_vgpr 8
		.amdhsa_next_free_sgpr 23
		.amdhsa_named_barrier_count 0
		.amdhsa_reserve_vcc 1
		.amdhsa_float_round_mode_32 0
		.amdhsa_float_round_mode_16_64 0
		.amdhsa_float_denorm_mode_32 3
		.amdhsa_float_denorm_mode_16_64 3
		.amdhsa_fp16_overflow 0
		.amdhsa_memory_ordered 1
		.amdhsa_forward_progress 1
		.amdhsa_inst_pref_size 12
		.amdhsa_round_robin_scheduling 0
		.amdhsa_exception_fp_ieee_invalid_op 0
		.amdhsa_exception_fp_denorm_src 0
		.amdhsa_exception_fp_ieee_div_zero 0
		.amdhsa_exception_fp_ieee_overflow 0
		.amdhsa_exception_fp_ieee_underflow 0
		.amdhsa_exception_fp_ieee_inexact 0
		.amdhsa_exception_int_div_zero 0
	.end_amdhsa_kernel
	.section	.text._ZN9rocsparseL30csrmvn_lrb_short_rows_2_kernelIliffffEEvbT_PT0_S3_jNS_24const_host_device_scalarIT4_EEPKS1_PKS2_PKT1_PKT2_S6_PT3_21rocsparse_index_base_b,"axG",@progbits,_ZN9rocsparseL30csrmvn_lrb_short_rows_2_kernelIliffffEEvbT_PT0_S3_jNS_24const_host_device_scalarIT4_EEPKS1_PKS2_PKT1_PKT2_S6_PT3_21rocsparse_index_base_b,comdat
.Lfunc_end15:
	.size	_ZN9rocsparseL30csrmvn_lrb_short_rows_2_kernelIliffffEEvbT_PT0_S3_jNS_24const_host_device_scalarIT4_EEPKS1_PKS2_PKT1_PKT2_S6_PT3_21rocsparse_index_base_b, .Lfunc_end15-_ZN9rocsparseL30csrmvn_lrb_short_rows_2_kernelIliffffEEvbT_PT0_S3_jNS_24const_host_device_scalarIT4_EEPKS1_PKS2_PKT1_PKT2_S6_PT3_21rocsparse_index_base_b
                                        ; -- End function
	.set _ZN9rocsparseL30csrmvn_lrb_short_rows_2_kernelIliffffEEvbT_PT0_S3_jNS_24const_host_device_scalarIT4_EEPKS1_PKS2_PKT1_PKT2_S6_PT3_21rocsparse_index_base_b.num_vgpr, 8
	.set _ZN9rocsparseL30csrmvn_lrb_short_rows_2_kernelIliffffEEvbT_PT0_S3_jNS_24const_host_device_scalarIT4_EEPKS1_PKS2_PKT1_PKT2_S6_PT3_21rocsparse_index_base_b.num_agpr, 0
	.set _ZN9rocsparseL30csrmvn_lrb_short_rows_2_kernelIliffffEEvbT_PT0_S3_jNS_24const_host_device_scalarIT4_EEPKS1_PKS2_PKT1_PKT2_S6_PT3_21rocsparse_index_base_b.numbered_sgpr, 23
	.set _ZN9rocsparseL30csrmvn_lrb_short_rows_2_kernelIliffffEEvbT_PT0_S3_jNS_24const_host_device_scalarIT4_EEPKS1_PKS2_PKT1_PKT2_S6_PT3_21rocsparse_index_base_b.num_named_barrier, 0
	.set _ZN9rocsparseL30csrmvn_lrb_short_rows_2_kernelIliffffEEvbT_PT0_S3_jNS_24const_host_device_scalarIT4_EEPKS1_PKS2_PKT1_PKT2_S6_PT3_21rocsparse_index_base_b.private_seg_size, 0
	.set _ZN9rocsparseL30csrmvn_lrb_short_rows_2_kernelIliffffEEvbT_PT0_S3_jNS_24const_host_device_scalarIT4_EEPKS1_PKS2_PKT1_PKT2_S6_PT3_21rocsparse_index_base_b.uses_vcc, 1
	.set _ZN9rocsparseL30csrmvn_lrb_short_rows_2_kernelIliffffEEvbT_PT0_S3_jNS_24const_host_device_scalarIT4_EEPKS1_PKS2_PKT1_PKT2_S6_PT3_21rocsparse_index_base_b.uses_flat_scratch, 0
	.set _ZN9rocsparseL30csrmvn_lrb_short_rows_2_kernelIliffffEEvbT_PT0_S3_jNS_24const_host_device_scalarIT4_EEPKS1_PKS2_PKT1_PKT2_S6_PT3_21rocsparse_index_base_b.has_dyn_sized_stack, 0
	.set _ZN9rocsparseL30csrmvn_lrb_short_rows_2_kernelIliffffEEvbT_PT0_S3_jNS_24const_host_device_scalarIT4_EEPKS1_PKS2_PKT1_PKT2_S6_PT3_21rocsparse_index_base_b.has_recursion, 0
	.set _ZN9rocsparseL30csrmvn_lrb_short_rows_2_kernelIliffffEEvbT_PT0_S3_jNS_24const_host_device_scalarIT4_EEPKS1_PKS2_PKT1_PKT2_S6_PT3_21rocsparse_index_base_b.has_indirect_call, 0
	.section	.AMDGPU.csdata,"",@progbits
; Kernel info:
; codeLenInByte = 1432
; TotalNumSgprs: 25
; NumVgprs: 8
; ScratchSize: 0
; MemoryBound: 0
; FloatMode: 240
; IeeeMode: 1
; LDSByteSize: 4096 bytes/workgroup (compile time only)
; SGPRBlocks: 0
; VGPRBlocks: 0
; NumSGPRsForWavesPerEU: 25
; NumVGPRsForWavesPerEU: 8
; NamedBarCnt: 0
; Occupancy: 16
; WaveLimiterHint : 1
; COMPUTE_PGM_RSRC2:SCRATCH_EN: 0
; COMPUTE_PGM_RSRC2:USER_SGPR: 2
; COMPUTE_PGM_RSRC2:TRAP_HANDLER: 0
; COMPUTE_PGM_RSRC2:TGID_X_EN: 1
; COMPUTE_PGM_RSRC2:TGID_Y_EN: 0
; COMPUTE_PGM_RSRC2:TGID_Z_EN: 0
; COMPUTE_PGM_RSRC2:TIDIG_COMP_CNT: 0
	.section	.text._ZN9rocsparseL41csrmvn_lrb_medium_rows_warp_reduce_kernelILj256ELj32EliffffEEvbT1_lPT2_S3_jNS_24const_host_device_scalarIT6_EEPKS1_PKS2_PKT3_PKT4_S6_PT5_21rocsparse_index_base_b,"axG",@progbits,_ZN9rocsparseL41csrmvn_lrb_medium_rows_warp_reduce_kernelILj256ELj32EliffffEEvbT1_lPT2_S3_jNS_24const_host_device_scalarIT6_EEPKS1_PKS2_PKT3_PKT4_S6_PT5_21rocsparse_index_base_b,comdat
	.globl	_ZN9rocsparseL41csrmvn_lrb_medium_rows_warp_reduce_kernelILj256ELj32EliffffEEvbT1_lPT2_S3_jNS_24const_host_device_scalarIT6_EEPKS1_PKS2_PKT3_PKT4_S6_PT5_21rocsparse_index_base_b ; -- Begin function _ZN9rocsparseL41csrmvn_lrb_medium_rows_warp_reduce_kernelILj256ELj32EliffffEEvbT1_lPT2_S3_jNS_24const_host_device_scalarIT6_EEPKS1_PKS2_PKT3_PKT4_S6_PT5_21rocsparse_index_base_b
	.p2align	8
	.type	_ZN9rocsparseL41csrmvn_lrb_medium_rows_warp_reduce_kernelILj256ELj32EliffffEEvbT1_lPT2_S3_jNS_24const_host_device_scalarIT6_EEPKS1_PKS2_PKT3_PKT4_S6_PT5_21rocsparse_index_base_b,@function
_ZN9rocsparseL41csrmvn_lrb_medium_rows_warp_reduce_kernelILj256ELj32EliffffEEvbT1_lPT2_S3_jNS_24const_host_device_scalarIT6_EEPKS1_PKS2_PKT3_PKT4_S6_PT5_21rocsparse_index_base_b: ; @_ZN9rocsparseL41csrmvn_lrb_medium_rows_warp_reduce_kernelILj256ELj32EliffffEEvbT1_lPT2_S3_jNS_24const_host_device_scalarIT6_EEPKS1_PKS2_PKT3_PKT4_S6_PT5_21rocsparse_index_base_b
; %bb.0:
	s_clause 0x2
	s_load_b64 s[4:5], s[0:1], 0x68
	s_load_b64 s[6:7], s[0:1], 0x30
	;; [unrolled: 1-line block ×3, first 2 shown]
	s_wait_kmcnt 0x0
	s_bitcmp1_b32 s5, 0
	s_cselect_b32 s5, -1, 0
	s_delay_alu instid0(SALU_CYCLE_1)
	s_and_b32 vcc_lo, exec_lo, s5
	s_xor_b32 s5, s5, -1
	s_cbranch_vccnz .LBB16_2
; %bb.1:
	s_load_b32 s6, s[6:7], 0x0
.LBB16_2:
	s_and_not1_b32 vcc_lo, exec_lo, s5
	s_cbranch_vccnz .LBB16_4
; %bb.3:
	s_load_b32 s2, s[2:3], 0x0
.LBB16_4:
	s_wait_kmcnt 0x0
	s_cmp_neq_f32 s6, 0
	s_cselect_b32 s3, -1, 0
	s_cmp_neq_f32 s2, 1.0
	s_cselect_b32 s5, -1, 0
	s_delay_alu instid0(SALU_CYCLE_1) | instskip(NEXT) | instid1(SALU_CYCLE_1)
	s_or_b32 s3, s3, s5
	s_and_not1_b32 vcc_lo, exec_lo, s3
	s_cbranch_vccnz .LBB16_14
; %bb.5:
	s_bfe_u32 s3, ttmp6, 0x4000c
	s_load_b64 s[8:9], s[0:1], 0x10
	s_add_co_i32 s3, s3, 1
	s_and_b32 s5, ttmp6, 15
	s_mul_i32 s3, ttmp9, s3
	s_getreg_b32 s7, hwreg(HW_REG_IB_STS2, 6, 4)
	v_lshrrev_b32_e32 v1, 5, v0
	s_add_co_i32 s5, s5, s3
	s_cmp_eq_u32 s7, 0
	s_cselect_b32 s3, ttmp9, s5
	s_delay_alu instid0(VALU_DEP_1) | instid1(SALU_CYCLE_1)
	v_lshl_or_b32 v2, s3, 3, v1
	s_mov_b32 s3, exec_lo
	s_delay_alu instid0(VALU_DEP_1) | instskip(SKIP_1) | instid1(VALU_DEP_1)
	v_ashrrev_i32_e32 v3, 31, v2
	s_wait_kmcnt 0x0
	v_cmpx_gt_i64_e64 s[8:9], v[2:3]
	s_cbranch_execz .LBB16_14
; %bb.6:
	s_clause 0x1
	s_load_b128 s[8:11], s[0:1], 0x18
	s_load_b32 s3, s[0:1], 0x28
	v_and_b32_e32 v0, 31, v0
	s_mov_b32 s5, 0
	s_wait_kmcnt 0x0
	s_load_b32 s3, s[10:11], s3 offset:0x0 scale_offset
	s_wait_kmcnt 0x0
	v_add_nc_u32_e32 v1, s3, v2
	s_mov_b32 s3, exec_lo
	global_load_b32 v2, v1, s[8:9] scale_offset
	s_wait_xcnt 0x0
	s_load_b64 s[8:9], s[0:1], 0x38
	v_mov_b32_e32 v1, 0
	s_delay_alu instid0(VALU_DEP_1) | instskip(SKIP_3) | instid1(VALU_DEP_1)
	v_sub_nc_u64_e64 v[10:11], v[0:1], s[4:5]
	s_wait_loadcnt 0x0
	v_ashrrev_i32_e32 v3, 31, v2
	s_wait_kmcnt 0x0
	v_lshl_add_u64 v[4:5], v[2:3], 3, s[8:9]
	global_load_b128 v[6:9], v[4:5], off
	s_wait_loadcnt 0x0
	v_sub_nc_u64_e64 v[4:5], v[8:9], s[4:5]
	v_add_nc_u64_e32 v[6:7], v[6:7], v[10:11]
	s_delay_alu instid0(VALU_DEP_1)
	v_cmpx_lt_i64_e64 v[6:7], v[4:5]
	s_cbranch_execz .LBB16_10
; %bb.7:
	s_clause 0x1
	s_load_b128 s[12:15], s[0:1], 0x40
	s_load_b64 s[8:9], s[0:1], 0x50
	v_lshlrev_b64_e32 v[10:11], 2, v[6:7]
	v_mov_b32_e32 v1, 0
	s_wait_kmcnt 0x0
	s_delay_alu instid0(VALU_DEP_2)
	v_add_nc_u64_e32 v[8:9], s[14:15], v[10:11]
	v_add_nc_u64_e32 v[10:11], s[12:13], v[10:11]
.LBB16_8:                               ; =>This Inner Loop Header: Depth=1
	global_load_b32 v12, v[10:11], off
	global_load_b32 v13, v[8:9], off
	v_add_nc_u64_e32 v[6:7], 32, v[6:7]
	s_wait_xcnt 0x0
	v_add_nc_u64_e32 v[8:9], 0x80, v[8:9]
	v_add_nc_u64_e32 v[10:11], 0x80, v[10:11]
	s_delay_alu instid0(VALU_DEP_3)
	v_cmp_ge_i64_e32 vcc_lo, v[6:7], v[4:5]
	s_or_b32 s5, vcc_lo, s5
	s_wait_loadcnt 0x1
	v_subrev_nc_u32_e32 v12, s4, v12
	s_wait_loadcnt 0x0
	v_mul_f32_e32 v13, s6, v13
	global_load_b32 v12, v12, s[8:9] scale_offset
	s_wait_loadcnt 0x0
	v_fmac_f32_e32 v1, v13, v12
	s_and_not1_b32 exec_lo, exec_lo, s5
	s_cbranch_execnz .LBB16_8
; %bb.9:
	s_or_b32 exec_lo, exec_lo, s5
.LBB16_10:
	s_delay_alu instid0(SALU_CYCLE_1) | instskip(SKIP_2) | instid1(VALU_DEP_1)
	s_or_b32 exec_lo, exec_lo, s3
	v_mbcnt_lo_u32_b32 v4, -1, 0
	s_load_b64 s[0:1], s[0:1], 0x60
	v_xor_b32_e32 v6, 8, v4
	v_xor_b32_e32 v5, 16, v4
	s_delay_alu instid0(VALU_DEP_1) | instskip(SKIP_1) | instid1(VALU_DEP_4)
	v_cmp_gt_i32_e32 vcc_lo, 32, v5
	v_cndmask_b32_e32 v5, v4, v5, vcc_lo
	v_cmp_gt_i32_e32 vcc_lo, 32, v6
	v_cndmask_b32_e32 v6, v4, v6, vcc_lo
	s_delay_alu instid0(VALU_DEP_1)
	v_dual_lshlrev_b32 v6, 2, v6 :: v_dual_lshlrev_b32 v5, 2, v5
	ds_bpermute_b32 v5, v5, v1
	s_wait_dscnt 0x0
	v_add_f32_e32 v1, v1, v5
	ds_bpermute_b32 v5, v6, v1
	v_xor_b32_e32 v6, 4, v4
	s_delay_alu instid0(VALU_DEP_1) | instskip(SKIP_2) | instid1(VALU_DEP_1)
	v_cmp_gt_i32_e32 vcc_lo, 32, v6
	s_wait_dscnt 0x0
	v_dual_cndmask_b32 v6, v4, v6 :: v_dual_add_f32 v1, v1, v5
	v_lshlrev_b32_e32 v6, 2, v6
	ds_bpermute_b32 v5, v6, v1
	s_wait_dscnt 0x0
	v_dual_add_f32 v1, v1, v5 :: v_dual_bitop2_b32 v6, 2, v4 bitop3:0x14
	s_delay_alu instid0(VALU_DEP_1) | instskip(SKIP_1) | instid1(VALU_DEP_1)
	v_cmp_gt_i32_e32 vcc_lo, 32, v6
	v_cndmask_b32_e32 v6, v4, v6, vcc_lo
	v_lshlrev_b32_e32 v6, 2, v6
	ds_bpermute_b32 v5, v6, v1
	v_xor_b32_e32 v6, 1, v4
	s_delay_alu instid0(VALU_DEP_1) | instskip(SKIP_3) | instid1(VALU_DEP_2)
	v_cmp_gt_i32_e32 vcc_lo, 32, v6
	v_cndmask_b32_e32 v4, v4, v6, vcc_lo
	v_cmp_eq_u32_e32 vcc_lo, 31, v0
	s_wait_dscnt 0x0
	v_dual_add_f32 v1, v1, v5 :: v_dual_lshlrev_b32 v4, 2, v4
	ds_bpermute_b32 v4, v4, v1
	s_and_b32 exec_lo, exec_lo, vcc_lo
	s_cbranch_execz .LBB16_14
; %bb.11:
	s_wait_dscnt 0x0
	v_add_f32_e32 v4, v1, v4
	s_wait_kmcnt 0x0
	v_lshl_add_u64 v[0:1], v[2:3], 2, s[0:1]
	s_cmp_eq_f32 s2, 0
	s_cbranch_scc1 .LBB16_13
; %bb.12:
	global_load_b32 v2, v[0:1], off
	s_wait_loadcnt 0x0
	v_fmac_f32_e32 v4, s2, v2
.LBB16_13:
	global_store_b32 v[0:1], v4, off
.LBB16_14:
	s_endpgm
	.section	.rodata,"a",@progbits
	.p2align	6, 0x0
	.amdhsa_kernel _ZN9rocsparseL41csrmvn_lrb_medium_rows_warp_reduce_kernelILj256ELj32EliffffEEvbT1_lPT2_S3_jNS_24const_host_device_scalarIT6_EEPKS1_PKS2_PKT3_PKT4_S6_PT5_21rocsparse_index_base_b
		.amdhsa_group_segment_fixed_size 0
		.amdhsa_private_segment_fixed_size 0
		.amdhsa_kernarg_size 112
		.amdhsa_user_sgpr_count 2
		.amdhsa_user_sgpr_dispatch_ptr 0
		.amdhsa_user_sgpr_queue_ptr 0
		.amdhsa_user_sgpr_kernarg_segment_ptr 1
		.amdhsa_user_sgpr_dispatch_id 0
		.amdhsa_user_sgpr_kernarg_preload_length 0
		.amdhsa_user_sgpr_kernarg_preload_offset 0
		.amdhsa_user_sgpr_private_segment_size 0
		.amdhsa_wavefront_size32 1
		.amdhsa_uses_dynamic_stack 0
		.amdhsa_enable_private_segment 0
		.amdhsa_system_sgpr_workgroup_id_x 1
		.amdhsa_system_sgpr_workgroup_id_y 0
		.amdhsa_system_sgpr_workgroup_id_z 0
		.amdhsa_system_sgpr_workgroup_info 0
		.amdhsa_system_vgpr_workitem_id 0
		.amdhsa_next_free_vgpr 14
		.amdhsa_next_free_sgpr 16
		.amdhsa_named_barrier_count 0
		.amdhsa_reserve_vcc 1
		.amdhsa_float_round_mode_32 0
		.amdhsa_float_round_mode_16_64 0
		.amdhsa_float_denorm_mode_32 3
		.amdhsa_float_denorm_mode_16_64 3
		.amdhsa_fp16_overflow 0
		.amdhsa_memory_ordered 1
		.amdhsa_forward_progress 1
		.amdhsa_inst_pref_size 7
		.amdhsa_round_robin_scheduling 0
		.amdhsa_exception_fp_ieee_invalid_op 0
		.amdhsa_exception_fp_denorm_src 0
		.amdhsa_exception_fp_ieee_div_zero 0
		.amdhsa_exception_fp_ieee_overflow 0
		.amdhsa_exception_fp_ieee_underflow 0
		.amdhsa_exception_fp_ieee_inexact 0
		.amdhsa_exception_int_div_zero 0
	.end_amdhsa_kernel
	.section	.text._ZN9rocsparseL41csrmvn_lrb_medium_rows_warp_reduce_kernelILj256ELj32EliffffEEvbT1_lPT2_S3_jNS_24const_host_device_scalarIT6_EEPKS1_PKS2_PKT3_PKT4_S6_PT5_21rocsparse_index_base_b,"axG",@progbits,_ZN9rocsparseL41csrmvn_lrb_medium_rows_warp_reduce_kernelILj256ELj32EliffffEEvbT1_lPT2_S3_jNS_24const_host_device_scalarIT6_EEPKS1_PKS2_PKT3_PKT4_S6_PT5_21rocsparse_index_base_b,comdat
.Lfunc_end16:
	.size	_ZN9rocsparseL41csrmvn_lrb_medium_rows_warp_reduce_kernelILj256ELj32EliffffEEvbT1_lPT2_S3_jNS_24const_host_device_scalarIT6_EEPKS1_PKS2_PKT3_PKT4_S6_PT5_21rocsparse_index_base_b, .Lfunc_end16-_ZN9rocsparseL41csrmvn_lrb_medium_rows_warp_reduce_kernelILj256ELj32EliffffEEvbT1_lPT2_S3_jNS_24const_host_device_scalarIT6_EEPKS1_PKS2_PKT3_PKT4_S6_PT5_21rocsparse_index_base_b
                                        ; -- End function
	.set _ZN9rocsparseL41csrmvn_lrb_medium_rows_warp_reduce_kernelILj256ELj32EliffffEEvbT1_lPT2_S3_jNS_24const_host_device_scalarIT6_EEPKS1_PKS2_PKT3_PKT4_S6_PT5_21rocsparse_index_base_b.num_vgpr, 14
	.set _ZN9rocsparseL41csrmvn_lrb_medium_rows_warp_reduce_kernelILj256ELj32EliffffEEvbT1_lPT2_S3_jNS_24const_host_device_scalarIT6_EEPKS1_PKS2_PKT3_PKT4_S6_PT5_21rocsparse_index_base_b.num_agpr, 0
	.set _ZN9rocsparseL41csrmvn_lrb_medium_rows_warp_reduce_kernelILj256ELj32EliffffEEvbT1_lPT2_S3_jNS_24const_host_device_scalarIT6_EEPKS1_PKS2_PKT3_PKT4_S6_PT5_21rocsparse_index_base_b.numbered_sgpr, 16
	.set _ZN9rocsparseL41csrmvn_lrb_medium_rows_warp_reduce_kernelILj256ELj32EliffffEEvbT1_lPT2_S3_jNS_24const_host_device_scalarIT6_EEPKS1_PKS2_PKT3_PKT4_S6_PT5_21rocsparse_index_base_b.num_named_barrier, 0
	.set _ZN9rocsparseL41csrmvn_lrb_medium_rows_warp_reduce_kernelILj256ELj32EliffffEEvbT1_lPT2_S3_jNS_24const_host_device_scalarIT6_EEPKS1_PKS2_PKT3_PKT4_S6_PT5_21rocsparse_index_base_b.private_seg_size, 0
	.set _ZN9rocsparseL41csrmvn_lrb_medium_rows_warp_reduce_kernelILj256ELj32EliffffEEvbT1_lPT2_S3_jNS_24const_host_device_scalarIT6_EEPKS1_PKS2_PKT3_PKT4_S6_PT5_21rocsparse_index_base_b.uses_vcc, 1
	.set _ZN9rocsparseL41csrmvn_lrb_medium_rows_warp_reduce_kernelILj256ELj32EliffffEEvbT1_lPT2_S3_jNS_24const_host_device_scalarIT6_EEPKS1_PKS2_PKT3_PKT4_S6_PT5_21rocsparse_index_base_b.uses_flat_scratch, 0
	.set _ZN9rocsparseL41csrmvn_lrb_medium_rows_warp_reduce_kernelILj256ELj32EliffffEEvbT1_lPT2_S3_jNS_24const_host_device_scalarIT6_EEPKS1_PKS2_PKT3_PKT4_S6_PT5_21rocsparse_index_base_b.has_dyn_sized_stack, 0
	.set _ZN9rocsparseL41csrmvn_lrb_medium_rows_warp_reduce_kernelILj256ELj32EliffffEEvbT1_lPT2_S3_jNS_24const_host_device_scalarIT6_EEPKS1_PKS2_PKT3_PKT4_S6_PT5_21rocsparse_index_base_b.has_recursion, 0
	.set _ZN9rocsparseL41csrmvn_lrb_medium_rows_warp_reduce_kernelILj256ELj32EliffffEEvbT1_lPT2_S3_jNS_24const_host_device_scalarIT6_EEPKS1_PKS2_PKT3_PKT4_S6_PT5_21rocsparse_index_base_b.has_indirect_call, 0
	.section	.AMDGPU.csdata,"",@progbits
; Kernel info:
; codeLenInByte = 792
; TotalNumSgprs: 18
; NumVgprs: 14
; ScratchSize: 0
; MemoryBound: 0
; FloatMode: 240
; IeeeMode: 1
; LDSByteSize: 0 bytes/workgroup (compile time only)
; SGPRBlocks: 0
; VGPRBlocks: 0
; NumSGPRsForWavesPerEU: 18
; NumVGPRsForWavesPerEU: 14
; NamedBarCnt: 0
; Occupancy: 16
; WaveLimiterHint : 1
; COMPUTE_PGM_RSRC2:SCRATCH_EN: 0
; COMPUTE_PGM_RSRC2:USER_SGPR: 2
; COMPUTE_PGM_RSRC2:TRAP_HANDLER: 0
; COMPUTE_PGM_RSRC2:TGID_X_EN: 1
; COMPUTE_PGM_RSRC2:TGID_Y_EN: 0
; COMPUTE_PGM_RSRC2:TGID_Z_EN: 0
; COMPUTE_PGM_RSRC2:TIDIG_COMP_CNT: 0
	.section	.text._ZN9rocsparseL41csrmvn_lrb_medium_rows_warp_reduce_kernelILj256ELj64EliffffEEvbT1_lPT2_S3_jNS_24const_host_device_scalarIT6_EEPKS1_PKS2_PKT3_PKT4_S6_PT5_21rocsparse_index_base_b,"axG",@progbits,_ZN9rocsparseL41csrmvn_lrb_medium_rows_warp_reduce_kernelILj256ELj64EliffffEEvbT1_lPT2_S3_jNS_24const_host_device_scalarIT6_EEPKS1_PKS2_PKT3_PKT4_S6_PT5_21rocsparse_index_base_b,comdat
	.globl	_ZN9rocsparseL41csrmvn_lrb_medium_rows_warp_reduce_kernelILj256ELj64EliffffEEvbT1_lPT2_S3_jNS_24const_host_device_scalarIT6_EEPKS1_PKS2_PKT3_PKT4_S6_PT5_21rocsparse_index_base_b ; -- Begin function _ZN9rocsparseL41csrmvn_lrb_medium_rows_warp_reduce_kernelILj256ELj64EliffffEEvbT1_lPT2_S3_jNS_24const_host_device_scalarIT6_EEPKS1_PKS2_PKT3_PKT4_S6_PT5_21rocsparse_index_base_b
	.p2align	8
	.type	_ZN9rocsparseL41csrmvn_lrb_medium_rows_warp_reduce_kernelILj256ELj64EliffffEEvbT1_lPT2_S3_jNS_24const_host_device_scalarIT6_EEPKS1_PKS2_PKT3_PKT4_S6_PT5_21rocsparse_index_base_b,@function
_ZN9rocsparseL41csrmvn_lrb_medium_rows_warp_reduce_kernelILj256ELj64EliffffEEvbT1_lPT2_S3_jNS_24const_host_device_scalarIT6_EEPKS1_PKS2_PKT3_PKT4_S6_PT5_21rocsparse_index_base_b: ; @_ZN9rocsparseL41csrmvn_lrb_medium_rows_warp_reduce_kernelILj256ELj64EliffffEEvbT1_lPT2_S3_jNS_24const_host_device_scalarIT6_EEPKS1_PKS2_PKT3_PKT4_S6_PT5_21rocsparse_index_base_b
; %bb.0:
	s_clause 0x2
	s_load_b64 s[4:5], s[0:1], 0x68
	s_load_b64 s[6:7], s[0:1], 0x30
	;; [unrolled: 1-line block ×3, first 2 shown]
	s_wait_kmcnt 0x0
	s_bitcmp1_b32 s5, 0
	s_cselect_b32 s5, -1, 0
	s_delay_alu instid0(SALU_CYCLE_1)
	s_and_b32 vcc_lo, exec_lo, s5
	s_xor_b32 s5, s5, -1
	s_cbranch_vccnz .LBB17_2
; %bb.1:
	s_load_b32 s6, s[6:7], 0x0
.LBB17_2:
	s_and_not1_b32 vcc_lo, exec_lo, s5
	s_cbranch_vccnz .LBB17_4
; %bb.3:
	s_load_b32 s2, s[2:3], 0x0
.LBB17_4:
	s_wait_kmcnt 0x0
	s_cmp_neq_f32 s6, 0
	s_cselect_b32 s3, -1, 0
	s_cmp_neq_f32 s2, 1.0
	s_cselect_b32 s5, -1, 0
	s_delay_alu instid0(SALU_CYCLE_1) | instskip(NEXT) | instid1(SALU_CYCLE_1)
	s_or_b32 s3, s3, s5
	s_and_not1_b32 vcc_lo, exec_lo, s3
	s_cbranch_vccnz .LBB17_14
; %bb.5:
	s_bfe_u32 s3, ttmp6, 0x4000c
	s_load_b64 s[8:9], s[0:1], 0x10
	s_add_co_i32 s3, s3, 1
	s_and_b32 s5, ttmp6, 15
	s_mul_i32 s3, ttmp9, s3
	s_getreg_b32 s7, hwreg(HW_REG_IB_STS2, 6, 4)
	v_lshrrev_b32_e32 v1, 6, v0
	s_add_co_i32 s5, s5, s3
	s_cmp_eq_u32 s7, 0
	s_cselect_b32 s3, ttmp9, s5
	s_delay_alu instid0(VALU_DEP_1) | instid1(SALU_CYCLE_1)
	v_lshl_or_b32 v2, s3, 2, v1
	s_mov_b32 s3, exec_lo
	s_delay_alu instid0(VALU_DEP_1) | instskip(SKIP_1) | instid1(VALU_DEP_1)
	v_ashrrev_i32_e32 v3, 31, v2
	s_wait_kmcnt 0x0
	v_cmpx_gt_i64_e64 s[8:9], v[2:3]
	s_cbranch_execz .LBB17_14
; %bb.6:
	s_clause 0x1
	s_load_b128 s[8:11], s[0:1], 0x18
	s_load_b32 s3, s[0:1], 0x28
	v_and_b32_e32 v0, 63, v0
	s_mov_b32 s5, 0
	s_wait_kmcnt 0x0
	s_load_b32 s3, s[10:11], s3 offset:0x0 scale_offset
	s_wait_kmcnt 0x0
	v_add_nc_u32_e32 v1, s3, v2
	s_mov_b32 s3, exec_lo
	global_load_b32 v2, v1, s[8:9] scale_offset
	s_wait_xcnt 0x0
	s_load_b64 s[8:9], s[0:1], 0x38
	v_mov_b32_e32 v1, 0
	s_delay_alu instid0(VALU_DEP_1) | instskip(SKIP_3) | instid1(VALU_DEP_1)
	v_sub_nc_u64_e64 v[10:11], v[0:1], s[4:5]
	s_wait_loadcnt 0x0
	v_ashrrev_i32_e32 v3, 31, v2
	s_wait_kmcnt 0x0
	v_lshl_add_u64 v[4:5], v[2:3], 3, s[8:9]
	global_load_b128 v[6:9], v[4:5], off
	s_wait_loadcnt 0x0
	v_sub_nc_u64_e64 v[4:5], v[8:9], s[4:5]
	v_add_nc_u64_e32 v[6:7], v[6:7], v[10:11]
	s_delay_alu instid0(VALU_DEP_1)
	v_cmpx_lt_i64_e64 v[6:7], v[4:5]
	s_cbranch_execz .LBB17_10
; %bb.7:
	s_clause 0x1
	s_load_b128 s[12:15], s[0:1], 0x40
	s_load_b64 s[8:9], s[0:1], 0x50
	v_lshlrev_b64_e32 v[10:11], 2, v[6:7]
	v_mov_b32_e32 v1, 0
	s_wait_kmcnt 0x0
	s_delay_alu instid0(VALU_DEP_2)
	v_add_nc_u64_e32 v[8:9], s[14:15], v[10:11]
	v_add_nc_u64_e32 v[10:11], s[12:13], v[10:11]
.LBB17_8:                               ; =>This Inner Loop Header: Depth=1
	global_load_b32 v12, v[10:11], off
	global_load_b32 v13, v[8:9], off
	v_add_nc_u64_e32 v[6:7], 64, v[6:7]
	s_wait_xcnt 0x0
	v_add_nc_u64_e32 v[8:9], 0x100, v[8:9]
	v_add_nc_u64_e32 v[10:11], 0x100, v[10:11]
	s_delay_alu instid0(VALU_DEP_3)
	v_cmp_ge_i64_e32 vcc_lo, v[6:7], v[4:5]
	s_or_b32 s5, vcc_lo, s5
	s_wait_loadcnt 0x1
	v_subrev_nc_u32_e32 v12, s4, v12
	s_wait_loadcnt 0x0
	v_mul_f32_e32 v13, s6, v13
	global_load_b32 v12, v12, s[8:9] scale_offset
	s_wait_loadcnt 0x0
	v_fmac_f32_e32 v1, v13, v12
	s_and_not1_b32 exec_lo, exec_lo, s5
	s_cbranch_execnz .LBB17_8
; %bb.9:
	s_or_b32 exec_lo, exec_lo, s5
.LBB17_10:
	s_delay_alu instid0(SALU_CYCLE_1) | instskip(SKIP_2) | instid1(VALU_DEP_1)
	s_or_b32 exec_lo, exec_lo, s3
	v_mbcnt_lo_u32_b32 v4, -1, 0
	s_load_b64 s[0:1], s[0:1], 0x60
	v_xor_b32_e32 v6, 16, v4
	v_or_b32_e32 v5, 32, v4
	s_delay_alu instid0(VALU_DEP_1) | instskip(SKIP_1) | instid1(VALU_DEP_4)
	v_cmp_gt_i32_e32 vcc_lo, 32, v5
	v_cndmask_b32_e32 v5, v4, v5, vcc_lo
	v_cmp_gt_i32_e32 vcc_lo, 32, v6
	v_cndmask_b32_e32 v6, v4, v6, vcc_lo
	s_delay_alu instid0(VALU_DEP_1)
	v_dual_lshlrev_b32 v6, 2, v6 :: v_dual_lshlrev_b32 v5, 2, v5
	ds_bpermute_b32 v5, v5, v1
	s_wait_dscnt 0x0
	v_add_f32_e32 v1, v1, v5
	ds_bpermute_b32 v5, v6, v1
	v_xor_b32_e32 v6, 8, v4
	s_delay_alu instid0(VALU_DEP_1) | instskip(SKIP_2) | instid1(VALU_DEP_1)
	v_cmp_gt_i32_e32 vcc_lo, 32, v6
	s_wait_dscnt 0x0
	v_dual_cndmask_b32 v6, v4, v6 :: v_dual_add_f32 v1, v1, v5
	v_lshlrev_b32_e32 v6, 2, v6
	ds_bpermute_b32 v5, v6, v1
	s_wait_dscnt 0x0
	v_dual_add_f32 v1, v1, v5 :: v_dual_bitop2_b32 v6, 4, v4 bitop3:0x14
	s_delay_alu instid0(VALU_DEP_1) | instskip(SKIP_1) | instid1(VALU_DEP_1)
	v_cmp_gt_i32_e32 vcc_lo, 32, v6
	v_cndmask_b32_e32 v6, v4, v6, vcc_lo
	v_lshlrev_b32_e32 v6, 2, v6
	ds_bpermute_b32 v5, v6, v1
	v_xor_b32_e32 v6, 2, v4
	s_delay_alu instid0(VALU_DEP_1) | instskip(SKIP_2) | instid1(VALU_DEP_1)
	v_cmp_gt_i32_e32 vcc_lo, 32, v6
	v_cndmask_b32_e32 v6, v4, v6, vcc_lo
	s_wait_dscnt 0x0
	v_dual_add_f32 v1, v1, v5 :: v_dual_lshlrev_b32 v6, 2, v6
	ds_bpermute_b32 v5, v6, v1
	v_xor_b32_e32 v6, 1, v4
	s_delay_alu instid0(VALU_DEP_1) | instskip(SKIP_3) | instid1(VALU_DEP_2)
	v_cmp_gt_i32_e32 vcc_lo, 32, v6
	v_cndmask_b32_e32 v4, v4, v6, vcc_lo
	v_cmp_eq_u32_e32 vcc_lo, 63, v0
	s_wait_dscnt 0x0
	v_dual_add_f32 v1, v1, v5 :: v_dual_lshlrev_b32 v4, 2, v4
	ds_bpermute_b32 v4, v4, v1
	s_and_b32 exec_lo, exec_lo, vcc_lo
	s_cbranch_execz .LBB17_14
; %bb.11:
	s_wait_dscnt 0x0
	v_add_f32_e32 v4, v1, v4
	s_wait_kmcnt 0x0
	v_lshl_add_u64 v[0:1], v[2:3], 2, s[0:1]
	s_cmp_eq_f32 s2, 0
	s_cbranch_scc1 .LBB17_13
; %bb.12:
	global_load_b32 v2, v[0:1], off
	s_wait_loadcnt 0x0
	v_fmac_f32_e32 v4, s2, v2
.LBB17_13:
	global_store_b32 v[0:1], v4, off
.LBB17_14:
	s_endpgm
	.section	.rodata,"a",@progbits
	.p2align	6, 0x0
	.amdhsa_kernel _ZN9rocsparseL41csrmvn_lrb_medium_rows_warp_reduce_kernelILj256ELj64EliffffEEvbT1_lPT2_S3_jNS_24const_host_device_scalarIT6_EEPKS1_PKS2_PKT3_PKT4_S6_PT5_21rocsparse_index_base_b
		.amdhsa_group_segment_fixed_size 0
		.amdhsa_private_segment_fixed_size 0
		.amdhsa_kernarg_size 112
		.amdhsa_user_sgpr_count 2
		.amdhsa_user_sgpr_dispatch_ptr 0
		.amdhsa_user_sgpr_queue_ptr 0
		.amdhsa_user_sgpr_kernarg_segment_ptr 1
		.amdhsa_user_sgpr_dispatch_id 0
		.amdhsa_user_sgpr_kernarg_preload_length 0
		.amdhsa_user_sgpr_kernarg_preload_offset 0
		.amdhsa_user_sgpr_private_segment_size 0
		.amdhsa_wavefront_size32 1
		.amdhsa_uses_dynamic_stack 0
		.amdhsa_enable_private_segment 0
		.amdhsa_system_sgpr_workgroup_id_x 1
		.amdhsa_system_sgpr_workgroup_id_y 0
		.amdhsa_system_sgpr_workgroup_id_z 0
		.amdhsa_system_sgpr_workgroup_info 0
		.amdhsa_system_vgpr_workitem_id 0
		.amdhsa_next_free_vgpr 14
		.amdhsa_next_free_sgpr 16
		.amdhsa_named_barrier_count 0
		.amdhsa_reserve_vcc 1
		.amdhsa_float_round_mode_32 0
		.amdhsa_float_round_mode_16_64 0
		.amdhsa_float_denorm_mode_32 3
		.amdhsa_float_denorm_mode_16_64 3
		.amdhsa_fp16_overflow 0
		.amdhsa_memory_ordered 1
		.amdhsa_forward_progress 1
		.amdhsa_inst_pref_size 7
		.amdhsa_round_robin_scheduling 0
		.amdhsa_exception_fp_ieee_invalid_op 0
		.amdhsa_exception_fp_denorm_src 0
		.amdhsa_exception_fp_ieee_div_zero 0
		.amdhsa_exception_fp_ieee_overflow 0
		.amdhsa_exception_fp_ieee_underflow 0
		.amdhsa_exception_fp_ieee_inexact 0
		.amdhsa_exception_int_div_zero 0
	.end_amdhsa_kernel
	.section	.text._ZN9rocsparseL41csrmvn_lrb_medium_rows_warp_reduce_kernelILj256ELj64EliffffEEvbT1_lPT2_S3_jNS_24const_host_device_scalarIT6_EEPKS1_PKS2_PKT3_PKT4_S6_PT5_21rocsparse_index_base_b,"axG",@progbits,_ZN9rocsparseL41csrmvn_lrb_medium_rows_warp_reduce_kernelILj256ELj64EliffffEEvbT1_lPT2_S3_jNS_24const_host_device_scalarIT6_EEPKS1_PKS2_PKT3_PKT4_S6_PT5_21rocsparse_index_base_b,comdat
.Lfunc_end17:
	.size	_ZN9rocsparseL41csrmvn_lrb_medium_rows_warp_reduce_kernelILj256ELj64EliffffEEvbT1_lPT2_S3_jNS_24const_host_device_scalarIT6_EEPKS1_PKS2_PKT3_PKT4_S6_PT5_21rocsparse_index_base_b, .Lfunc_end17-_ZN9rocsparseL41csrmvn_lrb_medium_rows_warp_reduce_kernelILj256ELj64EliffffEEvbT1_lPT2_S3_jNS_24const_host_device_scalarIT6_EEPKS1_PKS2_PKT3_PKT4_S6_PT5_21rocsparse_index_base_b
                                        ; -- End function
	.set _ZN9rocsparseL41csrmvn_lrb_medium_rows_warp_reduce_kernelILj256ELj64EliffffEEvbT1_lPT2_S3_jNS_24const_host_device_scalarIT6_EEPKS1_PKS2_PKT3_PKT4_S6_PT5_21rocsparse_index_base_b.num_vgpr, 14
	.set _ZN9rocsparseL41csrmvn_lrb_medium_rows_warp_reduce_kernelILj256ELj64EliffffEEvbT1_lPT2_S3_jNS_24const_host_device_scalarIT6_EEPKS1_PKS2_PKT3_PKT4_S6_PT5_21rocsparse_index_base_b.num_agpr, 0
	.set _ZN9rocsparseL41csrmvn_lrb_medium_rows_warp_reduce_kernelILj256ELj64EliffffEEvbT1_lPT2_S3_jNS_24const_host_device_scalarIT6_EEPKS1_PKS2_PKT3_PKT4_S6_PT5_21rocsparse_index_base_b.numbered_sgpr, 16
	.set _ZN9rocsparseL41csrmvn_lrb_medium_rows_warp_reduce_kernelILj256ELj64EliffffEEvbT1_lPT2_S3_jNS_24const_host_device_scalarIT6_EEPKS1_PKS2_PKT3_PKT4_S6_PT5_21rocsparse_index_base_b.num_named_barrier, 0
	.set _ZN9rocsparseL41csrmvn_lrb_medium_rows_warp_reduce_kernelILj256ELj64EliffffEEvbT1_lPT2_S3_jNS_24const_host_device_scalarIT6_EEPKS1_PKS2_PKT3_PKT4_S6_PT5_21rocsparse_index_base_b.private_seg_size, 0
	.set _ZN9rocsparseL41csrmvn_lrb_medium_rows_warp_reduce_kernelILj256ELj64EliffffEEvbT1_lPT2_S3_jNS_24const_host_device_scalarIT6_EEPKS1_PKS2_PKT3_PKT4_S6_PT5_21rocsparse_index_base_b.uses_vcc, 1
	.set _ZN9rocsparseL41csrmvn_lrb_medium_rows_warp_reduce_kernelILj256ELj64EliffffEEvbT1_lPT2_S3_jNS_24const_host_device_scalarIT6_EEPKS1_PKS2_PKT3_PKT4_S6_PT5_21rocsparse_index_base_b.uses_flat_scratch, 0
	.set _ZN9rocsparseL41csrmvn_lrb_medium_rows_warp_reduce_kernelILj256ELj64EliffffEEvbT1_lPT2_S3_jNS_24const_host_device_scalarIT6_EEPKS1_PKS2_PKT3_PKT4_S6_PT5_21rocsparse_index_base_b.has_dyn_sized_stack, 0
	.set _ZN9rocsparseL41csrmvn_lrb_medium_rows_warp_reduce_kernelILj256ELj64EliffffEEvbT1_lPT2_S3_jNS_24const_host_device_scalarIT6_EEPKS1_PKS2_PKT3_PKT4_S6_PT5_21rocsparse_index_base_b.has_recursion, 0
	.set _ZN9rocsparseL41csrmvn_lrb_medium_rows_warp_reduce_kernelILj256ELj64EliffffEEvbT1_lPT2_S3_jNS_24const_host_device_scalarIT6_EEPKS1_PKS2_PKT3_PKT4_S6_PT5_21rocsparse_index_base_b.has_indirect_call, 0
	.section	.AMDGPU.csdata,"",@progbits
; Kernel info:
; codeLenInByte = 828
; TotalNumSgprs: 18
; NumVgprs: 14
; ScratchSize: 0
; MemoryBound: 0
; FloatMode: 240
; IeeeMode: 1
; LDSByteSize: 0 bytes/workgroup (compile time only)
; SGPRBlocks: 0
; VGPRBlocks: 0
; NumSGPRsForWavesPerEU: 18
; NumVGPRsForWavesPerEU: 14
; NamedBarCnt: 0
; Occupancy: 16
; WaveLimiterHint : 1
; COMPUTE_PGM_RSRC2:SCRATCH_EN: 0
; COMPUTE_PGM_RSRC2:USER_SGPR: 2
; COMPUTE_PGM_RSRC2:TRAP_HANDLER: 0
; COMPUTE_PGM_RSRC2:TGID_X_EN: 1
; COMPUTE_PGM_RSRC2:TGID_Y_EN: 0
; COMPUTE_PGM_RSRC2:TGID_Z_EN: 0
; COMPUTE_PGM_RSRC2:TIDIG_COMP_CNT: 0
	.section	.text._ZN9rocsparseL29csrmvn_lrb_medium_rows_kernelILj256EliffffEEvbT0_PT1_S3_jNS_24const_host_device_scalarIT5_EEPKS1_PKS2_PKT2_PKT3_S6_PT4_21rocsparse_index_base_b,"axG",@progbits,_ZN9rocsparseL29csrmvn_lrb_medium_rows_kernelILj256EliffffEEvbT0_PT1_S3_jNS_24const_host_device_scalarIT5_EEPKS1_PKS2_PKT2_PKT3_S6_PT4_21rocsparse_index_base_b,comdat
	.globl	_ZN9rocsparseL29csrmvn_lrb_medium_rows_kernelILj256EliffffEEvbT0_PT1_S3_jNS_24const_host_device_scalarIT5_EEPKS1_PKS2_PKT2_PKT3_S6_PT4_21rocsparse_index_base_b ; -- Begin function _ZN9rocsparseL29csrmvn_lrb_medium_rows_kernelILj256EliffffEEvbT0_PT1_S3_jNS_24const_host_device_scalarIT5_EEPKS1_PKS2_PKT2_PKT3_S6_PT4_21rocsparse_index_base_b
	.p2align	8
	.type	_ZN9rocsparseL29csrmvn_lrb_medium_rows_kernelILj256EliffffEEvbT0_PT1_S3_jNS_24const_host_device_scalarIT5_EEPKS1_PKS2_PKT2_PKT3_S6_PT4_21rocsparse_index_base_b,@function
_ZN9rocsparseL29csrmvn_lrb_medium_rows_kernelILj256EliffffEEvbT0_PT1_S3_jNS_24const_host_device_scalarIT5_EEPKS1_PKS2_PKT2_PKT3_S6_PT4_21rocsparse_index_base_b: ; @_ZN9rocsparseL29csrmvn_lrb_medium_rows_kernelILj256EliffffEEvbT0_PT1_S3_jNS_24const_host_device_scalarIT5_EEPKS1_PKS2_PKT2_PKT3_S6_PT4_21rocsparse_index_base_b
; %bb.0:
	s_clause 0x2
	s_load_b64 s[6:7], s[0:1], 0x60
	s_load_b64 s[8:9], s[0:1], 0x28
	;; [unrolled: 1-line block ×3, first 2 shown]
	s_wait_kmcnt 0x0
	s_bitcmp1_b32 s7, 0
	s_cselect_b32 s4, -1, 0
	s_delay_alu instid0(SALU_CYCLE_1)
	s_and_b32 vcc_lo, exec_lo, s4
	s_xor_b32 s4, s4, -1
	s_cbranch_vccnz .LBB18_2
; %bb.1:
	s_load_b32 s8, s[8:9], 0x0
.LBB18_2:
	s_and_not1_b32 vcc_lo, exec_lo, s4
	s_cbranch_vccnz .LBB18_4
; %bb.3:
	s_load_b32 s2, s[2:3], 0x0
.LBB18_4:
	s_wait_kmcnt 0x0
	s_cmp_neq_f32 s8, 0
	s_mov_b32 s7, 0
	s_cselect_b32 s3, -1, 0
	s_cmp_neq_f32 s2, 1.0
	s_cselect_b32 s4, -1, 0
	s_delay_alu instid0(SALU_CYCLE_1) | instskip(NEXT) | instid1(SALU_CYCLE_1)
	s_or_b32 s3, s3, s4
	s_and_not1_b32 vcc_lo, exec_lo, s3
	s_cbranch_vccnz .LBB18_29
; %bb.5:
	s_clause 0x1
	s_load_b128 s[12:15], s[0:1], 0x10
	s_load_b32 s3, s[0:1], 0x20
	s_bfe_u32 s4, ttmp6, 0x4000c
	s_and_b32 s5, ttmp6, 15
	s_add_co_i32 s4, s4, 1
	s_getreg_b32 s9, hwreg(HW_REG_IB_STS2, 6, 4)
	s_mul_i32 s4, ttmp9, s4
	v_mov_b32_e32 v1, 0
	s_add_co_i32 s5, s5, s4
	s_cmp_eq_u32 s9, 0
	s_cselect_b32 s4, ttmp9, s5
	s_delay_alu instid0(VALU_DEP_1)
	v_sub_nc_u64_e64 v[2:3], v[0:1], s[6:7]
	s_wait_kmcnt 0x0
	s_load_b32 s3, s[14:15], s3 offset:0x0 scale_offset
	s_wait_kmcnt 0x0
	s_add_co_i32 s4, s3, s4
	s_mov_b32 s3, exec_lo
	s_ashr_i32 s5, s4, 31
	s_delay_alu instid0(SALU_CYCLE_1) | instskip(NEXT) | instid1(SALU_CYCLE_1)
	s_lshl_b64 s[4:5], s[4:5], 2
	s_add_nc_u64 s[10:11], s[12:13], s[4:5]
	s_load_b32 s4, s[10:11], 0x0
	s_load_b64 s[12:13], s[0:1], 0x30
	s_wait_kmcnt 0x0
	s_ashr_i32 s5, s4, 31
	s_delay_alu instid0(SALU_CYCLE_1) | instskip(NEXT) | instid1(SALU_CYCLE_1)
	s_lshl_b64 s[10:11], s[4:5], 3
	s_add_nc_u64 s[10:11], s[12:13], s[10:11]
	s_load_b128 s[12:15], s[10:11], 0x0
	s_wait_kmcnt 0x0
	v_add_nc_u64_e32 v[2:3], s[12:13], v[2:3]
	s_sub_nc_u64 s[10:11], s[14:15], s[6:7]
	s_delay_alu instid0(VALU_DEP_1) | instid1(SALU_CYCLE_1)
	v_cmpx_gt_i64_e64 s[10:11], v[2:3]
	s_cbranch_execz .LBB18_9
; %bb.6:
	s_clause 0x1
	s_load_b128 s[16:19], s[0:1], 0x38
	s_load_b64 s[12:13], s[0:1], 0x48
	v_lshlrev_b64_e32 v[6:7], 2, v[2:3]
	v_mov_b32_e32 v1, 0
	s_wait_kmcnt 0x0
	s_delay_alu instid0(VALU_DEP_2)
	v_add_nc_u64_e32 v[4:5], s[18:19], v[6:7]
	v_add_nc_u64_e32 v[6:7], s[16:17], v[6:7]
.LBB18_7:                               ; =>This Inner Loop Header: Depth=1
	global_load_b32 v8, v[6:7], off
	global_load_b32 v9, v[4:5], off
	v_add_nc_u64_e32 v[2:3], 0x100, v[2:3]
	s_wait_xcnt 0x0
	v_add_nc_u64_e32 v[4:5], 0x400, v[4:5]
	v_add_nc_u64_e32 v[6:7], 0x400, v[6:7]
	s_delay_alu instid0(VALU_DEP_3)
	v_cmp_le_i64_e32 vcc_lo, s[10:11], v[2:3]
	s_or_b32 s7, vcc_lo, s7
	s_wait_loadcnt 0x1
	v_subrev_nc_u32_e32 v8, s6, v8
	s_wait_loadcnt 0x0
	v_mul_f32_e32 v9, s8, v9
	global_load_b32 v8, v8, s[12:13] scale_offset
	s_wait_loadcnt 0x0
	v_fmac_f32_e32 v1, v9, v8
	s_and_not1_b32 exec_lo, exec_lo, s7
	s_cbranch_execnz .LBB18_7
; %bb.8:
	s_or_b32 exec_lo, exec_lo, s7
.LBB18_9:
	s_delay_alu instid0(SALU_CYCLE_1)
	s_or_b32 exec_lo, exec_lo, s3
	s_load_b64 s[0:1], s[0:1], 0x58
	v_lshlrev_b32_e32 v2, 2, v0
	s_mov_b32 s3, exec_lo
	ds_store_b32 v2, v1
	s_wait_dscnt 0x0
	s_barrier_signal -1
	s_barrier_wait -1
	v_cmpx_gt_u32_e32 0x80, v0
	s_cbranch_execz .LBB18_11
; %bb.10:
	ds_load_2addr_stride64_b32 v[4:5], v2 offset1:2
	s_wait_dscnt 0x0
	v_add_f32_e32 v1, v4, v5
	ds_store_b32 v2, v1
.LBB18_11:
	s_or_b32 exec_lo, exec_lo, s3
	s_delay_alu instid0(SALU_CYCLE_1)
	s_mov_b32 s3, exec_lo
	s_wait_dscnt 0x0
	s_barrier_signal -1
	s_barrier_wait -1
	v_cmpx_gt_u32_e32 64, v0
	s_cbranch_execz .LBB18_13
; %bb.12:
	ds_load_2addr_stride64_b32 v[4:5], v2 offset1:1
	s_wait_dscnt 0x0
	v_add_f32_e32 v1, v4, v5
	ds_store_b32 v2, v1
.LBB18_13:
	s_or_b32 exec_lo, exec_lo, s3
	s_delay_alu instid0(SALU_CYCLE_1)
	s_mov_b32 s3, exec_lo
	s_wait_dscnt 0x0
	s_barrier_signal -1
	s_barrier_wait -1
	v_cmpx_gt_u32_e32 32, v0
	s_cbranch_execz .LBB18_15
; %bb.14:
	ds_load_2addr_b32 v[4:5], v2 offset1:32
	s_wait_dscnt 0x0
	v_add_f32_e32 v1, v4, v5
	ds_store_b32 v2, v1
.LBB18_15:
	s_or_b32 exec_lo, exec_lo, s3
	s_delay_alu instid0(SALU_CYCLE_1)
	s_mov_b32 s3, exec_lo
	s_wait_dscnt 0x0
	s_barrier_signal -1
	s_barrier_wait -1
	v_cmpx_gt_u32_e32 16, v0
	s_cbranch_execz .LBB18_17
; %bb.16:
	ds_load_2addr_b32 v[4:5], v2 offset1:16
	s_wait_dscnt 0x0
	v_add_f32_e32 v1, v4, v5
	ds_store_b32 v2, v1
.LBB18_17:
	;; [unrolled: 14-line block ×5, first 2 shown]
	s_or_b32 exec_lo, exec_lo, s3
	v_cmp_eq_u32_e32 vcc_lo, 0, v0
	s_wait_dscnt 0x0
	s_barrier_signal -1
	s_barrier_wait -1
	s_and_saveexec_b32 s3, vcc_lo
	s_cbranch_execz .LBB18_25
; %bb.24:
	v_mov_b32_e32 v2, 0
	ds_load_b64 v[0:1], v2
	s_wait_dscnt 0x0
	v_add_f32_e32 v0, v0, v1
	ds_store_b32 v2, v0
.LBB18_25:
	s_or_b32 exec_lo, exec_lo, s3
	s_wait_dscnt 0x0
	s_barrier_signal -1
	s_barrier_wait -1
	s_and_saveexec_b32 s3, vcc_lo
	s_cbranch_execz .LBB18_29
; %bb.26:
	v_mov_b32_e32 v0, 0
	s_cmp_eq_f32 s2, 0
	ds_load_b32 v1, v0
	s_cbranch_scc1 .LBB18_28
; %bb.27:
	s_lshl_b64 s[6:7], s[4:5], 2
	s_wait_kmcnt 0x0
	s_add_nc_u64 s[6:7], s[0:1], s[6:7]
	s_load_b32 s3, s[6:7], 0x0
	s_wait_dscnt 0x0
	s_wait_kmcnt 0x0
	v_fmac_f32_e64 v1, s2, s3
.LBB18_28:
	s_lshl_b64 s[2:3], s[4:5], 2
	s_wait_kmcnt 0x0
	s_add_nc_u64 s[0:1], s[0:1], s[2:3]
	s_wait_dscnt 0x0
	global_store_b32 v0, v1, s[0:1]
.LBB18_29:
	s_endpgm
	.section	.rodata,"a",@progbits
	.p2align	6, 0x0
	.amdhsa_kernel _ZN9rocsparseL29csrmvn_lrb_medium_rows_kernelILj256EliffffEEvbT0_PT1_S3_jNS_24const_host_device_scalarIT5_EEPKS1_PKS2_PKT2_PKT3_S6_PT4_21rocsparse_index_base_b
		.amdhsa_group_segment_fixed_size 1024
		.amdhsa_private_segment_fixed_size 0
		.amdhsa_kernarg_size 104
		.amdhsa_user_sgpr_count 2
		.amdhsa_user_sgpr_dispatch_ptr 0
		.amdhsa_user_sgpr_queue_ptr 0
		.amdhsa_user_sgpr_kernarg_segment_ptr 1
		.amdhsa_user_sgpr_dispatch_id 0
		.amdhsa_user_sgpr_kernarg_preload_length 0
		.amdhsa_user_sgpr_kernarg_preload_offset 0
		.amdhsa_user_sgpr_private_segment_size 0
		.amdhsa_wavefront_size32 1
		.amdhsa_uses_dynamic_stack 0
		.amdhsa_enable_private_segment 0
		.amdhsa_system_sgpr_workgroup_id_x 1
		.amdhsa_system_sgpr_workgroup_id_y 0
		.amdhsa_system_sgpr_workgroup_id_z 0
		.amdhsa_system_sgpr_workgroup_info 0
		.amdhsa_system_vgpr_workitem_id 0
		.amdhsa_next_free_vgpr 10
		.amdhsa_next_free_sgpr 20
		.amdhsa_named_barrier_count 0
		.amdhsa_reserve_vcc 1
		.amdhsa_float_round_mode_32 0
		.amdhsa_float_round_mode_16_64 0
		.amdhsa_float_denorm_mode_32 3
		.amdhsa_float_denorm_mode_16_64 3
		.amdhsa_fp16_overflow 0
		.amdhsa_memory_ordered 1
		.amdhsa_forward_progress 1
		.amdhsa_inst_pref_size 9
		.amdhsa_round_robin_scheduling 0
		.amdhsa_exception_fp_ieee_invalid_op 0
		.amdhsa_exception_fp_denorm_src 0
		.amdhsa_exception_fp_ieee_div_zero 0
		.amdhsa_exception_fp_ieee_overflow 0
		.amdhsa_exception_fp_ieee_underflow 0
		.amdhsa_exception_fp_ieee_inexact 0
		.amdhsa_exception_int_div_zero 0
	.end_amdhsa_kernel
	.section	.text._ZN9rocsparseL29csrmvn_lrb_medium_rows_kernelILj256EliffffEEvbT0_PT1_S3_jNS_24const_host_device_scalarIT5_EEPKS1_PKS2_PKT2_PKT3_S6_PT4_21rocsparse_index_base_b,"axG",@progbits,_ZN9rocsparseL29csrmvn_lrb_medium_rows_kernelILj256EliffffEEvbT0_PT1_S3_jNS_24const_host_device_scalarIT5_EEPKS1_PKS2_PKT2_PKT3_S6_PT4_21rocsparse_index_base_b,comdat
.Lfunc_end18:
	.size	_ZN9rocsparseL29csrmvn_lrb_medium_rows_kernelILj256EliffffEEvbT0_PT1_S3_jNS_24const_host_device_scalarIT5_EEPKS1_PKS2_PKT2_PKT3_S6_PT4_21rocsparse_index_base_b, .Lfunc_end18-_ZN9rocsparseL29csrmvn_lrb_medium_rows_kernelILj256EliffffEEvbT0_PT1_S3_jNS_24const_host_device_scalarIT5_EEPKS1_PKS2_PKT2_PKT3_S6_PT4_21rocsparse_index_base_b
                                        ; -- End function
	.set _ZN9rocsparseL29csrmvn_lrb_medium_rows_kernelILj256EliffffEEvbT0_PT1_S3_jNS_24const_host_device_scalarIT5_EEPKS1_PKS2_PKT2_PKT3_S6_PT4_21rocsparse_index_base_b.num_vgpr, 10
	.set _ZN9rocsparseL29csrmvn_lrb_medium_rows_kernelILj256EliffffEEvbT0_PT1_S3_jNS_24const_host_device_scalarIT5_EEPKS1_PKS2_PKT2_PKT3_S6_PT4_21rocsparse_index_base_b.num_agpr, 0
	.set _ZN9rocsparseL29csrmvn_lrb_medium_rows_kernelILj256EliffffEEvbT0_PT1_S3_jNS_24const_host_device_scalarIT5_EEPKS1_PKS2_PKT2_PKT3_S6_PT4_21rocsparse_index_base_b.numbered_sgpr, 20
	.set _ZN9rocsparseL29csrmvn_lrb_medium_rows_kernelILj256EliffffEEvbT0_PT1_S3_jNS_24const_host_device_scalarIT5_EEPKS1_PKS2_PKT2_PKT3_S6_PT4_21rocsparse_index_base_b.num_named_barrier, 0
	.set _ZN9rocsparseL29csrmvn_lrb_medium_rows_kernelILj256EliffffEEvbT0_PT1_S3_jNS_24const_host_device_scalarIT5_EEPKS1_PKS2_PKT2_PKT3_S6_PT4_21rocsparse_index_base_b.private_seg_size, 0
	.set _ZN9rocsparseL29csrmvn_lrb_medium_rows_kernelILj256EliffffEEvbT0_PT1_S3_jNS_24const_host_device_scalarIT5_EEPKS1_PKS2_PKT2_PKT3_S6_PT4_21rocsparse_index_base_b.uses_vcc, 1
	.set _ZN9rocsparseL29csrmvn_lrb_medium_rows_kernelILj256EliffffEEvbT0_PT1_S3_jNS_24const_host_device_scalarIT5_EEPKS1_PKS2_PKT2_PKT3_S6_PT4_21rocsparse_index_base_b.uses_flat_scratch, 0
	.set _ZN9rocsparseL29csrmvn_lrb_medium_rows_kernelILj256EliffffEEvbT0_PT1_S3_jNS_24const_host_device_scalarIT5_EEPKS1_PKS2_PKT2_PKT3_S6_PT4_21rocsparse_index_base_b.has_dyn_sized_stack, 0
	.set _ZN9rocsparseL29csrmvn_lrb_medium_rows_kernelILj256EliffffEEvbT0_PT1_S3_jNS_24const_host_device_scalarIT5_EEPKS1_PKS2_PKT2_PKT3_S6_PT4_21rocsparse_index_base_b.has_recursion, 0
	.set _ZN9rocsparseL29csrmvn_lrb_medium_rows_kernelILj256EliffffEEvbT0_PT1_S3_jNS_24const_host_device_scalarIT5_EEPKS1_PKS2_PKT2_PKT3_S6_PT4_21rocsparse_index_base_b.has_indirect_call, 0
	.section	.AMDGPU.csdata,"",@progbits
; Kernel info:
; codeLenInByte = 1044
; TotalNumSgprs: 22
; NumVgprs: 10
; ScratchSize: 0
; MemoryBound: 0
; FloatMode: 240
; IeeeMode: 1
; LDSByteSize: 1024 bytes/workgroup (compile time only)
; SGPRBlocks: 0
; VGPRBlocks: 0
; NumSGPRsForWavesPerEU: 22
; NumVGPRsForWavesPerEU: 10
; NamedBarCnt: 0
; Occupancy: 16
; WaveLimiterHint : 1
; COMPUTE_PGM_RSRC2:SCRATCH_EN: 0
; COMPUTE_PGM_RSRC2:USER_SGPR: 2
; COMPUTE_PGM_RSRC2:TRAP_HANDLER: 0
; COMPUTE_PGM_RSRC2:TGID_X_EN: 1
; COMPUTE_PGM_RSRC2:TGID_Y_EN: 0
; COMPUTE_PGM_RSRC2:TGID_Z_EN: 0
; COMPUTE_PGM_RSRC2:TIDIG_COMP_CNT: 0
	.section	.text._ZN9rocsparseL27csrmvn_lrb_long_rows_kernelIliffffEEvbT_PjPT0_S4_jNS_24const_host_device_scalarIT4_EEPKS1_PKS3_PKT1_PKT2_S7_PT3_21rocsparse_index_base_b,"axG",@progbits,_ZN9rocsparseL27csrmvn_lrb_long_rows_kernelIliffffEEvbT_PjPT0_S4_jNS_24const_host_device_scalarIT4_EEPKS1_PKS3_PKT1_PKT2_S7_PT3_21rocsparse_index_base_b,comdat
	.globl	_ZN9rocsparseL27csrmvn_lrb_long_rows_kernelIliffffEEvbT_PjPT0_S4_jNS_24const_host_device_scalarIT4_EEPKS1_PKS3_PKT1_PKT2_S7_PT3_21rocsparse_index_base_b ; -- Begin function _ZN9rocsparseL27csrmvn_lrb_long_rows_kernelIliffffEEvbT_PjPT0_S4_jNS_24const_host_device_scalarIT4_EEPKS1_PKS3_PKT1_PKT2_S7_PT3_21rocsparse_index_base_b
	.p2align	8
	.type	_ZN9rocsparseL27csrmvn_lrb_long_rows_kernelIliffffEEvbT_PjPT0_S4_jNS_24const_host_device_scalarIT4_EEPKS1_PKS3_PKT1_PKT2_S7_PT3_21rocsparse_index_base_b,@function
_ZN9rocsparseL27csrmvn_lrb_long_rows_kernelIliffffEEvbT_PjPT0_S4_jNS_24const_host_device_scalarIT4_EEPKS1_PKS3_PKT1_PKT2_S7_PT3_21rocsparse_index_base_b: ; @_ZN9rocsparseL27csrmvn_lrb_long_rows_kernelIliffffEEvbT_PjPT0_S4_jNS_24const_host_device_scalarIT4_EEPKS1_PKS3_PKT1_PKT2_S7_PT3_21rocsparse_index_base_b
; %bb.0:
	s_clause 0x2
	s_load_b64 s[16:17], s[0:1], 0x68
	s_load_b64 s[18:19], s[0:1], 0x30
	s_load_b64 s[20:21], s[0:1], 0x58
	s_wait_kmcnt 0x0
	s_bitcmp1_b32 s17, 0
	s_cselect_b32 s2, -1, 0
	s_delay_alu instid0(SALU_CYCLE_1)
	s_and_b32 vcc_lo, exec_lo, s2
	s_xor_b32 s2, s2, -1
	s_cbranch_vccnz .LBB19_2
; %bb.1:
	s_load_b32 s18, s[18:19], 0x0
.LBB19_2:
	s_and_not1_b32 vcc_lo, exec_lo, s2
	s_cbranch_vccnz .LBB19_4
; %bb.3:
	s_load_b32 s20, s[20:21], 0x0
.LBB19_4:
	s_wait_kmcnt 0x0
	s_cmp_neq_f32 s18, 0
	s_cselect_b32 s2, -1, 0
	s_cmp_neq_f32 s20, 1.0
	s_cselect_b32 s3, -1, 0
	s_delay_alu instid0(SALU_CYCLE_1) | instskip(NEXT) | instid1(SALU_CYCLE_1)
	s_or_b32 s2, s2, s3
	s_and_not1_b32 vcc_lo, exec_lo, s2
	s_cbranch_vccnz .LBB19_38
; %bb.5:
	s_load_b96 s[4:6], s[0:1], 0x20
	s_bfe_u32 s8, ttmp6, 0x4000c
	s_and_b32 s7, ttmp6, 15
	s_add_co_i32 s8, s8, 1
	s_getreg_b32 s9, hwreg(HW_REG_IB_STS2, 6, 4)
	s_mul_i32 s8, ttmp9, s8
	v_mov_b32_e32 v10, 0
	s_add_co_i32 s7, s7, s8
	s_wait_kmcnt 0x0
	s_lshl_b32 s2, -1, s6
	s_load_b32 s8, s[4:5], s6 offset:0x0 scale_offset
	s_not_b32 s2, s2
	s_delay_alu instid0(SALU_CYCLE_1) | instskip(NEXT) | instid1(SALU_CYCLE_1)
	s_mul_hi_u32 s2, s2, 0x2aaaaaab
	s_lshr_b32 s2, s2, 7
	s_delay_alu instid0(SALU_CYCLE_1) | instskip(SKIP_2) | instid1(SALU_CYCLE_3)
	s_add_co_i32 s17, s2, 1
	s_not_b32 s2, s2
	s_cvt_f32_u32 s3, s17
	v_rcp_iflag_f32_e32 v1, s3
	v_nop
	s_delay_alu instid0(TRANS32_DEP_1) | instskip(SKIP_1) | instid1(SALU_CYCLE_3)
	v_readfirstlane_b32 s3, v1
	s_mul_f32 s3, s3, 0x4f7ffffe
	s_cvt_u32_f32 s3, s3
	s_delay_alu instid0(SALU_CYCLE_3) | instskip(NEXT) | instid1(SALU_CYCLE_1)
	s_mul_i32 s2, s2, s3
	s_mul_hi_u32 s2, s3, s2
	s_delay_alu instid0(SALU_CYCLE_1)
	s_add_co_i32 s3, s3, s2
	s_cmp_eq_u32 s9, 0
	s_cselect_b32 s22, ttmp9, s7
	s_wait_xcnt 0x0
	s_load_b128 s[4:7], s[0:1], 0x10
	s_mul_hi_u32 s2, s22, s3
	s_delay_alu instid0(SALU_CYCLE_1) | instskip(SKIP_2) | instid1(SALU_CYCLE_1)
	s_mul_i32 s3, s2, s17
	s_add_co_i32 s9, s2, 1
	s_sub_co_i32 s3, s22, s3
	s_sub_co_i32 s10, s3, s17
	s_cmp_ge_u32 s3, s17
	s_cselect_b32 s2, s9, s2
	s_cselect_b32 s3, s10, s3
	s_add_co_i32 s9, s2, 1
	s_cmp_ge_u32 s3, s17
	s_cselect_b32 s21, s9, s2
	s_ashr_i32 s23, s22, 31
	s_wait_kmcnt 0x0
	s_add_co_i32 s2, s21, s8
	s_lshl_b64 s[12:13], s[22:23], 2
	s_ashr_i32 s3, s2, 31
	s_add_nc_u64 s[12:13], s[4:5], s[12:13]
	s_lshl_b64 s[2:3], s[2:3], 2
	s_delay_alu instid0(SALU_CYCLE_1)
	s_add_nc_u64 s[8:9], s[6:7], s[2:3]
	s_load_b32 s2, s[8:9], 0x0
	s_clause 0x1
	s_load_b64 s[10:11], s[0:1], 0x38
	s_load_b64 s[6:7], s[0:1], 0x60
	s_wait_kmcnt 0x0
	s_ashr_i32 s3, s2, 31
	s_delay_alu instid0(SALU_CYCLE_1) | instskip(NEXT) | instid1(SALU_CYCLE_1)
	s_lshl_b64 s[8:9], s[2:3], 3
	s_add_nc_u64 s[14:15], s[10:11], s[8:9]
	s_load_b128 s[8:11], s[14:15], 0x0
	s_load_b32 s19, s[12:13], 0x0
	s_wait_xcnt 0x0
	s_mul_i32 s14, s21, s17
	s_delay_alu instid0(SALU_CYCLE_1) | instskip(NEXT) | instid1(SALU_CYCLE_1)
	s_sub_co_i32 s15, s22, s14
	v_or_b32_e32 v1, s15, v0
	s_delay_alu instid0(VALU_DEP_1)
	v_cmp_eq_u32_e32 vcc_lo, 0, v1
	v_mov_b32_e32 v1, 0
	s_and_saveexec_b32 s17, vcc_lo
	s_cbranch_execz .LBB19_9
; %bb.6:
	s_lshl_b64 s[22:23], s[2:3], 2
	s_add_f32 s20, s20, -1.0
	s_add_nc_u64 s[22:23], s[6:7], s[22:23]
	s_mov_b32 s21, exec_lo
	s_load_b32 s22, s[22:23], 0x0
	v_mbcnt_lo_u32_b32 v2, s21, 0
	global_wb scope:SCOPE_DEV
	s_wait_storecnt 0x0
	global_inv scope:SCOPE_DEV
	s_wait_kmcnt 0x0
	s_mul_f32 s20, s20, s22
	s_mov_b32 s22, exec_lo
	v_cmpx_eq_u32_e32 0, v2
	s_cbranch_execz .LBB19_8
; %bb.7:
	s_bcnt1_i32_b32 s21, s21
	s_delay_alu instid0(SALU_CYCLE_1) | instskip(NEXT) | instid1(SALU_CYCLE_1)
	s_and_b32 s21, s21, 1
	v_dual_mov_b32 v2, s14 :: v_dual_mov_b32 v3, s21
	global_atomic_xor_b32 v2, v3, s[4:5] scale_offset scope:SCOPE_DEV
.LBB19_8:
	s_wait_xcnt 0x0
	s_or_b32 exec_lo, exec_lo, s22
	v_mov_b32_e32 v10, s20
.LBB19_9:
	s_or_b32 exec_lo, exec_lo, s17
	s_mov_b32 s21, 0
	s_mul_i32 s20, s15, 3
	s_mov_b32 s17, s21
	s_lshl_b64 s[22:23], s[20:21], 8
	s_wait_kmcnt 0x0
	s_sub_nc_u64 s[8:9], s[8:9], s[16:17]
	s_sub_nc_u64 s[10:11], s[10:11], s[16:17]
	s_add_nc_u64 s[8:9], s[8:9], s[22:23]
	s_delay_alu instid0(SALU_CYCLE_1) | instskip(SKIP_3) | instid1(VALU_DEP_1)
	s_add_nc_u64 s[22:23], s[8:9], 0x300
	v_add_nc_u64_e32 v[4:5], s[8:9], v[0:1]
	v_min_i64 v[2:3], s[22:23], s[10:11]
	s_mov_b32 s10, exec_lo
	v_cmpx_lt_i64_e64 v[4:5], v[2:3]
	s_cbranch_execz .LBB19_13
; %bb.10:
	s_clause 0x1
	s_load_b128 s[24:27], s[0:1], 0x40
	s_load_b64 s[8:9], s[0:1], 0x50
	v_lshlrev_b64_e32 v[8:9], 2, v[4:5]
	s_wait_kmcnt 0x0
	s_delay_alu instid0(VALU_DEP_1)
	v_add_nc_u64_e32 v[6:7], s[26:27], v[8:9]
	v_add_nc_u64_e32 v[8:9], s[24:25], v[8:9]
.LBB19_11:                              ; =>This Inner Loop Header: Depth=1
	global_load_b32 v1, v[8:9], off
	global_load_b32 v11, v[6:7], off
	v_add_nc_u64_e32 v[4:5], 0x100, v[4:5]
	s_wait_xcnt 0x0
	v_add_nc_u64_e32 v[6:7], 0x400, v[6:7]
	v_add_nc_u64_e32 v[8:9], 0x400, v[8:9]
	s_delay_alu instid0(VALU_DEP_3)
	v_cmp_ge_i64_e32 vcc_lo, v[4:5], v[2:3]
	s_or_b32 s21, vcc_lo, s21
	s_wait_loadcnt 0x1
	v_subrev_nc_u32_e32 v1, s16, v1
	s_wait_loadcnt 0x0
	v_mul_f32_e32 v11, s18, v11
	global_load_b32 v1, v1, s[8:9] scale_offset
	s_wait_loadcnt 0x0
	v_fmac_f32_e32 v10, v11, v1
	s_wait_xcnt 0x0
	s_and_not1_b32 exec_lo, exec_lo, s21
	s_cbranch_execnz .LBB19_11
; %bb.12:
	s_or_b32 exec_lo, exec_lo, s21
.LBB19_13:
	s_delay_alu instid0(SALU_CYCLE_1)
	s_or_b32 exec_lo, exec_lo, s10
	v_lshlrev_b32_e32 v1, 2, v0
	s_mov_b32 s0, exec_lo
	ds_store_b32 v1, v10
	s_wait_storecnt 0x0
	s_wait_loadcnt_dscnt 0x0
	s_barrier_signal -1
	s_barrier_wait -1
	v_cmpx_gt_u32_e32 0x80, v0
	s_cbranch_execz .LBB19_15
; %bb.14:
	ds_load_2addr_stride64_b32 v[2:3], v1 offset1:2
	s_wait_dscnt 0x0
	v_add_f32_e32 v2, v2, v3
	ds_store_b32 v1, v2
.LBB19_15:
	s_or_b32 exec_lo, exec_lo, s0
	s_delay_alu instid0(SALU_CYCLE_1)
	s_mov_b32 s0, exec_lo
	s_wait_dscnt 0x0
	s_barrier_signal -1
	s_barrier_wait -1
	v_cmpx_gt_u32_e32 64, v0
	s_cbranch_execz .LBB19_17
; %bb.16:
	ds_load_2addr_stride64_b32 v[2:3], v1 offset1:1
	s_wait_dscnt 0x0
	v_add_f32_e32 v2, v2, v3
	ds_store_b32 v1, v2
.LBB19_17:
	s_or_b32 exec_lo, exec_lo, s0
	s_delay_alu instid0(SALU_CYCLE_1)
	s_mov_b32 s0, exec_lo
	s_wait_dscnt 0x0
	s_barrier_signal -1
	s_barrier_wait -1
	v_cmpx_gt_u32_e32 32, v0
	s_cbranch_execz .LBB19_19
; %bb.18:
	ds_load_2addr_b32 v[2:3], v1 offset1:32
	s_wait_dscnt 0x0
	v_add_f32_e32 v2, v2, v3
	ds_store_b32 v1, v2
.LBB19_19:
	s_or_b32 exec_lo, exec_lo, s0
	s_delay_alu instid0(SALU_CYCLE_1)
	s_mov_b32 s0, exec_lo
	s_wait_dscnt 0x0
	s_barrier_signal -1
	s_barrier_wait -1
	v_cmpx_gt_u32_e32 16, v0
	s_cbranch_execz .LBB19_21
; %bb.20:
	ds_load_2addr_b32 v[2:3], v1 offset1:16
	s_wait_dscnt 0x0
	v_add_f32_e32 v2, v2, v3
	ds_store_b32 v1, v2
.LBB19_21:
	;; [unrolled: 14-line block ×5, first 2 shown]
	s_or_b32 exec_lo, exec_lo, s0
	v_cmp_eq_u32_e32 vcc_lo, 0, v0
	s_wait_dscnt 0x0
	s_barrier_signal -1
	s_barrier_wait -1
	s_and_saveexec_b32 s0, vcc_lo
	s_cbranch_execz .LBB19_29
; %bb.28:
	v_mov_b32_e32 v2, 0
	ds_load_b64 v[0:1], v2
	s_wait_dscnt 0x0
	v_add_f32_e32 v0, v0, v1
	ds_store_b32 v2, v0
.LBB19_29:
	s_or_b32 exec_lo, exec_lo, s0
	s_wait_dscnt 0x0
	s_barrier_signal -1
	s_barrier_wait -1
	s_and_saveexec_b32 s0, vcc_lo
	s_cbranch_execz .LBB19_38
; %bb.30:
	s_cmp_eq_u32 s15, 0
	s_cbranch_scc1 .LBB19_36
; %bb.31:
	s_ashr_i32 s15, s14, 31
	v_mov_b32_e32 v0, 0
	s_lshl_b64 s[0:1], s[14:15], 2
	s_delay_alu instid0(SALU_CYCLE_1)
	s_add_nc_u64 s[0:1], s[4:5], s[0:1]
	s_branch .LBB19_33
.LBB19_32:                              ;   in Loop: Header=BB19_33 Depth=1
	s_wait_xcnt 0x0
	s_or_b32 exec_lo, exec_lo, s4
	s_wait_loadcnt 0x0
	v_readfirstlane_b32 s4, v1
	s_cmp_eq_u32 s4, s19
	s_cbranch_scc0 .LBB19_35
.LBB19_33:                              ; =>This Inner Loop Header: Depth=1
	v_mbcnt_lo_u32_b32 v1, exec_lo, 0
	s_delay_alu instid0(VALU_DEP_1)
	v_cmp_eq_u32_e32 vcc_lo, 0, v1
                                        ; implicit-def: $vgpr1
	s_and_saveexec_b32 s4, vcc_lo
	s_cbranch_execz .LBB19_32
; %bb.34:                               ;   in Loop: Header=BB19_33 Depth=1
	global_load_b32 v1, v0, s[0:1] scope:SCOPE_DEV
	s_branch .LBB19_32
.LBB19_35:
	v_mov_b32_e32 v0, 0
	global_load_u16 v1, v0, s[12:13]
	s_wait_loadcnt 0x0
	v_xor_b32_e32 v1, 1, v1
	global_store_b16 v0, v1, s[12:13]
.LBB19_36:
	s_mov_b32 s0, exec_lo
	s_wait_xcnt 0x0
	v_mbcnt_lo_u32_b32 v0, s0, 0
	s_delay_alu instid0(VALU_DEP_1) | instskip(SKIP_1) | instid1(SALU_CYCLE_1)
	v_cmp_eq_u32_e32 vcc_lo, 0, v0
	s_and_b32 s1, exec_lo, vcc_lo
	s_mov_b32 exec_lo, s1
	s_cbranch_execz .LBB19_38
; %bb.37:
	s_bcnt1_i32_b32 s0, s0
	s_delay_alu instid0(SALU_CYCLE_1) | instskip(SKIP_2) | instid1(SALU_CYCLE_1)
	v_cvt_f32_ubyte0_e32 v2, s0
	v_mov_b32_e32 v0, 0
	s_lshl_b64 s[0:1], s[2:3], 2
	s_add_nc_u64 s[0:1], s[6:7], s[0:1]
	ds_load_b32 v1, v0
	s_wait_dscnt 0x0
	v_mul_f32_e32 v1, v1, v2
	global_atomic_add_f32 v0, v1, s[0:1] scope:SCOPE_DEV
.LBB19_38:
	s_endpgm
	.section	.rodata,"a",@progbits
	.p2align	6, 0x0
	.amdhsa_kernel _ZN9rocsparseL27csrmvn_lrb_long_rows_kernelIliffffEEvbT_PjPT0_S4_jNS_24const_host_device_scalarIT4_EEPKS1_PKS3_PKT1_PKT2_S7_PT3_21rocsparse_index_base_b
		.amdhsa_group_segment_fixed_size 1024
		.amdhsa_private_segment_fixed_size 0
		.amdhsa_kernarg_size 112
		.amdhsa_user_sgpr_count 2
		.amdhsa_user_sgpr_dispatch_ptr 0
		.amdhsa_user_sgpr_queue_ptr 0
		.amdhsa_user_sgpr_kernarg_segment_ptr 1
		.amdhsa_user_sgpr_dispatch_id 0
		.amdhsa_user_sgpr_kernarg_preload_length 0
		.amdhsa_user_sgpr_kernarg_preload_offset 0
		.amdhsa_user_sgpr_private_segment_size 0
		.amdhsa_wavefront_size32 1
		.amdhsa_uses_dynamic_stack 0
		.amdhsa_enable_private_segment 0
		.amdhsa_system_sgpr_workgroup_id_x 1
		.amdhsa_system_sgpr_workgroup_id_y 0
		.amdhsa_system_sgpr_workgroup_id_z 0
		.amdhsa_system_sgpr_workgroup_info 0
		.amdhsa_system_vgpr_workitem_id 0
		.amdhsa_next_free_vgpr 12
		.amdhsa_next_free_sgpr 28
		.amdhsa_named_barrier_count 0
		.amdhsa_reserve_vcc 1
		.amdhsa_float_round_mode_32 0
		.amdhsa_float_round_mode_16_64 0
		.amdhsa_float_denorm_mode_32 3
		.amdhsa_float_denorm_mode_16_64 3
		.amdhsa_fp16_overflow 0
		.amdhsa_memory_ordered 1
		.amdhsa_forward_progress 1
		.amdhsa_inst_pref_size 12
		.amdhsa_round_robin_scheduling 0
		.amdhsa_exception_fp_ieee_invalid_op 0
		.amdhsa_exception_fp_denorm_src 0
		.amdhsa_exception_fp_ieee_div_zero 0
		.amdhsa_exception_fp_ieee_overflow 0
		.amdhsa_exception_fp_ieee_underflow 0
		.amdhsa_exception_fp_ieee_inexact 0
		.amdhsa_exception_int_div_zero 0
	.end_amdhsa_kernel
	.section	.text._ZN9rocsparseL27csrmvn_lrb_long_rows_kernelIliffffEEvbT_PjPT0_S4_jNS_24const_host_device_scalarIT4_EEPKS1_PKS3_PKT1_PKT2_S7_PT3_21rocsparse_index_base_b,"axG",@progbits,_ZN9rocsparseL27csrmvn_lrb_long_rows_kernelIliffffEEvbT_PjPT0_S4_jNS_24const_host_device_scalarIT4_EEPKS1_PKS3_PKT1_PKT2_S7_PT3_21rocsparse_index_base_b,comdat
.Lfunc_end19:
	.size	_ZN9rocsparseL27csrmvn_lrb_long_rows_kernelIliffffEEvbT_PjPT0_S4_jNS_24const_host_device_scalarIT4_EEPKS1_PKS3_PKT1_PKT2_S7_PT3_21rocsparse_index_base_b, .Lfunc_end19-_ZN9rocsparseL27csrmvn_lrb_long_rows_kernelIliffffEEvbT_PjPT0_S4_jNS_24const_host_device_scalarIT4_EEPKS1_PKS3_PKT1_PKT2_S7_PT3_21rocsparse_index_base_b
                                        ; -- End function
	.set _ZN9rocsparseL27csrmvn_lrb_long_rows_kernelIliffffEEvbT_PjPT0_S4_jNS_24const_host_device_scalarIT4_EEPKS1_PKS3_PKT1_PKT2_S7_PT3_21rocsparse_index_base_b.num_vgpr, 12
	.set _ZN9rocsparseL27csrmvn_lrb_long_rows_kernelIliffffEEvbT_PjPT0_S4_jNS_24const_host_device_scalarIT4_EEPKS1_PKS3_PKT1_PKT2_S7_PT3_21rocsparse_index_base_b.num_agpr, 0
	.set _ZN9rocsparseL27csrmvn_lrb_long_rows_kernelIliffffEEvbT_PjPT0_S4_jNS_24const_host_device_scalarIT4_EEPKS1_PKS3_PKT1_PKT2_S7_PT3_21rocsparse_index_base_b.numbered_sgpr, 28
	.set _ZN9rocsparseL27csrmvn_lrb_long_rows_kernelIliffffEEvbT_PjPT0_S4_jNS_24const_host_device_scalarIT4_EEPKS1_PKS3_PKT1_PKT2_S7_PT3_21rocsparse_index_base_b.num_named_barrier, 0
	.set _ZN9rocsparseL27csrmvn_lrb_long_rows_kernelIliffffEEvbT_PjPT0_S4_jNS_24const_host_device_scalarIT4_EEPKS1_PKS3_PKT1_PKT2_S7_PT3_21rocsparse_index_base_b.private_seg_size, 0
	.set _ZN9rocsparseL27csrmvn_lrb_long_rows_kernelIliffffEEvbT_PjPT0_S4_jNS_24const_host_device_scalarIT4_EEPKS1_PKS3_PKT1_PKT2_S7_PT3_21rocsparse_index_base_b.uses_vcc, 1
	.set _ZN9rocsparseL27csrmvn_lrb_long_rows_kernelIliffffEEvbT_PjPT0_S4_jNS_24const_host_device_scalarIT4_EEPKS1_PKS3_PKT1_PKT2_S7_PT3_21rocsparse_index_base_b.uses_flat_scratch, 0
	.set _ZN9rocsparseL27csrmvn_lrb_long_rows_kernelIliffffEEvbT_PjPT0_S4_jNS_24const_host_device_scalarIT4_EEPKS1_PKS3_PKT1_PKT2_S7_PT3_21rocsparse_index_base_b.has_dyn_sized_stack, 0
	.set _ZN9rocsparseL27csrmvn_lrb_long_rows_kernelIliffffEEvbT_PjPT0_S4_jNS_24const_host_device_scalarIT4_EEPKS1_PKS3_PKT1_PKT2_S7_PT3_21rocsparse_index_base_b.has_recursion, 0
	.set _ZN9rocsparseL27csrmvn_lrb_long_rows_kernelIliffffEEvbT_PjPT0_S4_jNS_24const_host_device_scalarIT4_EEPKS1_PKS3_PKT1_PKT2_S7_PT3_21rocsparse_index_base_b.has_indirect_call, 0
	.section	.AMDGPU.csdata,"",@progbits
; Kernel info:
; codeLenInByte = 1536
; TotalNumSgprs: 30
; NumVgprs: 12
; ScratchSize: 0
; MemoryBound: 0
; FloatMode: 240
; IeeeMode: 1
; LDSByteSize: 1024 bytes/workgroup (compile time only)
; SGPRBlocks: 0
; VGPRBlocks: 0
; NumSGPRsForWavesPerEU: 30
; NumVGPRsForWavesPerEU: 12
; NamedBarCnt: 0
; Occupancy: 16
; WaveLimiterHint : 1
; COMPUTE_PGM_RSRC2:SCRATCH_EN: 0
; COMPUTE_PGM_RSRC2:USER_SGPR: 2
; COMPUTE_PGM_RSRC2:TRAP_HANDLER: 0
; COMPUTE_PGM_RSRC2:TGID_X_EN: 1
; COMPUTE_PGM_RSRC2:TGID_Y_EN: 0
; COMPUTE_PGM_RSRC2:TGID_Z_EN: 0
; COMPUTE_PGM_RSRC2:TIDIG_COMP_CNT: 0
	.section	.text._ZN9rocsparseL28csrmvn_lrb_short_rows_kernelIllffffEEvbT_PT0_S3_jNS_24const_host_device_scalarIT4_EEPKS1_PKS2_PKT1_PKT2_S6_PT3_21rocsparse_index_base_b,"axG",@progbits,_ZN9rocsparseL28csrmvn_lrb_short_rows_kernelIllffffEEvbT_PT0_S3_jNS_24const_host_device_scalarIT4_EEPKS1_PKS2_PKT1_PKT2_S6_PT3_21rocsparse_index_base_b,comdat
	.globl	_ZN9rocsparseL28csrmvn_lrb_short_rows_kernelIllffffEEvbT_PT0_S3_jNS_24const_host_device_scalarIT4_EEPKS1_PKS2_PKT1_PKT2_S6_PT3_21rocsparse_index_base_b ; -- Begin function _ZN9rocsparseL28csrmvn_lrb_short_rows_kernelIllffffEEvbT_PT0_S3_jNS_24const_host_device_scalarIT4_EEPKS1_PKS2_PKT1_PKT2_S6_PT3_21rocsparse_index_base_b
	.p2align	8
	.type	_ZN9rocsparseL28csrmvn_lrb_short_rows_kernelIllffffEEvbT_PT0_S3_jNS_24const_host_device_scalarIT4_EEPKS1_PKS2_PKT1_PKT2_S6_PT3_21rocsparse_index_base_b,@function
_ZN9rocsparseL28csrmvn_lrb_short_rows_kernelIllffffEEvbT_PT0_S3_jNS_24const_host_device_scalarIT4_EEPKS1_PKS2_PKT1_PKT2_S6_PT3_21rocsparse_index_base_b: ; @_ZN9rocsparseL28csrmvn_lrb_short_rows_kernelIllffffEEvbT_PT0_S3_jNS_24const_host_device_scalarIT4_EEPKS1_PKS2_PKT1_PKT2_S6_PT3_21rocsparse_index_base_b
; %bb.0:
	s_clause 0x2
	s_load_b64 s[16:17], s[0:1], 0x60
	s_load_b64 s[18:19], s[0:1], 0x28
	;; [unrolled: 1-line block ×3, first 2 shown]
	s_wait_kmcnt 0x0
	s_bitcmp1_b32 s17, 0
	s_cselect_b32 s4, -1, 0
	s_delay_alu instid0(SALU_CYCLE_1)
	s_and_b32 vcc_lo, exec_lo, s4
	s_xor_b32 s4, s4, -1
	s_cbranch_vccnz .LBB20_2
; %bb.1:
	s_load_b32 s18, s[18:19], 0x0
.LBB20_2:
	s_and_not1_b32 vcc_lo, exec_lo, s4
	s_cbranch_vccnz .LBB20_4
; %bb.3:
	s_load_b32 s2, s[2:3], 0x0
.LBB20_4:
	s_wait_kmcnt 0x0
	s_cmp_neq_f32 s18, 0
	s_mov_b32 s5, 0
	s_cselect_b32 s3, -1, 0
	s_cmp_neq_f32 s2, 1.0
	s_cselect_b32 s4, -1, 0
	s_delay_alu instid0(SALU_CYCLE_1) | instskip(NEXT) | instid1(SALU_CYCLE_1)
	s_or_b32 s3, s3, s4
	s_and_not1_b32 vcc_lo, exec_lo, s3
	s_cbranch_vccnz .LBB20_18
; %bb.5:
	s_clause 0x1
	s_load_b32 s3, s[0:1], 0x20
	s_load_b128 s[12:15], s[0:1], 0x10
	s_getreg_b32 s7, hwreg(HW_REG_IB_STS2, 6, 4)
	s_wait_kmcnt 0x0
	s_add_co_i32 s4, s3, 1
	s_delay_alu instid0(SALU_CYCLE_1) | instskip(NEXT) | instid1(SALU_CYCLE_1)
	s_lshl_b64 s[4:5], s[4:5], 3
	s_add_nc_u64 s[4:5], s[14:15], s[4:5]
	s_clause 0x1
	s_load_b64 s[20:21], s[14:15], s3 offset:0x0 scale_offset
	s_load_b32 s6, s[4:5], 0x0
	s_wait_xcnt 0x0
	s_bfe_u32 s4, ttmp6, 0x4000c
	s_and_b32 s5, ttmp6, 15
	s_add_co_i32 s4, s4, 1
	s_delay_alu instid0(SALU_CYCLE_1) | instskip(NEXT) | instid1(SALU_CYCLE_1)
	s_mul_i32 s4, ttmp9, s4
	s_add_co_i32 s5, s5, s4
	s_wait_kmcnt 0x0
	s_sub_co_i32 s6, s6, s20
	s_cmp_eq_u32 s7, 0
	s_cselect_b32 s4, ttmp9, s5
	s_delay_alu instid0(SALU_CYCLE_1) | instskip(NEXT) | instid1(SALU_CYCLE_1)
	s_lshl_b32 s14, s4, 8
	s_add_co_i32 s4, s14, 0x100
	s_delay_alu instid0(SALU_CYCLE_1)
	s_min_u32 s15, s6, s4
	s_cmp_gt_u32 s3, 23
	s_cbranch_scc1 .LBB20_12
; %bb.6:
	s_load_b256 s[4:11], s[0:1], 0x30
	v_bfe_u32 v6, v0, 0, s3
	v_mov_b32_e32 v7, 0
	v_lshl_add_u32 v1, v0, 2, 0
	s_lshl_b64 s[22:23], s[20:21], 3
	s_mov_b32 s17, 0
	s_lshl_b32 s19, 0x100, s3
	s_add_nc_u64 s[22:23], s[12:13], s[22:23]
	s_mov_b32 s24, s17
	s_branch .LBB20_9
.LBB20_7:                               ;   in Loop: Header=BB20_9 Depth=1
	s_or_b32 exec_lo, exec_lo, s26
	ds_store_b32 v1, v4
.LBB20_8:                               ;   in Loop: Header=BB20_9 Depth=1
	s_or_b32 exec_lo, exec_lo, s25
	v_add_nc_u32_e32 v1, 0x400, v1
	s_addk_co_i32 s24, 0x100
	s_delay_alu instid0(SALU_CYCLE_1)
	s_cmp_ge_u32 s24, s19
	s_cbranch_scc1 .LBB20_12
.LBB20_9:                               ; =>This Inner Loop Header: Depth=1
	v_add_nc_u32_e32 v2, s24, v0
	s_mov_b32 s25, exec_lo
	s_delay_alu instid0(VALU_DEP_1) | instskip(NEXT) | instid1(VALU_DEP_1)
	v_lshrrev_b32_e32 v2, s3, v2
	v_add_nc_u32_e32 v2, s14, v2
	s_delay_alu instid0(VALU_DEP_1)
	v_cmpx_gt_u32_e64 s15, v2
	s_cbranch_execz .LBB20_8
; %bb.10:                               ;   in Loop: Header=BB20_9 Depth=1
	global_load_b64 v[2:3], v2, s[22:23] scale_offset
	s_wait_loadcnt 0x0
	s_wait_kmcnt 0x0
	s_wait_xcnt 0x0
	v_lshl_add_u64 v[2:3], v[2:3], 3, s[4:5]
	global_load_b128 v[2:5], v[2:3], off
	s_wait_loadcnt 0x0
	v_sub_nc_u64_e32 v[4:5], v[4:5], v[2:3]
	s_delay_alu instid0(VALU_DEP_1)
	v_cmp_gt_i64_e32 vcc_lo, v[4:5], v[6:7]
	v_mov_b32_e32 v4, 0
	s_wait_xcnt 0x0
	s_and_saveexec_b32 s26, vcc_lo
	s_cbranch_execz .LBB20_7
; %bb.11:                               ;   in Loop: Header=BB20_9 Depth=1
	v_sub_nc_u64_e64 v[2:3], v[2:3], s[16:17]
	s_delay_alu instid0(VALU_DEP_1) | instskip(NEXT) | instid1(VALU_DEP_1)
	v_add_nc_u64_e32 v[2:3], v[2:3], v[6:7]
	v_lshl_add_u64 v[4:5], v[2:3], 3, s[6:7]
	v_lshl_add_u64 v[2:3], v[2:3], 2, s[8:9]
	global_load_b64 v[4:5], v[4:5], off
	global_load_b32 v8, v[2:3], off
	s_wait_loadcnt 0x1
	s_wait_xcnt 0x1
	v_sub_nc_u64_e64 v[4:5], v[4:5], s[16:17]
	s_wait_xcnt 0x0
	s_delay_alu instid0(VALU_DEP_1)
	v_lshl_add_u64 v[2:3], v[4:5], 2, s[10:11]
	global_load_b32 v2, v[2:3], off
	s_wait_loadcnt 0x1
	s_wait_xcnt 0x0
	v_mul_f32_e32 v3, s18, v8
	s_wait_loadcnt 0x0
	s_delay_alu instid0(VALU_DEP_1)
	v_mul_f32_e32 v4, v3, v2
	s_branch .LBB20_7
.LBB20_12:
	s_wait_kmcnt 0x0
	s_sub_co_i32 s4, s15, s14
	s_wait_dscnt 0x0
	v_cmp_gt_u32_e32 vcc_lo, s4, v0
	s_barrier_signal -1
	s_barrier_wait -1
	s_and_saveexec_b32 s4, vcc_lo
	s_cbranch_execz .LBB20_18
; %bb.13:
	s_lshl_b64 s[4:5], s[20:21], 3
	s_mov_b32 s15, 0
	s_add_nc_u64 s[4:5], s[12:13], s[4:5]
	s_lshl_b64 s[6:7], s[14:15], 3
	s_load_b64 s[0:1], s[0:1], 0x58
	s_add_nc_u64 s[4:5], s[4:5], s[6:7]
	v_mov_b32_e32 v4, 0
	global_load_b64 v[2:3], v0, s[4:5] scale_offset
	s_wait_xcnt 0x0
	v_lshlrev_b32_e32 v0, s3, v0
	s_mov_b32 s4, 1
	s_delay_alu instid0(VALU_DEP_1)
	v_lshl_add_u32 v0, v0, 2, 0
.LBB20_14:                              ; =>This Inner Loop Header: Depth=1
	ds_load_b32 v1, v0
	v_add_nc_u32_e32 v0, 4, v0
	s_lshr_b32 s5, s4, s3
	s_add_co_i32 s4, s4, 1
	s_cmp_lg_u32 s5, 0
	s_wait_dscnt 0x0
	v_add_f32_e32 v4, v4, v1
	s_cbranch_scc0 .LBB20_14
; %bb.15:
	s_wait_loadcnt 0x0
	s_wait_kmcnt 0x0
	v_lshl_add_u64 v[0:1], v[2:3], 2, s[0:1]
	s_cmp_neq_f32 s2, 0
	s_cbranch_scc0 .LBB20_17
; %bb.16:
	global_load_b32 v2, v[0:1], off
	s_wait_loadcnt 0x0
	v_fmac_f32_e32 v4, s2, v2
.LBB20_17:
	global_store_b32 v[0:1], v4, off
.LBB20_18:
	s_endpgm
	.section	.rodata,"a",@progbits
	.p2align	6, 0x0
	.amdhsa_kernel _ZN9rocsparseL28csrmvn_lrb_short_rows_kernelIllffffEEvbT_PT0_S3_jNS_24const_host_device_scalarIT4_EEPKS1_PKS2_PKT1_PKT2_S6_PT3_21rocsparse_index_base_b
		.amdhsa_group_segment_fixed_size 0
		.amdhsa_private_segment_fixed_size 0
		.amdhsa_kernarg_size 104
		.amdhsa_user_sgpr_count 2
		.amdhsa_user_sgpr_dispatch_ptr 0
		.amdhsa_user_sgpr_queue_ptr 0
		.amdhsa_user_sgpr_kernarg_segment_ptr 1
		.amdhsa_user_sgpr_dispatch_id 0
		.amdhsa_user_sgpr_kernarg_preload_length 0
		.amdhsa_user_sgpr_kernarg_preload_offset 0
		.amdhsa_user_sgpr_private_segment_size 0
		.amdhsa_wavefront_size32 1
		.amdhsa_uses_dynamic_stack 0
		.amdhsa_enable_private_segment 0
		.amdhsa_system_sgpr_workgroup_id_x 1
		.amdhsa_system_sgpr_workgroup_id_y 0
		.amdhsa_system_sgpr_workgroup_id_z 0
		.amdhsa_system_sgpr_workgroup_info 0
		.amdhsa_system_vgpr_workitem_id 0
		.amdhsa_next_free_vgpr 9
		.amdhsa_next_free_sgpr 27
		.amdhsa_named_barrier_count 0
		.amdhsa_reserve_vcc 1
		.amdhsa_float_round_mode_32 0
		.amdhsa_float_round_mode_16_64 0
		.amdhsa_float_denorm_mode_32 3
		.amdhsa_float_denorm_mode_16_64 3
		.amdhsa_fp16_overflow 0
		.amdhsa_memory_ordered 1
		.amdhsa_forward_progress 1
		.amdhsa_inst_pref_size 7
		.amdhsa_round_robin_scheduling 0
		.amdhsa_exception_fp_ieee_invalid_op 0
		.amdhsa_exception_fp_denorm_src 0
		.amdhsa_exception_fp_ieee_div_zero 0
		.amdhsa_exception_fp_ieee_overflow 0
		.amdhsa_exception_fp_ieee_underflow 0
		.amdhsa_exception_fp_ieee_inexact 0
		.amdhsa_exception_int_div_zero 0
	.end_amdhsa_kernel
	.section	.text._ZN9rocsparseL28csrmvn_lrb_short_rows_kernelIllffffEEvbT_PT0_S3_jNS_24const_host_device_scalarIT4_EEPKS1_PKS2_PKT1_PKT2_S6_PT3_21rocsparse_index_base_b,"axG",@progbits,_ZN9rocsparseL28csrmvn_lrb_short_rows_kernelIllffffEEvbT_PT0_S3_jNS_24const_host_device_scalarIT4_EEPKS1_PKS2_PKT1_PKT2_S6_PT3_21rocsparse_index_base_b,comdat
.Lfunc_end20:
	.size	_ZN9rocsparseL28csrmvn_lrb_short_rows_kernelIllffffEEvbT_PT0_S3_jNS_24const_host_device_scalarIT4_EEPKS1_PKS2_PKT1_PKT2_S6_PT3_21rocsparse_index_base_b, .Lfunc_end20-_ZN9rocsparseL28csrmvn_lrb_short_rows_kernelIllffffEEvbT_PT0_S3_jNS_24const_host_device_scalarIT4_EEPKS1_PKS2_PKT1_PKT2_S6_PT3_21rocsparse_index_base_b
                                        ; -- End function
	.set _ZN9rocsparseL28csrmvn_lrb_short_rows_kernelIllffffEEvbT_PT0_S3_jNS_24const_host_device_scalarIT4_EEPKS1_PKS2_PKT1_PKT2_S6_PT3_21rocsparse_index_base_b.num_vgpr, 9
	.set _ZN9rocsparseL28csrmvn_lrb_short_rows_kernelIllffffEEvbT_PT0_S3_jNS_24const_host_device_scalarIT4_EEPKS1_PKS2_PKT1_PKT2_S6_PT3_21rocsparse_index_base_b.num_agpr, 0
	.set _ZN9rocsparseL28csrmvn_lrb_short_rows_kernelIllffffEEvbT_PT0_S3_jNS_24const_host_device_scalarIT4_EEPKS1_PKS2_PKT1_PKT2_S6_PT3_21rocsparse_index_base_b.numbered_sgpr, 27
	.set _ZN9rocsparseL28csrmvn_lrb_short_rows_kernelIllffffEEvbT_PT0_S3_jNS_24const_host_device_scalarIT4_EEPKS1_PKS2_PKT1_PKT2_S6_PT3_21rocsparse_index_base_b.num_named_barrier, 0
	.set _ZN9rocsparseL28csrmvn_lrb_short_rows_kernelIllffffEEvbT_PT0_S3_jNS_24const_host_device_scalarIT4_EEPKS1_PKS2_PKT1_PKT2_S6_PT3_21rocsparse_index_base_b.private_seg_size, 0
	.set _ZN9rocsparseL28csrmvn_lrb_short_rows_kernelIllffffEEvbT_PT0_S3_jNS_24const_host_device_scalarIT4_EEPKS1_PKS2_PKT1_PKT2_S6_PT3_21rocsparse_index_base_b.uses_vcc, 1
	.set _ZN9rocsparseL28csrmvn_lrb_short_rows_kernelIllffffEEvbT_PT0_S3_jNS_24const_host_device_scalarIT4_EEPKS1_PKS2_PKT1_PKT2_S6_PT3_21rocsparse_index_base_b.uses_flat_scratch, 0
	.set _ZN9rocsparseL28csrmvn_lrb_short_rows_kernelIllffffEEvbT_PT0_S3_jNS_24const_host_device_scalarIT4_EEPKS1_PKS2_PKT1_PKT2_S6_PT3_21rocsparse_index_base_b.has_dyn_sized_stack, 0
	.set _ZN9rocsparseL28csrmvn_lrb_short_rows_kernelIllffffEEvbT_PT0_S3_jNS_24const_host_device_scalarIT4_EEPKS1_PKS2_PKT1_PKT2_S6_PT3_21rocsparse_index_base_b.has_recursion, 0
	.set _ZN9rocsparseL28csrmvn_lrb_short_rows_kernelIllffffEEvbT_PT0_S3_jNS_24const_host_device_scalarIT4_EEPKS1_PKS2_PKT1_PKT2_S6_PT3_21rocsparse_index_base_b.has_indirect_call, 0
	.section	.AMDGPU.csdata,"",@progbits
; Kernel info:
; codeLenInByte = 796
; TotalNumSgprs: 29
; NumVgprs: 9
; ScratchSize: 0
; MemoryBound: 0
; FloatMode: 240
; IeeeMode: 1
; LDSByteSize: 0 bytes/workgroup (compile time only)
; SGPRBlocks: 0
; VGPRBlocks: 0
; NumSGPRsForWavesPerEU: 29
; NumVGPRsForWavesPerEU: 9
; NamedBarCnt: 0
; Occupancy: 16
; WaveLimiterHint : 1
; COMPUTE_PGM_RSRC2:SCRATCH_EN: 0
; COMPUTE_PGM_RSRC2:USER_SGPR: 2
; COMPUTE_PGM_RSRC2:TRAP_HANDLER: 0
; COMPUTE_PGM_RSRC2:TGID_X_EN: 1
; COMPUTE_PGM_RSRC2:TGID_Y_EN: 0
; COMPUTE_PGM_RSRC2:TGID_Z_EN: 0
; COMPUTE_PGM_RSRC2:TIDIG_COMP_CNT: 0
	.section	.text._ZN9rocsparseL30csrmvn_lrb_short_rows_2_kernelIllffffEEvbT_PT0_S3_jNS_24const_host_device_scalarIT4_EEPKS1_PKS2_PKT1_PKT2_S6_PT3_21rocsparse_index_base_b,"axG",@progbits,_ZN9rocsparseL30csrmvn_lrb_short_rows_2_kernelIllffffEEvbT_PT0_S3_jNS_24const_host_device_scalarIT4_EEPKS1_PKS2_PKT1_PKT2_S6_PT3_21rocsparse_index_base_b,comdat
	.globl	_ZN9rocsparseL30csrmvn_lrb_short_rows_2_kernelIllffffEEvbT_PT0_S3_jNS_24const_host_device_scalarIT4_EEPKS1_PKS2_PKT1_PKT2_S6_PT3_21rocsparse_index_base_b ; -- Begin function _ZN9rocsparseL30csrmvn_lrb_short_rows_2_kernelIllffffEEvbT_PT0_S3_jNS_24const_host_device_scalarIT4_EEPKS1_PKS2_PKT1_PKT2_S6_PT3_21rocsparse_index_base_b
	.p2align	8
	.type	_ZN9rocsparseL30csrmvn_lrb_short_rows_2_kernelIllffffEEvbT_PT0_S3_jNS_24const_host_device_scalarIT4_EEPKS1_PKS2_PKT1_PKT2_S6_PT3_21rocsparse_index_base_b,@function
_ZN9rocsparseL30csrmvn_lrb_short_rows_2_kernelIllffffEEvbT_PT0_S3_jNS_24const_host_device_scalarIT4_EEPKS1_PKS2_PKT1_PKT2_S6_PT3_21rocsparse_index_base_b: ; @_ZN9rocsparseL30csrmvn_lrb_short_rows_2_kernelIllffffEEvbT_PT0_S3_jNS_24const_host_device_scalarIT4_EEPKS1_PKS2_PKT1_PKT2_S6_PT3_21rocsparse_index_base_b
; %bb.0:
	s_clause 0x2
	s_load_b64 s[16:17], s[0:1], 0x60
	s_load_b64 s[14:15], s[0:1], 0x28
	s_load_b64 s[2:3], s[0:1], 0x50
	s_wait_kmcnt 0x0
	s_bitcmp1_b32 s17, 0
	s_cselect_b32 s4, -1, 0
	s_delay_alu instid0(SALU_CYCLE_1)
	s_and_b32 vcc_lo, exec_lo, s4
	s_xor_b32 s4, s4, -1
	s_cbranch_vccnz .LBB21_2
; %bb.1:
	s_load_b32 s14, s[14:15], 0x0
.LBB21_2:
	s_and_not1_b32 vcc_lo, exec_lo, s4
	s_cbranch_vccnz .LBB21_4
; %bb.3:
	s_load_b32 s2, s[2:3], 0x0
.LBB21_4:
	s_wait_kmcnt 0x0
	s_cmp_neq_f32 s14, 0
	s_mov_b32 s17, 0
	s_cselect_b32 s3, -1, 0
	s_cmp_neq_f32 s2, 1.0
	s_cselect_b32 s4, -1, 0
	s_delay_alu instid0(SALU_CYCLE_1) | instskip(NEXT) | instid1(SALU_CYCLE_1)
	s_or_b32 s3, s3, s4
	s_and_not1_b32 vcc_lo, exec_lo, s3
	s_cbranch_vccnz .LBB21_30
; %bb.5:
	s_clause 0x1
	s_load_b32 s3, s[0:1], 0x20
	s_load_b128 s[24:27], s[0:1], 0x10
	s_mov_b32 s5, s17
	s_bfe_u32 s13, ttmp6, 0x4000c
	s_and_b32 s15, ttmp6, 15
	s_add_co_i32 s13, s13, 1
	s_getreg_b32 s20, hwreg(HW_REG_IB_STS2, 6, 4)
	s_mul_i32 s13, ttmp9, s13
	v_mov_b32_e32 v7, 0
	s_add_co_i32 s13, s15, s13
	s_wait_kmcnt 0x0
	s_add_co_i32 s4, s3, 1
	s_lshr_b32 s15, 0x400, s3
	s_lshl_b64 s[4:5], s[4:5], 3
	v_lshrrev_b32_e32 v1, s3, v0
	s_add_nc_u64 s[4:5], s[26:27], s[4:5]
	s_clause 0x1
	s_load_b64 s[18:19], s[26:27], s3 offset:0x0 scale_offset
	s_load_b32 s12, s[4:5], 0x0
	v_bfe_u32 v6, v0, 0, s3
	s_wait_xcnt 0x0
	s_load_b256 s[4:11], s[0:1], 0x30
	s_wait_kmcnt 0x0
	s_sub_co_i32 s21, s12, s18
	s_cmp_eq_u32 s20, 0
	s_cselect_b32 s12, ttmp9, s13
	s_lshl_b64 s[18:19], s[18:19], 3
	s_mul_i32 s12, s15, s12
	s_add_nc_u64 s[18:19], s[24:25], s[18:19]
	v_add_nc_u32_e32 v1, s12, v1
	s_add_co_i32 s13, s12, s15
	s_delay_alu instid0(SALU_CYCLE_1) | instskip(SKIP_1) | instid1(VALU_DEP_1)
	s_min_u32 s20, s21, s13
	s_mov_b32 s13, exec_lo
	v_cmpx_gt_u32_e64 s20, v1
	s_cbranch_execz .LBB21_9
; %bb.6:
	global_load_b64 v[2:3], v1, s[18:19] scale_offset
	s_wait_xcnt 0x0
	v_mov_b32_e32 v1, v7
	s_mov_b32 s21, exec_lo
	s_wait_loadcnt 0x0
	v_lshl_add_u64 v[2:3], v[2:3], 3, s[4:5]
	global_load_b128 v[2:5], v[2:3], off
	s_wait_loadcnt 0x0
	v_sub_nc_u64_e32 v[4:5], v[4:5], v[2:3]
	s_delay_alu instid0(VALU_DEP_1)
	v_cmpx_gt_i64_e64 v[4:5], v[6:7]
	s_cbranch_execz .LBB21_8
; %bb.7:
	v_sub_nc_u64_e64 v[2:3], v[2:3], s[16:17]
	s_delay_alu instid0(VALU_DEP_1) | instskip(NEXT) | instid1(VALU_DEP_1)
	v_add_nc_u64_e32 v[2:3], v[2:3], v[6:7]
	v_lshl_add_u64 v[4:5], v[2:3], 3, s[6:7]
	v_lshl_add_u64 v[2:3], v[2:3], 2, s[8:9]
	global_load_b64 v[4:5], v[4:5], off
	global_load_b32 v1, v[2:3], off
	s_wait_loadcnt 0x1
	s_wait_xcnt 0x1
	v_sub_nc_u64_e64 v[4:5], v[4:5], s[16:17]
	s_wait_loadcnt 0x0
	v_mul_f32_e32 v1, s14, v1
	s_delay_alu instid0(VALU_DEP_2)
	v_lshl_add_u64 v[2:3], v[4:5], 2, s[10:11]
	global_load_b32 v2, v[2:3], off
	s_wait_loadcnt 0x0
	v_mul_f32_e32 v1, v1, v2
.LBB21_8:
	s_or_b32 exec_lo, exec_lo, s21
	v_lshlrev_b32_e32 v2, 2, v0
	ds_store_b32 v2, v1
.LBB21_9:
	s_or_b32 exec_lo, exec_lo, s13
	s_load_b64 s[0:1], s[0:1], 0x58
	v_or_b32_e32 v1, 0x100, v0
	s_mov_b32 s13, exec_lo
	s_delay_alu instid0(VALU_DEP_1) | instskip(NEXT) | instid1(VALU_DEP_1)
	v_lshrrev_b32_e32 v1, s3, v1
	v_add_nc_u32_e32 v1, s12, v1
	s_delay_alu instid0(VALU_DEP_1)
	v_cmpx_gt_u32_e64 s20, v1
	s_cbranch_execz .LBB21_13
; %bb.10:
	global_load_b64 v[2:3], v1, s[18:19] scale_offset
	s_wait_xcnt 0x0
	v_mov_b32_e32 v1, 0
	s_mov_b32 s21, exec_lo
	s_wait_loadcnt 0x0
	v_lshl_add_u64 v[2:3], v[2:3], 3, s[4:5]
	global_load_b128 v[2:5], v[2:3], off
	s_wait_loadcnt 0x0
	v_sub_nc_u64_e32 v[4:5], v[4:5], v[2:3]
	s_delay_alu instid0(VALU_DEP_1)
	v_cmpx_gt_i64_e64 v[4:5], v[6:7]
	s_cbranch_execz .LBB21_12
; %bb.11:
	v_sub_nc_u64_e64 v[2:3], v[2:3], s[16:17]
	s_delay_alu instid0(VALU_DEP_1) | instskip(NEXT) | instid1(VALU_DEP_1)
	v_add_nc_u64_e32 v[2:3], v[2:3], v[6:7]
	v_lshl_add_u64 v[4:5], v[2:3], 3, s[6:7]
	v_lshl_add_u64 v[2:3], v[2:3], 2, s[8:9]
	global_load_b64 v[4:5], v[4:5], off
	global_load_b32 v1, v[2:3], off
	s_wait_loadcnt 0x1
	s_wait_xcnt 0x1
	v_sub_nc_u64_e64 v[4:5], v[4:5], s[16:17]
	s_wait_loadcnt 0x0
	v_mul_f32_e32 v1, s14, v1
	s_delay_alu instid0(VALU_DEP_2)
	v_lshl_add_u64 v[2:3], v[4:5], 2, s[10:11]
	global_load_b32 v2, v[2:3], off
	s_wait_loadcnt 0x0
	v_mul_f32_e32 v1, v1, v2
.LBB21_12:
	s_or_b32 exec_lo, exec_lo, s21
	v_lshlrev_b32_e32 v2, 2, v0
	ds_store_b32 v2, v1 offset:1024
.LBB21_13:
	s_or_b32 exec_lo, exec_lo, s13
	v_or_b32_e32 v1, 0x200, v0
	s_mov_b32 s13, exec_lo
	s_delay_alu instid0(VALU_DEP_1) | instskip(NEXT) | instid1(VALU_DEP_1)
	v_lshrrev_b32_e32 v1, s3, v1
	v_add_nc_u32_e32 v1, s12, v1
	s_delay_alu instid0(VALU_DEP_1)
	v_cmpx_gt_u32_e64 s20, v1
	s_cbranch_execz .LBB21_17
; %bb.14:
	global_load_b64 v[2:3], v1, s[18:19] scale_offset
	s_wait_xcnt 0x0
	v_mov_b32_e32 v1, 0
	s_mov_b32 s21, exec_lo
	s_wait_loadcnt 0x0
	v_lshl_add_u64 v[2:3], v[2:3], 3, s[4:5]
	global_load_b128 v[2:5], v[2:3], off
	s_wait_loadcnt 0x0
	v_sub_nc_u64_e32 v[4:5], v[4:5], v[2:3]
	s_delay_alu instid0(VALU_DEP_1)
	v_cmpx_gt_i64_e64 v[4:5], v[6:7]
	s_cbranch_execz .LBB21_16
; %bb.15:
	v_sub_nc_u64_e64 v[2:3], v[2:3], s[16:17]
	s_delay_alu instid0(VALU_DEP_1) | instskip(NEXT) | instid1(VALU_DEP_1)
	v_add_nc_u64_e32 v[2:3], v[2:3], v[6:7]
	v_lshl_add_u64 v[4:5], v[2:3], 3, s[6:7]
	v_lshl_add_u64 v[2:3], v[2:3], 2, s[8:9]
	global_load_b64 v[4:5], v[4:5], off
	global_load_b32 v1, v[2:3], off
	s_wait_loadcnt 0x1
	s_wait_xcnt 0x1
	v_sub_nc_u64_e64 v[4:5], v[4:5], s[16:17]
	s_wait_loadcnt 0x0
	v_mul_f32_e32 v1, s14, v1
	s_delay_alu instid0(VALU_DEP_2)
	v_lshl_add_u64 v[2:3], v[4:5], 2, s[10:11]
	global_load_b32 v2, v[2:3], off
	s_wait_loadcnt 0x0
	v_mul_f32_e32 v1, v1, v2
.LBB21_16:
	s_or_b32 exec_lo, exec_lo, s21
	v_lshlrev_b32_e32 v2, 2, v0
	ds_store_b32 v2, v1 offset:2048
.LBB21_17:
	s_or_b32 exec_lo, exec_lo, s13
	v_or_b32_e32 v1, 0x300, v0
	s_mov_b32 s13, exec_lo
	s_delay_alu instid0(VALU_DEP_1) | instskip(NEXT) | instid1(VALU_DEP_1)
	v_lshrrev_b32_e32 v1, s3, v1
	v_add_nc_u32_e32 v1, s12, v1
	s_delay_alu instid0(VALU_DEP_1)
	v_cmpx_gt_u32_e64 s20, v1
	s_cbranch_execz .LBB21_21
; %bb.18:
	global_load_b64 v[2:3], v1, s[18:19] scale_offset
	s_wait_xcnt 0x0
	v_mov_b32_e32 v1, 0
	s_wait_loadcnt 0x0
	v_lshl_add_u64 v[2:3], v[2:3], 3, s[4:5]
	s_mov_b32 s4, exec_lo
	global_load_b128 v[2:5], v[2:3], off
	s_wait_loadcnt 0x0
	v_sub_nc_u64_e32 v[4:5], v[4:5], v[2:3]
	s_delay_alu instid0(VALU_DEP_1)
	v_cmpx_gt_i64_e64 v[4:5], v[6:7]
	s_cbranch_execz .LBB21_20
; %bb.19:
	v_sub_nc_u64_e64 v[2:3], v[2:3], s[16:17]
	s_delay_alu instid0(VALU_DEP_1) | instskip(NEXT) | instid1(VALU_DEP_1)
	v_add_nc_u64_e32 v[2:3], v[2:3], v[6:7]
	v_lshl_add_u64 v[4:5], v[2:3], 3, s[6:7]
	v_lshl_add_u64 v[2:3], v[2:3], 2, s[8:9]
	global_load_b64 v[4:5], v[4:5], off
	global_load_b32 v1, v[2:3], off
	s_wait_loadcnt 0x1
	s_wait_xcnt 0x1
	v_sub_nc_u64_e64 v[4:5], v[4:5], s[16:17]
	s_wait_loadcnt 0x0
	v_mul_f32_e32 v1, s14, v1
	s_delay_alu instid0(VALU_DEP_2)
	v_lshl_add_u64 v[2:3], v[4:5], 2, s[10:11]
	global_load_b32 v2, v[2:3], off
	s_wait_loadcnt 0x0
	v_mul_f32_e32 v1, v1, v2
.LBB21_20:
	s_or_b32 exec_lo, exec_lo, s4
	v_lshlrev_b32_e32 v2, 2, v0
	ds_store_b32 v2, v1 offset:3072
.LBB21_21:
	s_or_b32 exec_lo, exec_lo, s13
	s_cmp_lt_u32 s3, 11
	s_wait_dscnt 0x0
	s_barrier_signal -1
	s_barrier_wait -1
	s_cbranch_scc0 .LBB21_30
; %bb.22:
	s_mov_b32 s13, 0
	s_sub_co_i32 s6, s20, s12
	s_lshl_b64 s[4:5], s[12:13], 3
	s_cmp_neq_f32 s2, 0
	s_add_nc_u64 s[4:5], s[18:19], s[4:5]
	s_cselect_b32 s7, -1, 0
	s_branch .LBB21_25
.LBB21_23:                              ;   in Loop: Header=BB21_25 Depth=1
	global_store_b32 v[2:3], v1, off
.LBB21_24:                              ;   in Loop: Header=BB21_25 Depth=1
	s_wait_xcnt 0x0
	s_or_b32 exec_lo, exec_lo, s8
	s_addk_co_i32 s13, 0x100
	s_delay_alu instid0(SALU_CYCLE_1)
	s_cmp_lt_u32 s13, s15
	s_cbranch_scc0 .LBB21_30
.LBB21_25:                              ; =>This Loop Header: Depth=1
                                        ;     Child Loop BB21_27 Depth 2
	v_add_nc_u32_e32 v1, s13, v0
	s_mov_b32 s8, exec_lo
	s_delay_alu instid0(VALU_DEP_1)
	v_cmpx_gt_u32_e64 s6, v1
	s_cbranch_execz .LBB21_24
; %bb.26:                               ;   in Loop: Header=BB21_25 Depth=1
	global_load_b64 v[2:3], v1, s[4:5] scale_offset
	s_wait_xcnt 0x0
	v_lshlrev_b32_e32 v1, s3, v1
	s_mov_b32 s9, 1
	s_delay_alu instid0(VALU_DEP_1)
	v_dual_mov_b32 v1, 0 :: v_dual_lshlrev_b32 v4, 2, v1
.LBB21_27:                              ;   Parent Loop BB21_25 Depth=1
                                        ; =>  This Inner Loop Header: Depth=2
	ds_load_b32 v5, v4
	v_add_nc_u32_e32 v4, 4, v4
	s_lshr_b32 s10, s9, s3
	s_add_co_i32 s9, s9, 1
	s_cmp_lg_u32 s10, 0
	s_wait_dscnt 0x0
	v_add_f32_e32 v1, v1, v5
	s_cbranch_scc0 .LBB21_27
; %bb.28:                               ;   in Loop: Header=BB21_25 Depth=1
	s_wait_loadcnt 0x0
	s_wait_kmcnt 0x0
	v_lshl_add_u64 v[2:3], v[2:3], 2, s[0:1]
	s_and_b32 vcc_lo, exec_lo, s7
	s_cbranch_vccz .LBB21_23
; %bb.29:                               ;   in Loop: Header=BB21_25 Depth=1
	global_load_b32 v4, v[2:3], off
	s_wait_loadcnt 0x0
	v_fmac_f32_e32 v1, s2, v4
	s_branch .LBB21_23
.LBB21_30:
	s_endpgm
	.section	.rodata,"a",@progbits
	.p2align	6, 0x0
	.amdhsa_kernel _ZN9rocsparseL30csrmvn_lrb_short_rows_2_kernelIllffffEEvbT_PT0_S3_jNS_24const_host_device_scalarIT4_EEPKS1_PKS2_PKT1_PKT2_S6_PT3_21rocsparse_index_base_b
		.amdhsa_group_segment_fixed_size 4096
		.amdhsa_private_segment_fixed_size 0
		.amdhsa_kernarg_size 104
		.amdhsa_user_sgpr_count 2
		.amdhsa_user_sgpr_dispatch_ptr 0
		.amdhsa_user_sgpr_queue_ptr 0
		.amdhsa_user_sgpr_kernarg_segment_ptr 1
		.amdhsa_user_sgpr_dispatch_id 0
		.amdhsa_user_sgpr_kernarg_preload_length 0
		.amdhsa_user_sgpr_kernarg_preload_offset 0
		.amdhsa_user_sgpr_private_segment_size 0
		.amdhsa_wavefront_size32 1
		.amdhsa_uses_dynamic_stack 0
		.amdhsa_enable_private_segment 0
		.amdhsa_system_sgpr_workgroup_id_x 1
		.amdhsa_system_sgpr_workgroup_id_y 0
		.amdhsa_system_sgpr_workgroup_id_z 0
		.amdhsa_system_sgpr_workgroup_info 0
		.amdhsa_system_vgpr_workitem_id 0
		.amdhsa_next_free_vgpr 8
		.amdhsa_next_free_sgpr 28
		.amdhsa_named_barrier_count 0
		.amdhsa_reserve_vcc 1
		.amdhsa_float_round_mode_32 0
		.amdhsa_float_round_mode_16_64 0
		.amdhsa_float_denorm_mode_32 3
		.amdhsa_float_denorm_mode_16_64 3
		.amdhsa_fp16_overflow 0
		.amdhsa_memory_ordered 1
		.amdhsa_forward_progress 1
		.amdhsa_inst_pref_size 12
		.amdhsa_round_robin_scheduling 0
		.amdhsa_exception_fp_ieee_invalid_op 0
		.amdhsa_exception_fp_denorm_src 0
		.amdhsa_exception_fp_ieee_div_zero 0
		.amdhsa_exception_fp_ieee_overflow 0
		.amdhsa_exception_fp_ieee_underflow 0
		.amdhsa_exception_fp_ieee_inexact 0
		.amdhsa_exception_int_div_zero 0
	.end_amdhsa_kernel
	.section	.text._ZN9rocsparseL30csrmvn_lrb_short_rows_2_kernelIllffffEEvbT_PT0_S3_jNS_24const_host_device_scalarIT4_EEPKS1_PKS2_PKT1_PKT2_S6_PT3_21rocsparse_index_base_b,"axG",@progbits,_ZN9rocsparseL30csrmvn_lrb_short_rows_2_kernelIllffffEEvbT_PT0_S3_jNS_24const_host_device_scalarIT4_EEPKS1_PKS2_PKT1_PKT2_S6_PT3_21rocsparse_index_base_b,comdat
.Lfunc_end21:
	.size	_ZN9rocsparseL30csrmvn_lrb_short_rows_2_kernelIllffffEEvbT_PT0_S3_jNS_24const_host_device_scalarIT4_EEPKS1_PKS2_PKT1_PKT2_S6_PT3_21rocsparse_index_base_b, .Lfunc_end21-_ZN9rocsparseL30csrmvn_lrb_short_rows_2_kernelIllffffEEvbT_PT0_S3_jNS_24const_host_device_scalarIT4_EEPKS1_PKS2_PKT1_PKT2_S6_PT3_21rocsparse_index_base_b
                                        ; -- End function
	.set _ZN9rocsparseL30csrmvn_lrb_short_rows_2_kernelIllffffEEvbT_PT0_S3_jNS_24const_host_device_scalarIT4_EEPKS1_PKS2_PKT1_PKT2_S6_PT3_21rocsparse_index_base_b.num_vgpr, 8
	.set _ZN9rocsparseL30csrmvn_lrb_short_rows_2_kernelIllffffEEvbT_PT0_S3_jNS_24const_host_device_scalarIT4_EEPKS1_PKS2_PKT1_PKT2_S6_PT3_21rocsparse_index_base_b.num_agpr, 0
	.set _ZN9rocsparseL30csrmvn_lrb_short_rows_2_kernelIllffffEEvbT_PT0_S3_jNS_24const_host_device_scalarIT4_EEPKS1_PKS2_PKT1_PKT2_S6_PT3_21rocsparse_index_base_b.numbered_sgpr, 28
	.set _ZN9rocsparseL30csrmvn_lrb_short_rows_2_kernelIllffffEEvbT_PT0_S3_jNS_24const_host_device_scalarIT4_EEPKS1_PKS2_PKT1_PKT2_S6_PT3_21rocsparse_index_base_b.num_named_barrier, 0
	.set _ZN9rocsparseL30csrmvn_lrb_short_rows_2_kernelIllffffEEvbT_PT0_S3_jNS_24const_host_device_scalarIT4_EEPKS1_PKS2_PKT1_PKT2_S6_PT3_21rocsparse_index_base_b.private_seg_size, 0
	.set _ZN9rocsparseL30csrmvn_lrb_short_rows_2_kernelIllffffEEvbT_PT0_S3_jNS_24const_host_device_scalarIT4_EEPKS1_PKS2_PKT1_PKT2_S6_PT3_21rocsparse_index_base_b.uses_vcc, 1
	.set _ZN9rocsparseL30csrmvn_lrb_short_rows_2_kernelIllffffEEvbT_PT0_S3_jNS_24const_host_device_scalarIT4_EEPKS1_PKS2_PKT1_PKT2_S6_PT3_21rocsparse_index_base_b.uses_flat_scratch, 0
	.set _ZN9rocsparseL30csrmvn_lrb_short_rows_2_kernelIllffffEEvbT_PT0_S3_jNS_24const_host_device_scalarIT4_EEPKS1_PKS2_PKT1_PKT2_S6_PT3_21rocsparse_index_base_b.has_dyn_sized_stack, 0
	.set _ZN9rocsparseL30csrmvn_lrb_short_rows_2_kernelIllffffEEvbT_PT0_S3_jNS_24const_host_device_scalarIT4_EEPKS1_PKS2_PKT1_PKT2_S6_PT3_21rocsparse_index_base_b.has_recursion, 0
	.set _ZN9rocsparseL30csrmvn_lrb_short_rows_2_kernelIllffffEEvbT_PT0_S3_jNS_24const_host_device_scalarIT4_EEPKS1_PKS2_PKT1_PKT2_S6_PT3_21rocsparse_index_base_b.has_indirect_call, 0
	.section	.AMDGPU.csdata,"",@progbits
; Kernel info:
; codeLenInByte = 1480
; TotalNumSgprs: 30
; NumVgprs: 8
; ScratchSize: 0
; MemoryBound: 0
; FloatMode: 240
; IeeeMode: 1
; LDSByteSize: 4096 bytes/workgroup (compile time only)
; SGPRBlocks: 0
; VGPRBlocks: 0
; NumSGPRsForWavesPerEU: 30
; NumVGPRsForWavesPerEU: 8
; NamedBarCnt: 0
; Occupancy: 16
; WaveLimiterHint : 1
; COMPUTE_PGM_RSRC2:SCRATCH_EN: 0
; COMPUTE_PGM_RSRC2:USER_SGPR: 2
; COMPUTE_PGM_RSRC2:TRAP_HANDLER: 0
; COMPUTE_PGM_RSRC2:TGID_X_EN: 1
; COMPUTE_PGM_RSRC2:TGID_Y_EN: 0
; COMPUTE_PGM_RSRC2:TGID_Z_EN: 0
; COMPUTE_PGM_RSRC2:TIDIG_COMP_CNT: 0
	.section	.text._ZN9rocsparseL41csrmvn_lrb_medium_rows_warp_reduce_kernelILj256ELj32EllffffEEvbT1_lPT2_S3_jNS_24const_host_device_scalarIT6_EEPKS1_PKS2_PKT3_PKT4_S6_PT5_21rocsparse_index_base_b,"axG",@progbits,_ZN9rocsparseL41csrmvn_lrb_medium_rows_warp_reduce_kernelILj256ELj32EllffffEEvbT1_lPT2_S3_jNS_24const_host_device_scalarIT6_EEPKS1_PKS2_PKT3_PKT4_S6_PT5_21rocsparse_index_base_b,comdat
	.globl	_ZN9rocsparseL41csrmvn_lrb_medium_rows_warp_reduce_kernelILj256ELj32EllffffEEvbT1_lPT2_S3_jNS_24const_host_device_scalarIT6_EEPKS1_PKS2_PKT3_PKT4_S6_PT5_21rocsparse_index_base_b ; -- Begin function _ZN9rocsparseL41csrmvn_lrb_medium_rows_warp_reduce_kernelILj256ELj32EllffffEEvbT1_lPT2_S3_jNS_24const_host_device_scalarIT6_EEPKS1_PKS2_PKT3_PKT4_S6_PT5_21rocsparse_index_base_b
	.p2align	8
	.type	_ZN9rocsparseL41csrmvn_lrb_medium_rows_warp_reduce_kernelILj256ELj32EllffffEEvbT1_lPT2_S3_jNS_24const_host_device_scalarIT6_EEPKS1_PKS2_PKT3_PKT4_S6_PT5_21rocsparse_index_base_b,@function
_ZN9rocsparseL41csrmvn_lrb_medium_rows_warp_reduce_kernelILj256ELj32EllffffEEvbT1_lPT2_S3_jNS_24const_host_device_scalarIT6_EEPKS1_PKS2_PKT3_PKT4_S6_PT5_21rocsparse_index_base_b: ; @_ZN9rocsparseL41csrmvn_lrb_medium_rows_warp_reduce_kernelILj256ELj32EllffffEEvbT1_lPT2_S3_jNS_24const_host_device_scalarIT6_EEPKS1_PKS2_PKT3_PKT4_S6_PT5_21rocsparse_index_base_b
; %bb.0:
	s_clause 0x2
	s_load_b64 s[4:5], s[0:1], 0x68
	s_load_b64 s[6:7], s[0:1], 0x30
	;; [unrolled: 1-line block ×3, first 2 shown]
	s_wait_kmcnt 0x0
	s_bitcmp1_b32 s5, 0
	s_cselect_b32 s5, -1, 0
	s_delay_alu instid0(SALU_CYCLE_1)
	s_and_b32 vcc_lo, exec_lo, s5
	s_xor_b32 s5, s5, -1
	s_cbranch_vccnz .LBB22_2
; %bb.1:
	s_load_b32 s6, s[6:7], 0x0
.LBB22_2:
	s_and_not1_b32 vcc_lo, exec_lo, s5
	s_cbranch_vccnz .LBB22_4
; %bb.3:
	s_load_b32 s2, s[2:3], 0x0
.LBB22_4:
	s_wait_kmcnt 0x0
	s_cmp_neq_f32 s6, 0
	s_cselect_b32 s3, -1, 0
	s_cmp_neq_f32 s2, 1.0
	s_cselect_b32 s5, -1, 0
	s_delay_alu instid0(SALU_CYCLE_1) | instskip(NEXT) | instid1(SALU_CYCLE_1)
	s_or_b32 s3, s3, s5
	s_and_not1_b32 vcc_lo, exec_lo, s3
	s_cbranch_vccnz .LBB22_14
; %bb.5:
	s_bfe_u32 s3, ttmp6, 0x4000c
	s_load_b64 s[8:9], s[0:1], 0x10
	s_add_co_i32 s3, s3, 1
	s_and_b32 s5, ttmp6, 15
	s_mul_i32 s3, ttmp9, s3
	s_getreg_b32 s7, hwreg(HW_REG_IB_STS2, 6, 4)
	v_lshrrev_b32_e32 v1, 5, v0
	s_add_co_i32 s5, s5, s3
	s_cmp_eq_u32 s7, 0
	s_cselect_b32 s3, ttmp9, s5
	s_delay_alu instid0(VALU_DEP_1) | instid1(SALU_CYCLE_1)
	v_lshl_or_b32 v2, s3, 3, v1
	s_mov_b32 s3, exec_lo
	s_delay_alu instid0(VALU_DEP_1) | instskip(SKIP_1) | instid1(VALU_DEP_1)
	v_ashrrev_i32_e32 v3, 31, v2
	s_wait_kmcnt 0x0
	v_cmpx_gt_i64_e64 s[8:9], v[2:3]
	s_cbranch_execz .LBB22_14
; %bb.6:
	s_clause 0x1
	s_load_b128 s[8:11], s[0:1], 0x18
	s_load_b32 s3, s[0:1], 0x28
	v_dual_mov_b32 v1, 0 :: v_dual_bitop2_b32 v0, 31, v0 bitop3:0x40
	s_mov_b32 s5, 0
	s_delay_alu instid0(VALU_DEP_1) | instid1(SALU_CYCLE_1)
	v_sub_nc_u64_e64 v[10:11], v[0:1], s[4:5]
	s_wait_kmcnt 0x0
	s_load_b64 s[10:11], s[10:11], s3 offset:0x0 scale_offset
	s_wait_xcnt 0x0
	s_mov_b32 s3, exec_lo
	s_wait_kmcnt 0x0
	s_lshl_b64 s[10:11], s[10:11], 3
	s_delay_alu instid0(SALU_CYCLE_1) | instskip(NEXT) | instid1(SALU_CYCLE_1)
	s_add_nc_u64 s[8:9], s[8:9], s[10:11]
	v_lshl_add_u64 v[2:3], v[2:3], 3, s[8:9]
	s_load_b64 s[8:9], s[0:1], 0x38
	global_load_b64 v[2:3], v[2:3], off
	s_wait_loadcnt 0x0
	s_wait_kmcnt 0x0
	v_lshl_add_u64 v[4:5], v[2:3], 3, s[8:9]
	global_load_b128 v[6:9], v[4:5], off
	s_wait_loadcnt 0x0
	v_sub_nc_u64_e64 v[4:5], v[8:9], s[4:5]
	v_add_nc_u64_e32 v[6:7], v[6:7], v[10:11]
	s_delay_alu instid0(VALU_DEP_1)
	v_cmpx_lt_i64_e64 v[6:7], v[4:5]
	s_cbranch_execz .LBB22_10
; %bb.7:
	s_clause 0x1
	s_load_b128 s[12:15], s[0:1], 0x40
	s_load_b64 s[8:9], s[0:1], 0x50
	v_mov_b32_e32 v1, 0
	s_mov_b32 s7, s5
	s_wait_kmcnt 0x0
	v_lshl_add_u64 v[8:9], v[6:7], 2, s[14:15]
	v_lshl_add_u64 v[10:11], v[6:7], 3, s[12:13]
.LBB22_8:                               ; =>This Inner Loop Header: Depth=1
	global_load_b64 v[12:13], v[10:11], off
	global_load_b32 v14, v[8:9], off
	v_add_nc_u64_e32 v[6:7], 32, v[6:7]
	s_wait_xcnt 0x0
	v_add_nc_u64_e32 v[8:9], 0x80, v[8:9]
	v_add_nc_u64_e32 v[10:11], 0x100, v[10:11]
	s_delay_alu instid0(VALU_DEP_3) | instskip(SKIP_3) | instid1(VALU_DEP_1)
	v_cmp_ge_i64_e32 vcc_lo, v[6:7], v[4:5]
	s_or_b32 s7, vcc_lo, s7
	s_wait_loadcnt 0x1
	v_sub_nc_u64_e64 v[12:13], v[12:13], s[4:5]
	v_lshl_add_u64 v[12:13], v[12:13], 2, s[8:9]
	global_load_b32 v12, v[12:13], off
	s_wait_loadcnt 0x1
	s_wait_xcnt 0x0
	v_mul_f32_e32 v13, s6, v14
	s_wait_loadcnt 0x0
	s_delay_alu instid0(VALU_DEP_1)
	v_fmac_f32_e32 v1, v13, v12
	s_and_not1_b32 exec_lo, exec_lo, s7
	s_cbranch_execnz .LBB22_8
; %bb.9:
	s_or_b32 exec_lo, exec_lo, s7
.LBB22_10:
	s_delay_alu instid0(SALU_CYCLE_1) | instskip(SKIP_2) | instid1(VALU_DEP_1)
	s_or_b32 exec_lo, exec_lo, s3
	v_mbcnt_lo_u32_b32 v4, -1, 0
	s_load_b64 s[0:1], s[0:1], 0x60
	v_xor_b32_e32 v6, 8, v4
	v_xor_b32_e32 v5, 16, v4
	s_delay_alu instid0(VALU_DEP_1) | instskip(SKIP_1) | instid1(VALU_DEP_4)
	v_cmp_gt_i32_e32 vcc_lo, 32, v5
	v_cndmask_b32_e32 v5, v4, v5, vcc_lo
	v_cmp_gt_i32_e32 vcc_lo, 32, v6
	v_cndmask_b32_e32 v6, v4, v6, vcc_lo
	s_delay_alu instid0(VALU_DEP_1)
	v_dual_lshlrev_b32 v6, 2, v6 :: v_dual_lshlrev_b32 v5, 2, v5
	ds_bpermute_b32 v5, v5, v1
	s_wait_dscnt 0x0
	v_add_f32_e32 v1, v1, v5
	ds_bpermute_b32 v5, v6, v1
	v_xor_b32_e32 v6, 4, v4
	s_delay_alu instid0(VALU_DEP_1) | instskip(SKIP_2) | instid1(VALU_DEP_1)
	v_cmp_gt_i32_e32 vcc_lo, 32, v6
	s_wait_dscnt 0x0
	v_dual_cndmask_b32 v6, v4, v6 :: v_dual_add_f32 v1, v1, v5
	v_lshlrev_b32_e32 v6, 2, v6
	ds_bpermute_b32 v5, v6, v1
	s_wait_dscnt 0x0
	v_dual_add_f32 v1, v1, v5 :: v_dual_bitop2_b32 v6, 2, v4 bitop3:0x14
	s_delay_alu instid0(VALU_DEP_1) | instskip(SKIP_1) | instid1(VALU_DEP_1)
	v_cmp_gt_i32_e32 vcc_lo, 32, v6
	v_cndmask_b32_e32 v6, v4, v6, vcc_lo
	v_lshlrev_b32_e32 v6, 2, v6
	ds_bpermute_b32 v5, v6, v1
	v_xor_b32_e32 v6, 1, v4
	s_delay_alu instid0(VALU_DEP_1) | instskip(SKIP_3) | instid1(VALU_DEP_2)
	v_cmp_gt_i32_e32 vcc_lo, 32, v6
	v_cndmask_b32_e32 v4, v4, v6, vcc_lo
	v_cmp_eq_u32_e32 vcc_lo, 31, v0
	s_wait_dscnt 0x0
	v_dual_add_f32 v1, v1, v5 :: v_dual_lshlrev_b32 v4, 2, v4
	ds_bpermute_b32 v4, v4, v1
	s_and_b32 exec_lo, exec_lo, vcc_lo
	s_cbranch_execz .LBB22_14
; %bb.11:
	s_wait_dscnt 0x0
	v_add_f32_e32 v4, v1, v4
	s_wait_kmcnt 0x0
	v_lshl_add_u64 v[0:1], v[2:3], 2, s[0:1]
	s_cmp_eq_f32 s2, 0
	s_cbranch_scc1 .LBB22_13
; %bb.12:
	global_load_b32 v2, v[0:1], off
	s_wait_loadcnt 0x0
	v_fmac_f32_e32 v4, s2, v2
.LBB22_13:
	global_store_b32 v[0:1], v4, off
.LBB22_14:
	s_endpgm
	.section	.rodata,"a",@progbits
	.p2align	6, 0x0
	.amdhsa_kernel _ZN9rocsparseL41csrmvn_lrb_medium_rows_warp_reduce_kernelILj256ELj32EllffffEEvbT1_lPT2_S3_jNS_24const_host_device_scalarIT6_EEPKS1_PKS2_PKT3_PKT4_S6_PT5_21rocsparse_index_base_b
		.amdhsa_group_segment_fixed_size 0
		.amdhsa_private_segment_fixed_size 0
		.amdhsa_kernarg_size 112
		.amdhsa_user_sgpr_count 2
		.amdhsa_user_sgpr_dispatch_ptr 0
		.amdhsa_user_sgpr_queue_ptr 0
		.amdhsa_user_sgpr_kernarg_segment_ptr 1
		.amdhsa_user_sgpr_dispatch_id 0
		.amdhsa_user_sgpr_kernarg_preload_length 0
		.amdhsa_user_sgpr_kernarg_preload_offset 0
		.amdhsa_user_sgpr_private_segment_size 0
		.amdhsa_wavefront_size32 1
		.amdhsa_uses_dynamic_stack 0
		.amdhsa_enable_private_segment 0
		.amdhsa_system_sgpr_workgroup_id_x 1
		.amdhsa_system_sgpr_workgroup_id_y 0
		.amdhsa_system_sgpr_workgroup_id_z 0
		.amdhsa_system_sgpr_workgroup_info 0
		.amdhsa_system_vgpr_workitem_id 0
		.amdhsa_next_free_vgpr 15
		.amdhsa_next_free_sgpr 16
		.amdhsa_named_barrier_count 0
		.amdhsa_reserve_vcc 1
		.amdhsa_float_round_mode_32 0
		.amdhsa_float_round_mode_16_64 0
		.amdhsa_float_denorm_mode_32 3
		.amdhsa_float_denorm_mode_16_64 3
		.amdhsa_fp16_overflow 0
		.amdhsa_memory_ordered 1
		.amdhsa_forward_progress 1
		.amdhsa_inst_pref_size 7
		.amdhsa_round_robin_scheduling 0
		.amdhsa_exception_fp_ieee_invalid_op 0
		.amdhsa_exception_fp_denorm_src 0
		.amdhsa_exception_fp_ieee_div_zero 0
		.amdhsa_exception_fp_ieee_overflow 0
		.amdhsa_exception_fp_ieee_underflow 0
		.amdhsa_exception_fp_ieee_inexact 0
		.amdhsa_exception_int_div_zero 0
	.end_amdhsa_kernel
	.section	.text._ZN9rocsparseL41csrmvn_lrb_medium_rows_warp_reduce_kernelILj256ELj32EllffffEEvbT1_lPT2_S3_jNS_24const_host_device_scalarIT6_EEPKS1_PKS2_PKT3_PKT4_S6_PT5_21rocsparse_index_base_b,"axG",@progbits,_ZN9rocsparseL41csrmvn_lrb_medium_rows_warp_reduce_kernelILj256ELj32EllffffEEvbT1_lPT2_S3_jNS_24const_host_device_scalarIT6_EEPKS1_PKS2_PKT3_PKT4_S6_PT5_21rocsparse_index_base_b,comdat
.Lfunc_end22:
	.size	_ZN9rocsparseL41csrmvn_lrb_medium_rows_warp_reduce_kernelILj256ELj32EllffffEEvbT1_lPT2_S3_jNS_24const_host_device_scalarIT6_EEPKS1_PKS2_PKT3_PKT4_S6_PT5_21rocsparse_index_base_b, .Lfunc_end22-_ZN9rocsparseL41csrmvn_lrb_medium_rows_warp_reduce_kernelILj256ELj32EllffffEEvbT1_lPT2_S3_jNS_24const_host_device_scalarIT6_EEPKS1_PKS2_PKT3_PKT4_S6_PT5_21rocsparse_index_base_b
                                        ; -- End function
	.set _ZN9rocsparseL41csrmvn_lrb_medium_rows_warp_reduce_kernelILj256ELj32EllffffEEvbT1_lPT2_S3_jNS_24const_host_device_scalarIT6_EEPKS1_PKS2_PKT3_PKT4_S6_PT5_21rocsparse_index_base_b.num_vgpr, 15
	.set _ZN9rocsparseL41csrmvn_lrb_medium_rows_warp_reduce_kernelILj256ELj32EllffffEEvbT1_lPT2_S3_jNS_24const_host_device_scalarIT6_EEPKS1_PKS2_PKT3_PKT4_S6_PT5_21rocsparse_index_base_b.num_agpr, 0
	.set _ZN9rocsparseL41csrmvn_lrb_medium_rows_warp_reduce_kernelILj256ELj32EllffffEEvbT1_lPT2_S3_jNS_24const_host_device_scalarIT6_EEPKS1_PKS2_PKT3_PKT4_S6_PT5_21rocsparse_index_base_b.numbered_sgpr, 16
	.set _ZN9rocsparseL41csrmvn_lrb_medium_rows_warp_reduce_kernelILj256ELj32EllffffEEvbT1_lPT2_S3_jNS_24const_host_device_scalarIT6_EEPKS1_PKS2_PKT3_PKT4_S6_PT5_21rocsparse_index_base_b.num_named_barrier, 0
	.set _ZN9rocsparseL41csrmvn_lrb_medium_rows_warp_reduce_kernelILj256ELj32EllffffEEvbT1_lPT2_S3_jNS_24const_host_device_scalarIT6_EEPKS1_PKS2_PKT3_PKT4_S6_PT5_21rocsparse_index_base_b.private_seg_size, 0
	.set _ZN9rocsparseL41csrmvn_lrb_medium_rows_warp_reduce_kernelILj256ELj32EllffffEEvbT1_lPT2_S3_jNS_24const_host_device_scalarIT6_EEPKS1_PKS2_PKT3_PKT4_S6_PT5_21rocsparse_index_base_b.uses_vcc, 1
	.set _ZN9rocsparseL41csrmvn_lrb_medium_rows_warp_reduce_kernelILj256ELj32EllffffEEvbT1_lPT2_S3_jNS_24const_host_device_scalarIT6_EEPKS1_PKS2_PKT3_PKT4_S6_PT5_21rocsparse_index_base_b.uses_flat_scratch, 0
	.set _ZN9rocsparseL41csrmvn_lrb_medium_rows_warp_reduce_kernelILj256ELj32EllffffEEvbT1_lPT2_S3_jNS_24const_host_device_scalarIT6_EEPKS1_PKS2_PKT3_PKT4_S6_PT5_21rocsparse_index_base_b.has_dyn_sized_stack, 0
	.set _ZN9rocsparseL41csrmvn_lrb_medium_rows_warp_reduce_kernelILj256ELj32EllffffEEvbT1_lPT2_S3_jNS_24const_host_device_scalarIT6_EEPKS1_PKS2_PKT3_PKT4_S6_PT5_21rocsparse_index_base_b.has_recursion, 0
	.set _ZN9rocsparseL41csrmvn_lrb_medium_rows_warp_reduce_kernelILj256ELj32EllffffEEvbT1_lPT2_S3_jNS_24const_host_device_scalarIT6_EEPKS1_PKS2_PKT3_PKT4_S6_PT5_21rocsparse_index_base_b.has_indirect_call, 0
	.section	.AMDGPU.csdata,"",@progbits
; Kernel info:
; codeLenInByte = 832
; TotalNumSgprs: 18
; NumVgprs: 15
; ScratchSize: 0
; MemoryBound: 0
; FloatMode: 240
; IeeeMode: 1
; LDSByteSize: 0 bytes/workgroup (compile time only)
; SGPRBlocks: 0
; VGPRBlocks: 0
; NumSGPRsForWavesPerEU: 18
; NumVGPRsForWavesPerEU: 15
; NamedBarCnt: 0
; Occupancy: 16
; WaveLimiterHint : 1
; COMPUTE_PGM_RSRC2:SCRATCH_EN: 0
; COMPUTE_PGM_RSRC2:USER_SGPR: 2
; COMPUTE_PGM_RSRC2:TRAP_HANDLER: 0
; COMPUTE_PGM_RSRC2:TGID_X_EN: 1
; COMPUTE_PGM_RSRC2:TGID_Y_EN: 0
; COMPUTE_PGM_RSRC2:TGID_Z_EN: 0
; COMPUTE_PGM_RSRC2:TIDIG_COMP_CNT: 0
	.section	.text._ZN9rocsparseL41csrmvn_lrb_medium_rows_warp_reduce_kernelILj256ELj64EllffffEEvbT1_lPT2_S3_jNS_24const_host_device_scalarIT6_EEPKS1_PKS2_PKT3_PKT4_S6_PT5_21rocsparse_index_base_b,"axG",@progbits,_ZN9rocsparseL41csrmvn_lrb_medium_rows_warp_reduce_kernelILj256ELj64EllffffEEvbT1_lPT2_S3_jNS_24const_host_device_scalarIT6_EEPKS1_PKS2_PKT3_PKT4_S6_PT5_21rocsparse_index_base_b,comdat
	.globl	_ZN9rocsparseL41csrmvn_lrb_medium_rows_warp_reduce_kernelILj256ELj64EllffffEEvbT1_lPT2_S3_jNS_24const_host_device_scalarIT6_EEPKS1_PKS2_PKT3_PKT4_S6_PT5_21rocsparse_index_base_b ; -- Begin function _ZN9rocsparseL41csrmvn_lrb_medium_rows_warp_reduce_kernelILj256ELj64EllffffEEvbT1_lPT2_S3_jNS_24const_host_device_scalarIT6_EEPKS1_PKS2_PKT3_PKT4_S6_PT5_21rocsparse_index_base_b
	.p2align	8
	.type	_ZN9rocsparseL41csrmvn_lrb_medium_rows_warp_reduce_kernelILj256ELj64EllffffEEvbT1_lPT2_S3_jNS_24const_host_device_scalarIT6_EEPKS1_PKS2_PKT3_PKT4_S6_PT5_21rocsparse_index_base_b,@function
_ZN9rocsparseL41csrmvn_lrb_medium_rows_warp_reduce_kernelILj256ELj64EllffffEEvbT1_lPT2_S3_jNS_24const_host_device_scalarIT6_EEPKS1_PKS2_PKT3_PKT4_S6_PT5_21rocsparse_index_base_b: ; @_ZN9rocsparseL41csrmvn_lrb_medium_rows_warp_reduce_kernelILj256ELj64EllffffEEvbT1_lPT2_S3_jNS_24const_host_device_scalarIT6_EEPKS1_PKS2_PKT3_PKT4_S6_PT5_21rocsparse_index_base_b
; %bb.0:
	s_clause 0x2
	s_load_b64 s[4:5], s[0:1], 0x68
	s_load_b64 s[6:7], s[0:1], 0x30
	;; [unrolled: 1-line block ×3, first 2 shown]
	s_wait_kmcnt 0x0
	s_bitcmp1_b32 s5, 0
	s_cselect_b32 s5, -1, 0
	s_delay_alu instid0(SALU_CYCLE_1)
	s_and_b32 vcc_lo, exec_lo, s5
	s_xor_b32 s5, s5, -1
	s_cbranch_vccnz .LBB23_2
; %bb.1:
	s_load_b32 s6, s[6:7], 0x0
.LBB23_2:
	s_and_not1_b32 vcc_lo, exec_lo, s5
	s_cbranch_vccnz .LBB23_4
; %bb.3:
	s_load_b32 s2, s[2:3], 0x0
.LBB23_4:
	s_wait_kmcnt 0x0
	s_cmp_neq_f32 s6, 0
	s_cselect_b32 s3, -1, 0
	s_cmp_neq_f32 s2, 1.0
	s_cselect_b32 s5, -1, 0
	s_delay_alu instid0(SALU_CYCLE_1) | instskip(NEXT) | instid1(SALU_CYCLE_1)
	s_or_b32 s3, s3, s5
	s_and_not1_b32 vcc_lo, exec_lo, s3
	s_cbranch_vccnz .LBB23_14
; %bb.5:
	s_bfe_u32 s3, ttmp6, 0x4000c
	s_load_b64 s[8:9], s[0:1], 0x10
	s_add_co_i32 s3, s3, 1
	s_and_b32 s5, ttmp6, 15
	s_mul_i32 s3, ttmp9, s3
	s_getreg_b32 s7, hwreg(HW_REG_IB_STS2, 6, 4)
	v_lshrrev_b32_e32 v1, 6, v0
	s_add_co_i32 s5, s5, s3
	s_cmp_eq_u32 s7, 0
	s_cselect_b32 s3, ttmp9, s5
	s_delay_alu instid0(VALU_DEP_1) | instid1(SALU_CYCLE_1)
	v_lshl_or_b32 v2, s3, 2, v1
	s_mov_b32 s3, exec_lo
	s_delay_alu instid0(VALU_DEP_1) | instskip(SKIP_1) | instid1(VALU_DEP_1)
	v_ashrrev_i32_e32 v3, 31, v2
	s_wait_kmcnt 0x0
	v_cmpx_gt_i64_e64 s[8:9], v[2:3]
	s_cbranch_execz .LBB23_14
; %bb.6:
	s_clause 0x1
	s_load_b128 s[8:11], s[0:1], 0x18
	s_load_b32 s3, s[0:1], 0x28
	v_dual_mov_b32 v1, 0 :: v_dual_bitop2_b32 v0, 63, v0 bitop3:0x40
	s_mov_b32 s5, 0
	s_delay_alu instid0(VALU_DEP_1) | instid1(SALU_CYCLE_1)
	v_sub_nc_u64_e64 v[10:11], v[0:1], s[4:5]
	s_wait_kmcnt 0x0
	s_load_b64 s[10:11], s[10:11], s3 offset:0x0 scale_offset
	s_wait_xcnt 0x0
	s_mov_b32 s3, exec_lo
	s_wait_kmcnt 0x0
	s_lshl_b64 s[10:11], s[10:11], 3
	s_delay_alu instid0(SALU_CYCLE_1) | instskip(NEXT) | instid1(SALU_CYCLE_1)
	s_add_nc_u64 s[8:9], s[8:9], s[10:11]
	v_lshl_add_u64 v[2:3], v[2:3], 3, s[8:9]
	s_load_b64 s[8:9], s[0:1], 0x38
	global_load_b64 v[2:3], v[2:3], off
	s_wait_loadcnt 0x0
	s_wait_kmcnt 0x0
	v_lshl_add_u64 v[4:5], v[2:3], 3, s[8:9]
	global_load_b128 v[6:9], v[4:5], off
	s_wait_loadcnt 0x0
	v_sub_nc_u64_e64 v[4:5], v[8:9], s[4:5]
	v_add_nc_u64_e32 v[6:7], v[6:7], v[10:11]
	s_delay_alu instid0(VALU_DEP_1)
	v_cmpx_lt_i64_e64 v[6:7], v[4:5]
	s_cbranch_execz .LBB23_10
; %bb.7:
	s_clause 0x1
	s_load_b128 s[12:15], s[0:1], 0x40
	s_load_b64 s[8:9], s[0:1], 0x50
	v_mov_b32_e32 v1, 0
	s_mov_b32 s7, s5
	s_wait_kmcnt 0x0
	v_lshl_add_u64 v[8:9], v[6:7], 2, s[14:15]
	v_lshl_add_u64 v[10:11], v[6:7], 3, s[12:13]
.LBB23_8:                               ; =>This Inner Loop Header: Depth=1
	global_load_b64 v[12:13], v[10:11], off
	global_load_b32 v14, v[8:9], off
	v_add_nc_u64_e32 v[6:7], 64, v[6:7]
	s_wait_xcnt 0x0
	v_add_nc_u64_e32 v[8:9], 0x100, v[8:9]
	v_add_nc_u64_e32 v[10:11], 0x200, v[10:11]
	s_delay_alu instid0(VALU_DEP_3) | instskip(SKIP_3) | instid1(VALU_DEP_1)
	v_cmp_ge_i64_e32 vcc_lo, v[6:7], v[4:5]
	s_or_b32 s7, vcc_lo, s7
	s_wait_loadcnt 0x1
	v_sub_nc_u64_e64 v[12:13], v[12:13], s[4:5]
	v_lshl_add_u64 v[12:13], v[12:13], 2, s[8:9]
	global_load_b32 v12, v[12:13], off
	s_wait_loadcnt 0x1
	s_wait_xcnt 0x0
	v_mul_f32_e32 v13, s6, v14
	s_wait_loadcnt 0x0
	s_delay_alu instid0(VALU_DEP_1)
	v_fmac_f32_e32 v1, v13, v12
	s_and_not1_b32 exec_lo, exec_lo, s7
	s_cbranch_execnz .LBB23_8
; %bb.9:
	s_or_b32 exec_lo, exec_lo, s7
.LBB23_10:
	s_delay_alu instid0(SALU_CYCLE_1) | instskip(SKIP_2) | instid1(VALU_DEP_1)
	s_or_b32 exec_lo, exec_lo, s3
	v_mbcnt_lo_u32_b32 v4, -1, 0
	s_load_b64 s[0:1], s[0:1], 0x60
	v_xor_b32_e32 v6, 16, v4
	v_or_b32_e32 v5, 32, v4
	s_delay_alu instid0(VALU_DEP_1) | instskip(SKIP_1) | instid1(VALU_DEP_4)
	v_cmp_gt_i32_e32 vcc_lo, 32, v5
	v_cndmask_b32_e32 v5, v4, v5, vcc_lo
	v_cmp_gt_i32_e32 vcc_lo, 32, v6
	v_cndmask_b32_e32 v6, v4, v6, vcc_lo
	s_delay_alu instid0(VALU_DEP_1)
	v_dual_lshlrev_b32 v6, 2, v6 :: v_dual_lshlrev_b32 v5, 2, v5
	ds_bpermute_b32 v5, v5, v1
	s_wait_dscnt 0x0
	v_add_f32_e32 v1, v1, v5
	ds_bpermute_b32 v5, v6, v1
	v_xor_b32_e32 v6, 8, v4
	s_delay_alu instid0(VALU_DEP_1) | instskip(SKIP_2) | instid1(VALU_DEP_1)
	v_cmp_gt_i32_e32 vcc_lo, 32, v6
	s_wait_dscnt 0x0
	v_dual_cndmask_b32 v6, v4, v6 :: v_dual_add_f32 v1, v1, v5
	v_lshlrev_b32_e32 v6, 2, v6
	ds_bpermute_b32 v5, v6, v1
	s_wait_dscnt 0x0
	v_dual_add_f32 v1, v1, v5 :: v_dual_bitop2_b32 v6, 4, v4 bitop3:0x14
	s_delay_alu instid0(VALU_DEP_1) | instskip(SKIP_1) | instid1(VALU_DEP_1)
	v_cmp_gt_i32_e32 vcc_lo, 32, v6
	v_cndmask_b32_e32 v6, v4, v6, vcc_lo
	v_lshlrev_b32_e32 v6, 2, v6
	ds_bpermute_b32 v5, v6, v1
	v_xor_b32_e32 v6, 2, v4
	s_delay_alu instid0(VALU_DEP_1) | instskip(SKIP_2) | instid1(VALU_DEP_1)
	v_cmp_gt_i32_e32 vcc_lo, 32, v6
	v_cndmask_b32_e32 v6, v4, v6, vcc_lo
	s_wait_dscnt 0x0
	v_dual_add_f32 v1, v1, v5 :: v_dual_lshlrev_b32 v6, 2, v6
	ds_bpermute_b32 v5, v6, v1
	v_xor_b32_e32 v6, 1, v4
	s_delay_alu instid0(VALU_DEP_1) | instskip(SKIP_3) | instid1(VALU_DEP_2)
	v_cmp_gt_i32_e32 vcc_lo, 32, v6
	v_cndmask_b32_e32 v4, v4, v6, vcc_lo
	v_cmp_eq_u32_e32 vcc_lo, 63, v0
	s_wait_dscnt 0x0
	v_dual_add_f32 v1, v1, v5 :: v_dual_lshlrev_b32 v4, 2, v4
	ds_bpermute_b32 v4, v4, v1
	s_and_b32 exec_lo, exec_lo, vcc_lo
	s_cbranch_execz .LBB23_14
; %bb.11:
	s_wait_dscnt 0x0
	v_add_f32_e32 v4, v1, v4
	s_wait_kmcnt 0x0
	v_lshl_add_u64 v[0:1], v[2:3], 2, s[0:1]
	s_cmp_eq_f32 s2, 0
	s_cbranch_scc1 .LBB23_13
; %bb.12:
	global_load_b32 v2, v[0:1], off
	s_wait_loadcnt 0x0
	v_fmac_f32_e32 v4, s2, v2
.LBB23_13:
	global_store_b32 v[0:1], v4, off
.LBB23_14:
	s_endpgm
	.section	.rodata,"a",@progbits
	.p2align	6, 0x0
	.amdhsa_kernel _ZN9rocsparseL41csrmvn_lrb_medium_rows_warp_reduce_kernelILj256ELj64EllffffEEvbT1_lPT2_S3_jNS_24const_host_device_scalarIT6_EEPKS1_PKS2_PKT3_PKT4_S6_PT5_21rocsparse_index_base_b
		.amdhsa_group_segment_fixed_size 0
		.amdhsa_private_segment_fixed_size 0
		.amdhsa_kernarg_size 112
		.amdhsa_user_sgpr_count 2
		.amdhsa_user_sgpr_dispatch_ptr 0
		.amdhsa_user_sgpr_queue_ptr 0
		.amdhsa_user_sgpr_kernarg_segment_ptr 1
		.amdhsa_user_sgpr_dispatch_id 0
		.amdhsa_user_sgpr_kernarg_preload_length 0
		.amdhsa_user_sgpr_kernarg_preload_offset 0
		.amdhsa_user_sgpr_private_segment_size 0
		.amdhsa_wavefront_size32 1
		.amdhsa_uses_dynamic_stack 0
		.amdhsa_enable_private_segment 0
		.amdhsa_system_sgpr_workgroup_id_x 1
		.amdhsa_system_sgpr_workgroup_id_y 0
		.amdhsa_system_sgpr_workgroup_id_z 0
		.amdhsa_system_sgpr_workgroup_info 0
		.amdhsa_system_vgpr_workitem_id 0
		.amdhsa_next_free_vgpr 15
		.amdhsa_next_free_sgpr 16
		.amdhsa_named_barrier_count 0
		.amdhsa_reserve_vcc 1
		.amdhsa_float_round_mode_32 0
		.amdhsa_float_round_mode_16_64 0
		.amdhsa_float_denorm_mode_32 3
		.amdhsa_float_denorm_mode_16_64 3
		.amdhsa_fp16_overflow 0
		.amdhsa_memory_ordered 1
		.amdhsa_forward_progress 1
		.amdhsa_inst_pref_size 7
		.amdhsa_round_robin_scheduling 0
		.amdhsa_exception_fp_ieee_invalid_op 0
		.amdhsa_exception_fp_denorm_src 0
		.amdhsa_exception_fp_ieee_div_zero 0
		.amdhsa_exception_fp_ieee_overflow 0
		.amdhsa_exception_fp_ieee_underflow 0
		.amdhsa_exception_fp_ieee_inexact 0
		.amdhsa_exception_int_div_zero 0
	.end_amdhsa_kernel
	.section	.text._ZN9rocsparseL41csrmvn_lrb_medium_rows_warp_reduce_kernelILj256ELj64EllffffEEvbT1_lPT2_S3_jNS_24const_host_device_scalarIT6_EEPKS1_PKS2_PKT3_PKT4_S6_PT5_21rocsparse_index_base_b,"axG",@progbits,_ZN9rocsparseL41csrmvn_lrb_medium_rows_warp_reduce_kernelILj256ELj64EllffffEEvbT1_lPT2_S3_jNS_24const_host_device_scalarIT6_EEPKS1_PKS2_PKT3_PKT4_S6_PT5_21rocsparse_index_base_b,comdat
.Lfunc_end23:
	.size	_ZN9rocsparseL41csrmvn_lrb_medium_rows_warp_reduce_kernelILj256ELj64EllffffEEvbT1_lPT2_S3_jNS_24const_host_device_scalarIT6_EEPKS1_PKS2_PKT3_PKT4_S6_PT5_21rocsparse_index_base_b, .Lfunc_end23-_ZN9rocsparseL41csrmvn_lrb_medium_rows_warp_reduce_kernelILj256ELj64EllffffEEvbT1_lPT2_S3_jNS_24const_host_device_scalarIT6_EEPKS1_PKS2_PKT3_PKT4_S6_PT5_21rocsparse_index_base_b
                                        ; -- End function
	.set _ZN9rocsparseL41csrmvn_lrb_medium_rows_warp_reduce_kernelILj256ELj64EllffffEEvbT1_lPT2_S3_jNS_24const_host_device_scalarIT6_EEPKS1_PKS2_PKT3_PKT4_S6_PT5_21rocsparse_index_base_b.num_vgpr, 15
	.set _ZN9rocsparseL41csrmvn_lrb_medium_rows_warp_reduce_kernelILj256ELj64EllffffEEvbT1_lPT2_S3_jNS_24const_host_device_scalarIT6_EEPKS1_PKS2_PKT3_PKT4_S6_PT5_21rocsparse_index_base_b.num_agpr, 0
	.set _ZN9rocsparseL41csrmvn_lrb_medium_rows_warp_reduce_kernelILj256ELj64EllffffEEvbT1_lPT2_S3_jNS_24const_host_device_scalarIT6_EEPKS1_PKS2_PKT3_PKT4_S6_PT5_21rocsparse_index_base_b.numbered_sgpr, 16
	.set _ZN9rocsparseL41csrmvn_lrb_medium_rows_warp_reduce_kernelILj256ELj64EllffffEEvbT1_lPT2_S3_jNS_24const_host_device_scalarIT6_EEPKS1_PKS2_PKT3_PKT4_S6_PT5_21rocsparse_index_base_b.num_named_barrier, 0
	.set _ZN9rocsparseL41csrmvn_lrb_medium_rows_warp_reduce_kernelILj256ELj64EllffffEEvbT1_lPT2_S3_jNS_24const_host_device_scalarIT6_EEPKS1_PKS2_PKT3_PKT4_S6_PT5_21rocsparse_index_base_b.private_seg_size, 0
	.set _ZN9rocsparseL41csrmvn_lrb_medium_rows_warp_reduce_kernelILj256ELj64EllffffEEvbT1_lPT2_S3_jNS_24const_host_device_scalarIT6_EEPKS1_PKS2_PKT3_PKT4_S6_PT5_21rocsparse_index_base_b.uses_vcc, 1
	.set _ZN9rocsparseL41csrmvn_lrb_medium_rows_warp_reduce_kernelILj256ELj64EllffffEEvbT1_lPT2_S3_jNS_24const_host_device_scalarIT6_EEPKS1_PKS2_PKT3_PKT4_S6_PT5_21rocsparse_index_base_b.uses_flat_scratch, 0
	.set _ZN9rocsparseL41csrmvn_lrb_medium_rows_warp_reduce_kernelILj256ELj64EllffffEEvbT1_lPT2_S3_jNS_24const_host_device_scalarIT6_EEPKS1_PKS2_PKT3_PKT4_S6_PT5_21rocsparse_index_base_b.has_dyn_sized_stack, 0
	.set _ZN9rocsparseL41csrmvn_lrb_medium_rows_warp_reduce_kernelILj256ELj64EllffffEEvbT1_lPT2_S3_jNS_24const_host_device_scalarIT6_EEPKS1_PKS2_PKT3_PKT4_S6_PT5_21rocsparse_index_base_b.has_recursion, 0
	.set _ZN9rocsparseL41csrmvn_lrb_medium_rows_warp_reduce_kernelILj256ELj64EllffffEEvbT1_lPT2_S3_jNS_24const_host_device_scalarIT6_EEPKS1_PKS2_PKT3_PKT4_S6_PT5_21rocsparse_index_base_b.has_indirect_call, 0
	.section	.AMDGPU.csdata,"",@progbits
; Kernel info:
; codeLenInByte = 868
; TotalNumSgprs: 18
; NumVgprs: 15
; ScratchSize: 0
; MemoryBound: 0
; FloatMode: 240
; IeeeMode: 1
; LDSByteSize: 0 bytes/workgroup (compile time only)
; SGPRBlocks: 0
; VGPRBlocks: 0
; NumSGPRsForWavesPerEU: 18
; NumVGPRsForWavesPerEU: 15
; NamedBarCnt: 0
; Occupancy: 16
; WaveLimiterHint : 1
; COMPUTE_PGM_RSRC2:SCRATCH_EN: 0
; COMPUTE_PGM_RSRC2:USER_SGPR: 2
; COMPUTE_PGM_RSRC2:TRAP_HANDLER: 0
; COMPUTE_PGM_RSRC2:TGID_X_EN: 1
; COMPUTE_PGM_RSRC2:TGID_Y_EN: 0
; COMPUTE_PGM_RSRC2:TGID_Z_EN: 0
; COMPUTE_PGM_RSRC2:TIDIG_COMP_CNT: 0
	.section	.text._ZN9rocsparseL29csrmvn_lrb_medium_rows_kernelILj256EllffffEEvbT0_PT1_S3_jNS_24const_host_device_scalarIT5_EEPKS1_PKS2_PKT2_PKT3_S6_PT4_21rocsparse_index_base_b,"axG",@progbits,_ZN9rocsparseL29csrmvn_lrb_medium_rows_kernelILj256EllffffEEvbT0_PT1_S3_jNS_24const_host_device_scalarIT5_EEPKS1_PKS2_PKT2_PKT3_S6_PT4_21rocsparse_index_base_b,comdat
	.globl	_ZN9rocsparseL29csrmvn_lrb_medium_rows_kernelILj256EllffffEEvbT0_PT1_S3_jNS_24const_host_device_scalarIT5_EEPKS1_PKS2_PKT2_PKT3_S6_PT4_21rocsparse_index_base_b ; -- Begin function _ZN9rocsparseL29csrmvn_lrb_medium_rows_kernelILj256EllffffEEvbT0_PT1_S3_jNS_24const_host_device_scalarIT5_EEPKS1_PKS2_PKT2_PKT3_S6_PT4_21rocsparse_index_base_b
	.p2align	8
	.type	_ZN9rocsparseL29csrmvn_lrb_medium_rows_kernelILj256EllffffEEvbT0_PT1_S3_jNS_24const_host_device_scalarIT5_EEPKS1_PKS2_PKT2_PKT3_S6_PT4_21rocsparse_index_base_b,@function
_ZN9rocsparseL29csrmvn_lrb_medium_rows_kernelILj256EllffffEEvbT0_PT1_S3_jNS_24const_host_device_scalarIT5_EEPKS1_PKS2_PKT2_PKT3_S6_PT4_21rocsparse_index_base_b: ; @_ZN9rocsparseL29csrmvn_lrb_medium_rows_kernelILj256EllffffEEvbT0_PT1_S3_jNS_24const_host_device_scalarIT5_EEPKS1_PKS2_PKT2_PKT3_S6_PT4_21rocsparse_index_base_b
; %bb.0:
	s_clause 0x2
	s_load_b64 s[6:7], s[0:1], 0x60
	s_load_b64 s[8:9], s[0:1], 0x28
	;; [unrolled: 1-line block ×3, first 2 shown]
	s_wait_kmcnt 0x0
	s_bitcmp1_b32 s7, 0
	s_cselect_b32 s4, -1, 0
	s_delay_alu instid0(SALU_CYCLE_1)
	s_and_b32 vcc_lo, exec_lo, s4
	s_xor_b32 s4, s4, -1
	s_cbranch_vccnz .LBB24_2
; %bb.1:
	s_load_b32 s8, s[8:9], 0x0
.LBB24_2:
	s_and_not1_b32 vcc_lo, exec_lo, s4
	s_cbranch_vccnz .LBB24_4
; %bb.3:
	s_load_b32 s2, s[2:3], 0x0
.LBB24_4:
	s_wait_kmcnt 0x0
	s_cmp_neq_f32 s8, 0
	s_mov_b32 s7, 0
	s_cselect_b32 s3, -1, 0
	s_cmp_neq_f32 s2, 1.0
	s_cselect_b32 s4, -1, 0
	s_delay_alu instid0(SALU_CYCLE_1) | instskip(NEXT) | instid1(SALU_CYCLE_1)
	s_or_b32 s3, s3, s4
	s_and_not1_b32 vcc_lo, exec_lo, s3
	s_cbranch_vccnz .LBB24_29
; %bb.5:
	s_clause 0x1
	s_load_b128 s[12:15], s[0:1], 0x10
	s_load_b32 s3, s[0:1], 0x20
	s_and_b32 s9, ttmp6, 15
	s_getreg_b32 s10, hwreg(HW_REG_IB_STS2, 6, 4)
	v_mov_b32_e32 v1, 0
	s_delay_alu instid0(VALU_DEP_1) | instskip(SKIP_4) | instid1(SALU_CYCLE_1)
	v_sub_nc_u64_e64 v[2:3], v[0:1], s[6:7]
	s_wait_kmcnt 0x0
	s_load_b64 s[4:5], s[14:15], s3 offset:0x0 scale_offset
	s_wait_xcnt 0x0
	s_bfe_u32 s3, ttmp6, 0x4000c
	s_add_co_i32 s3, s3, 1
	s_delay_alu instid0(SALU_CYCLE_1) | instskip(NEXT) | instid1(SALU_CYCLE_1)
	s_mul_i32 s3, ttmp9, s3
	s_add_co_i32 s9, s9, s3
	s_cmp_eq_u32 s10, 0
	s_mov_b32 s3, exec_lo
	s_cselect_b32 s10, ttmp9, s9
	s_delay_alu instid0(SALU_CYCLE_1) | instskip(NEXT) | instid1(SALU_CYCLE_1)
	s_ashr_i32 s11, s10, 31
	s_lshl_b64 s[10:11], s[10:11], 3
	s_wait_kmcnt 0x0
	s_lshl_b64 s[4:5], s[4:5], 3
	s_delay_alu instid0(SALU_CYCLE_1) | instskip(NEXT) | instid1(SALU_CYCLE_1)
	s_add_nc_u64 s[4:5], s[12:13], s[4:5]
	s_add_nc_u64 s[10:11], s[4:5], s[10:11]
	s_load_b64 s[4:5], s[10:11], 0x0
	s_load_b64 s[12:13], s[0:1], 0x30
	s_wait_kmcnt 0x0
	s_lshl_b64 s[10:11], s[4:5], 3
	s_delay_alu instid0(SALU_CYCLE_1)
	s_add_nc_u64 s[10:11], s[12:13], s[10:11]
	s_load_b128 s[12:15], s[10:11], 0x0
	s_wait_kmcnt 0x0
	v_add_nc_u64_e32 v[2:3], s[12:13], v[2:3]
	s_sub_nc_u64 s[10:11], s[14:15], s[6:7]
	s_delay_alu instid0(VALU_DEP_1) | instid1(SALU_CYCLE_1)
	v_cmpx_gt_i64_e64 s[10:11], v[2:3]
	s_cbranch_execz .LBB24_9
; %bb.6:
	s_clause 0x1
	s_load_b128 s[16:19], s[0:1], 0x38
	s_load_b64 s[12:13], s[0:1], 0x48
	v_mov_b32_e32 v1, 0
	s_mov_b32 s9, 0
	s_wait_kmcnt 0x0
	v_lshl_add_u64 v[4:5], v[2:3], 2, s[18:19]
	v_lshl_add_u64 v[6:7], v[2:3], 3, s[16:17]
.LBB24_7:                               ; =>This Inner Loop Header: Depth=1
	global_load_b64 v[8:9], v[6:7], off
	global_load_b32 v10, v[4:5], off
	v_add_nc_u64_e32 v[2:3], 0x100, v[2:3]
	s_wait_xcnt 0x0
	v_add_nc_u64_e32 v[4:5], 0x400, v[4:5]
	v_add_nc_u64_e32 v[6:7], 0x800, v[6:7]
	s_delay_alu instid0(VALU_DEP_3) | instskip(SKIP_3) | instid1(VALU_DEP_1)
	v_cmp_le_i64_e32 vcc_lo, s[10:11], v[2:3]
	s_or_b32 s9, vcc_lo, s9
	s_wait_loadcnt 0x1
	v_sub_nc_u64_e64 v[8:9], v[8:9], s[6:7]
	v_lshl_add_u64 v[8:9], v[8:9], 2, s[12:13]
	global_load_b32 v8, v[8:9], off
	s_wait_loadcnt 0x1
	s_wait_xcnt 0x0
	v_mul_f32_e32 v9, s8, v10
	s_wait_loadcnt 0x0
	s_delay_alu instid0(VALU_DEP_1)
	v_fmac_f32_e32 v1, v9, v8
	s_and_not1_b32 exec_lo, exec_lo, s9
	s_cbranch_execnz .LBB24_7
; %bb.8:
	s_or_b32 exec_lo, exec_lo, s9
.LBB24_9:
	s_delay_alu instid0(SALU_CYCLE_1)
	s_or_b32 exec_lo, exec_lo, s3
	s_load_b64 s[0:1], s[0:1], 0x58
	v_lshlrev_b32_e32 v2, 2, v0
	s_mov_b32 s3, exec_lo
	ds_store_b32 v2, v1
	s_wait_dscnt 0x0
	s_barrier_signal -1
	s_barrier_wait -1
	v_cmpx_gt_u32_e32 0x80, v0
	s_cbranch_execz .LBB24_11
; %bb.10:
	ds_load_2addr_stride64_b32 v[4:5], v2 offset1:2
	s_wait_dscnt 0x0
	v_add_f32_e32 v1, v4, v5
	ds_store_b32 v2, v1
.LBB24_11:
	s_or_b32 exec_lo, exec_lo, s3
	s_delay_alu instid0(SALU_CYCLE_1)
	s_mov_b32 s3, exec_lo
	s_wait_dscnt 0x0
	s_barrier_signal -1
	s_barrier_wait -1
	v_cmpx_gt_u32_e32 64, v0
	s_cbranch_execz .LBB24_13
; %bb.12:
	ds_load_2addr_stride64_b32 v[4:5], v2 offset1:1
	s_wait_dscnt 0x0
	v_add_f32_e32 v1, v4, v5
	ds_store_b32 v2, v1
.LBB24_13:
	s_or_b32 exec_lo, exec_lo, s3
	s_delay_alu instid0(SALU_CYCLE_1)
	s_mov_b32 s3, exec_lo
	s_wait_dscnt 0x0
	s_barrier_signal -1
	s_barrier_wait -1
	v_cmpx_gt_u32_e32 32, v0
	s_cbranch_execz .LBB24_15
; %bb.14:
	ds_load_2addr_b32 v[4:5], v2 offset1:32
	s_wait_dscnt 0x0
	v_add_f32_e32 v1, v4, v5
	ds_store_b32 v2, v1
.LBB24_15:
	s_or_b32 exec_lo, exec_lo, s3
	s_delay_alu instid0(SALU_CYCLE_1)
	s_mov_b32 s3, exec_lo
	s_wait_dscnt 0x0
	s_barrier_signal -1
	s_barrier_wait -1
	v_cmpx_gt_u32_e32 16, v0
	s_cbranch_execz .LBB24_17
; %bb.16:
	ds_load_2addr_b32 v[4:5], v2 offset1:16
	s_wait_dscnt 0x0
	v_add_f32_e32 v1, v4, v5
	ds_store_b32 v2, v1
.LBB24_17:
	;; [unrolled: 14-line block ×5, first 2 shown]
	s_or_b32 exec_lo, exec_lo, s3
	v_cmp_eq_u32_e32 vcc_lo, 0, v0
	s_wait_dscnt 0x0
	s_barrier_signal -1
	s_barrier_wait -1
	s_and_saveexec_b32 s3, vcc_lo
	s_cbranch_execz .LBB24_25
; %bb.24:
	v_mov_b32_e32 v2, 0
	ds_load_b64 v[0:1], v2
	s_wait_dscnt 0x0
	v_add_f32_e32 v0, v0, v1
	ds_store_b32 v2, v0
.LBB24_25:
	s_or_b32 exec_lo, exec_lo, s3
	s_wait_dscnt 0x0
	s_barrier_signal -1
	s_barrier_wait -1
	s_and_saveexec_b32 s3, vcc_lo
	s_cbranch_execz .LBB24_29
; %bb.26:
	v_mov_b32_e32 v0, 0
	s_cmp_eq_f32 s2, 0
	ds_load_b32 v1, v0
	s_cbranch_scc1 .LBB24_28
; %bb.27:
	s_lshl_b64 s[6:7], s[4:5], 2
	s_wait_kmcnt 0x0
	s_add_nc_u64 s[6:7], s[0:1], s[6:7]
	s_load_b32 s3, s[6:7], 0x0
	s_wait_dscnt 0x0
	s_wait_kmcnt 0x0
	v_fmac_f32_e64 v1, s2, s3
.LBB24_28:
	s_lshl_b64 s[2:3], s[4:5], 2
	s_wait_kmcnt 0x0
	s_add_nc_u64 s[0:1], s[0:1], s[2:3]
	s_wait_dscnt 0x0
	global_store_b32 v0, v1, s[0:1]
.LBB24_29:
	s_endpgm
	.section	.rodata,"a",@progbits
	.p2align	6, 0x0
	.amdhsa_kernel _ZN9rocsparseL29csrmvn_lrb_medium_rows_kernelILj256EllffffEEvbT0_PT1_S3_jNS_24const_host_device_scalarIT5_EEPKS1_PKS2_PKT2_PKT3_S6_PT4_21rocsparse_index_base_b
		.amdhsa_group_segment_fixed_size 1024
		.amdhsa_private_segment_fixed_size 0
		.amdhsa_kernarg_size 104
		.amdhsa_user_sgpr_count 2
		.amdhsa_user_sgpr_dispatch_ptr 0
		.amdhsa_user_sgpr_queue_ptr 0
		.amdhsa_user_sgpr_kernarg_segment_ptr 1
		.amdhsa_user_sgpr_dispatch_id 0
		.amdhsa_user_sgpr_kernarg_preload_length 0
		.amdhsa_user_sgpr_kernarg_preload_offset 0
		.amdhsa_user_sgpr_private_segment_size 0
		.amdhsa_wavefront_size32 1
		.amdhsa_uses_dynamic_stack 0
		.amdhsa_enable_private_segment 0
		.amdhsa_system_sgpr_workgroup_id_x 1
		.amdhsa_system_sgpr_workgroup_id_y 0
		.amdhsa_system_sgpr_workgroup_id_z 0
		.amdhsa_system_sgpr_workgroup_info 0
		.amdhsa_system_vgpr_workitem_id 0
		.amdhsa_next_free_vgpr 11
		.amdhsa_next_free_sgpr 20
		.amdhsa_named_barrier_count 0
		.amdhsa_reserve_vcc 1
		.amdhsa_float_round_mode_32 0
		.amdhsa_float_round_mode_16_64 0
		.amdhsa_float_denorm_mode_32 3
		.amdhsa_float_denorm_mode_16_64 3
		.amdhsa_fp16_overflow 0
		.amdhsa_memory_ordered 1
		.amdhsa_forward_progress 1
		.amdhsa_inst_pref_size 9
		.amdhsa_round_robin_scheduling 0
		.amdhsa_exception_fp_ieee_invalid_op 0
		.amdhsa_exception_fp_denorm_src 0
		.amdhsa_exception_fp_ieee_div_zero 0
		.amdhsa_exception_fp_ieee_overflow 0
		.amdhsa_exception_fp_ieee_underflow 0
		.amdhsa_exception_fp_ieee_inexact 0
		.amdhsa_exception_int_div_zero 0
	.end_amdhsa_kernel
	.section	.text._ZN9rocsparseL29csrmvn_lrb_medium_rows_kernelILj256EllffffEEvbT0_PT1_S3_jNS_24const_host_device_scalarIT5_EEPKS1_PKS2_PKT2_PKT3_S6_PT4_21rocsparse_index_base_b,"axG",@progbits,_ZN9rocsparseL29csrmvn_lrb_medium_rows_kernelILj256EllffffEEvbT0_PT1_S3_jNS_24const_host_device_scalarIT5_EEPKS1_PKS2_PKT2_PKT3_S6_PT4_21rocsparse_index_base_b,comdat
.Lfunc_end24:
	.size	_ZN9rocsparseL29csrmvn_lrb_medium_rows_kernelILj256EllffffEEvbT0_PT1_S3_jNS_24const_host_device_scalarIT5_EEPKS1_PKS2_PKT2_PKT3_S6_PT4_21rocsparse_index_base_b, .Lfunc_end24-_ZN9rocsparseL29csrmvn_lrb_medium_rows_kernelILj256EllffffEEvbT0_PT1_S3_jNS_24const_host_device_scalarIT5_EEPKS1_PKS2_PKT2_PKT3_S6_PT4_21rocsparse_index_base_b
                                        ; -- End function
	.set _ZN9rocsparseL29csrmvn_lrb_medium_rows_kernelILj256EllffffEEvbT0_PT1_S3_jNS_24const_host_device_scalarIT5_EEPKS1_PKS2_PKT2_PKT3_S6_PT4_21rocsparse_index_base_b.num_vgpr, 11
	.set _ZN9rocsparseL29csrmvn_lrb_medium_rows_kernelILj256EllffffEEvbT0_PT1_S3_jNS_24const_host_device_scalarIT5_EEPKS1_PKS2_PKT2_PKT3_S6_PT4_21rocsparse_index_base_b.num_agpr, 0
	.set _ZN9rocsparseL29csrmvn_lrb_medium_rows_kernelILj256EllffffEEvbT0_PT1_S3_jNS_24const_host_device_scalarIT5_EEPKS1_PKS2_PKT2_PKT3_S6_PT4_21rocsparse_index_base_b.numbered_sgpr, 20
	.set _ZN9rocsparseL29csrmvn_lrb_medium_rows_kernelILj256EllffffEEvbT0_PT1_S3_jNS_24const_host_device_scalarIT5_EEPKS1_PKS2_PKT2_PKT3_S6_PT4_21rocsparse_index_base_b.num_named_barrier, 0
	.set _ZN9rocsparseL29csrmvn_lrb_medium_rows_kernelILj256EllffffEEvbT0_PT1_S3_jNS_24const_host_device_scalarIT5_EEPKS1_PKS2_PKT2_PKT3_S6_PT4_21rocsparse_index_base_b.private_seg_size, 0
	.set _ZN9rocsparseL29csrmvn_lrb_medium_rows_kernelILj256EllffffEEvbT0_PT1_S3_jNS_24const_host_device_scalarIT5_EEPKS1_PKS2_PKT2_PKT3_S6_PT4_21rocsparse_index_base_b.uses_vcc, 1
	.set _ZN9rocsparseL29csrmvn_lrb_medium_rows_kernelILj256EllffffEEvbT0_PT1_S3_jNS_24const_host_device_scalarIT5_EEPKS1_PKS2_PKT2_PKT3_S6_PT4_21rocsparse_index_base_b.uses_flat_scratch, 0
	.set _ZN9rocsparseL29csrmvn_lrb_medium_rows_kernelILj256EllffffEEvbT0_PT1_S3_jNS_24const_host_device_scalarIT5_EEPKS1_PKS2_PKT2_PKT3_S6_PT4_21rocsparse_index_base_b.has_dyn_sized_stack, 0
	.set _ZN9rocsparseL29csrmvn_lrb_medium_rows_kernelILj256EllffffEEvbT0_PT1_S3_jNS_24const_host_device_scalarIT5_EEPKS1_PKS2_PKT2_PKT3_S6_PT4_21rocsparse_index_base_b.has_recursion, 0
	.set _ZN9rocsparseL29csrmvn_lrb_medium_rows_kernelILj256EllffffEEvbT0_PT1_S3_jNS_24const_host_device_scalarIT5_EEPKS1_PKS2_PKT2_PKT3_S6_PT4_21rocsparse_index_base_b.has_indirect_call, 0
	.section	.AMDGPU.csdata,"",@progbits
; Kernel info:
; codeLenInByte = 1080
; TotalNumSgprs: 22
; NumVgprs: 11
; ScratchSize: 0
; MemoryBound: 0
; FloatMode: 240
; IeeeMode: 1
; LDSByteSize: 1024 bytes/workgroup (compile time only)
; SGPRBlocks: 0
; VGPRBlocks: 0
; NumSGPRsForWavesPerEU: 22
; NumVGPRsForWavesPerEU: 11
; NamedBarCnt: 0
; Occupancy: 16
; WaveLimiterHint : 1
; COMPUTE_PGM_RSRC2:SCRATCH_EN: 0
; COMPUTE_PGM_RSRC2:USER_SGPR: 2
; COMPUTE_PGM_RSRC2:TRAP_HANDLER: 0
; COMPUTE_PGM_RSRC2:TGID_X_EN: 1
; COMPUTE_PGM_RSRC2:TGID_Y_EN: 0
; COMPUTE_PGM_RSRC2:TGID_Z_EN: 0
; COMPUTE_PGM_RSRC2:TIDIG_COMP_CNT: 0
	.section	.text._ZN9rocsparseL27csrmvn_lrb_long_rows_kernelIllffffEEvbT_PjPT0_S4_jNS_24const_host_device_scalarIT4_EEPKS1_PKS3_PKT1_PKT2_S7_PT3_21rocsparse_index_base_b,"axG",@progbits,_ZN9rocsparseL27csrmvn_lrb_long_rows_kernelIllffffEEvbT_PjPT0_S4_jNS_24const_host_device_scalarIT4_EEPKS1_PKS3_PKT1_PKT2_S7_PT3_21rocsparse_index_base_b,comdat
	.globl	_ZN9rocsparseL27csrmvn_lrb_long_rows_kernelIllffffEEvbT_PjPT0_S4_jNS_24const_host_device_scalarIT4_EEPKS1_PKS3_PKT1_PKT2_S7_PT3_21rocsparse_index_base_b ; -- Begin function _ZN9rocsparseL27csrmvn_lrb_long_rows_kernelIllffffEEvbT_PjPT0_S4_jNS_24const_host_device_scalarIT4_EEPKS1_PKS3_PKT1_PKT2_S7_PT3_21rocsparse_index_base_b
	.p2align	8
	.type	_ZN9rocsparseL27csrmvn_lrb_long_rows_kernelIllffffEEvbT_PjPT0_S4_jNS_24const_host_device_scalarIT4_EEPKS1_PKS3_PKT1_PKT2_S7_PT3_21rocsparse_index_base_b,@function
_ZN9rocsparseL27csrmvn_lrb_long_rows_kernelIllffffEEvbT_PjPT0_S4_jNS_24const_host_device_scalarIT4_EEPKS1_PKS3_PKT1_PKT2_S7_PT3_21rocsparse_index_base_b: ; @_ZN9rocsparseL27csrmvn_lrb_long_rows_kernelIllffffEEvbT_PjPT0_S4_jNS_24const_host_device_scalarIT4_EEPKS1_PKS3_PKT1_PKT2_S7_PT3_21rocsparse_index_base_b
; %bb.0:
	s_clause 0x2
	s_load_b64 s[18:19], s[0:1], 0x68
	s_load_b64 s[20:21], s[0:1], 0x30
	;; [unrolled: 1-line block ×3, first 2 shown]
	s_wait_kmcnt 0x0
	s_bitcmp1_b32 s19, 0
	s_cselect_b32 s2, -1, 0
	s_delay_alu instid0(SALU_CYCLE_1)
	s_and_b32 vcc_lo, exec_lo, s2
	s_xor_b32 s2, s2, -1
	s_cbranch_vccnz .LBB25_2
; %bb.1:
	s_load_b32 s20, s[20:21], 0x0
.LBB25_2:
	s_and_not1_b32 vcc_lo, exec_lo, s2
	s_cbranch_vccnz .LBB25_4
; %bb.3:
	s_load_b32 s22, s[22:23], 0x0
.LBB25_4:
	s_wait_kmcnt 0x0
	s_cmp_neq_f32 s20, 0
	s_cselect_b32 s2, -1, 0
	s_cmp_neq_f32 s22, 1.0
	s_cselect_b32 s3, -1, 0
	s_delay_alu instid0(SALU_CYCLE_1)
	s_or_b32 s2, s2, s3
	s_mov_b32 s3, 0
	s_and_not1_b32 vcc_lo, exec_lo, s2
	s_cbranch_vccnz .LBB25_38
; %bb.5:
	s_clause 0x1
	s_load_b96 s[8:10], s[0:1], 0x20
	s_load_b128 s[4:7], s[0:1], 0x10
	s_bfe_u32 s13, ttmp6, 0x4000c
	s_and_b32 s12, ttmp6, 15
	s_add_co_i32 s13, s13, 1
	s_getreg_b32 s14, hwreg(HW_REG_IB_STS2, 6, 4)
	s_mul_i32 s13, ttmp9, s13
	v_mov_b32_e32 v10, 0
	s_add_co_i32 s12, s12, s13
	s_wait_kmcnt 0x0
	s_lshl_b32 s2, -1, s10
	s_load_b64 s[8:9], s[8:9], s10 offset:0x0 scale_offset
	s_not_b32 s2, s2
	s_delay_alu instid0(SALU_CYCLE_1) | instskip(NEXT) | instid1(SALU_CYCLE_1)
	s_mul_hi_u32 s2, s2, 0x2aaaaaab
	s_lshr_b32 s2, s2, 7
	s_delay_alu instid0(SALU_CYCLE_1) | instskip(SKIP_2) | instid1(SALU_CYCLE_3)
	s_add_co_i32 s19, s2, 1
	s_not_b32 s2, s2
	s_cvt_f32_u32 s11, s19
	v_rcp_iflag_f32_e32 v1, s11
	v_nop
	s_delay_alu instid0(TRANS32_DEP_1) | instskip(SKIP_1) | instid1(SALU_CYCLE_3)
	v_readfirstlane_b32 s11, v1
	s_mul_f32 s11, s11, 0x4f7ffffe
	s_cvt_u32_f32 s11, s11
	s_delay_alu instid0(SALU_CYCLE_3) | instskip(NEXT) | instid1(SALU_CYCLE_1)
	s_mul_i32 s2, s2, s11
	s_mul_hi_u32 s2, s11, s2
	s_delay_alu instid0(SALU_CYCLE_1) | instskip(SKIP_2) | instid1(SALU_CYCLE_1)
	s_add_co_i32 s11, s11, s2
	s_cmp_eq_u32 s14, 0
	s_cselect_b32 s16, ttmp9, s12
	s_mul_hi_u32 s2, s16, s11
	s_wait_xcnt 0x0
	s_mul_i32 s10, s2, s19
	s_add_co_i32 s11, s2, 1
	s_sub_co_i32 s10, s16, s10
	s_delay_alu instid0(SALU_CYCLE_1)
	s_sub_co_i32 s12, s10, s19
	s_cmp_ge_u32 s10, s19
	s_cselect_b32 s2, s11, s2
	s_cselect_b32 s10, s12, s10
	s_add_co_i32 s11, s2, 1
	s_cmp_ge_u32 s10, s19
	s_cselect_b32 s2, s11, s2
	s_wait_kmcnt 0x0
	s_lshl_b64 s[8:9], s[8:9], 3
	s_ashr_i32 s17, s16, 31
	s_add_nc_u64 s[8:9], s[6:7], s[8:9]
	s_load_b64 s[6:7], s[8:9], s2 offset:0x0 scale_offset
	s_clause 0x1
	s_load_b64 s[10:11], s[0:1], 0x38
	s_load_b64 s[12:13], s[0:1], 0x60
	s_lshl_b64 s[14:15], s[16:17], 2
	s_wait_xcnt 0x0
	s_mul_i32 s2, s2, s19
	s_add_nc_u64 s[14:15], s[4:5], s[14:15]
	s_sub_co_i32 s2, s16, s2
	s_delay_alu instid0(SALU_CYCLE_1) | instskip(SKIP_1) | instid1(VALU_DEP_1)
	v_or_b32_e32 v1, s2, v0
	s_sub_nc_u64 s[16:17], s[16:17], s[2:3]
	v_cmp_eq_u32_e32 vcc_lo, 0, v1
	v_mov_b32_e32 v1, 0
	s_wait_kmcnt 0x0
	s_lshl_b64 s[8:9], s[6:7], 3
	s_delay_alu instid0(SALU_CYCLE_1)
	s_add_nc_u64 s[24:25], s[10:11], s[8:9]
	s_load_b128 s[8:11], s[24:25], 0x0
	s_load_b32 s21, s[14:15], 0x0
	s_and_saveexec_b32 s19, vcc_lo
	s_cbranch_execz .LBB25_9
; %bb.6:
	s_wait_xcnt 0x0
	s_lshl_b64 s[24:25], s[6:7], 2
	s_add_f32 s22, s22, -1.0
	s_add_nc_u64 s[24:25], s[12:13], s[24:25]
	s_mov_b32 s23, exec_lo
	s_load_b32 s24, s[24:25], 0x0
	v_mbcnt_lo_u32_b32 v2, s23, 0
	global_wb scope:SCOPE_DEV
	s_wait_storecnt 0x0
	global_inv scope:SCOPE_DEV
	s_wait_kmcnt 0x0
	s_mul_f32 s22, s22, s24
	s_mov_b32 s24, exec_lo
	v_cmpx_eq_u32_e32 0, v2
	s_cbranch_execz .LBB25_8
; %bb.7:
	s_bcnt1_i32_b32 s23, s23
	s_lshl_b64 s[26:27], s[16:17], 2
	s_and_b32 s23, s23, 1
	s_delay_alu instid0(SALU_CYCLE_1)
	v_dual_mov_b32 v2, 0 :: v_dual_mov_b32 v3, s23
	s_add_nc_u64 s[26:27], s[4:5], s[26:27]
	global_atomic_xor_b32 v2, v3, s[26:27] scope:SCOPE_DEV
.LBB25_8:
	s_wait_xcnt 0x0
	s_or_b32 exec_lo, exec_lo, s24
	v_mov_b32_e32 v10, s22
.LBB25_9:
	s_or_b32 exec_lo, exec_lo, s19
	s_mov_b32 s19, 0
	s_mul_u64 s[22:23], s[2:3], 0x300
	s_wait_kmcnt 0x0
	s_sub_nc_u64 s[8:9], s[8:9], s[18:19]
	s_sub_nc_u64 s[10:11], s[10:11], s[18:19]
	s_add_nc_u64 s[8:9], s[8:9], s[22:23]
	s_mov_b32 s3, exec_lo
	s_add_nc_u64 s[22:23], s[8:9], 0x300
	v_add_nc_u64_e32 v[4:5], s[8:9], v[0:1]
	v_min_i64 v[2:3], s[22:23], s[10:11]
	s_delay_alu instid0(VALU_DEP_1)
	v_cmpx_lt_i64_e64 v[4:5], v[2:3]
	s_cbranch_execz .LBB25_13
; %bb.10:
	s_clause 0x1
	s_load_b128 s[24:27], s[0:1], 0x40
	s_load_b64 s[8:9], s[0:1], 0x50
	s_wait_xcnt 0x0
	s_mov_b32 s0, s19
	s_wait_kmcnt 0x0
	v_lshl_add_u64 v[6:7], v[4:5], 2, s[26:27]
	v_lshl_add_u64 v[8:9], v[4:5], 3, s[24:25]
.LBB25_11:                              ; =>This Inner Loop Header: Depth=1
	global_load_b64 v[12:13], v[8:9], off
	global_load_b32 v1, v[6:7], off
	v_add_nc_u64_e32 v[4:5], 0x100, v[4:5]
	s_wait_xcnt 0x0
	v_add_nc_u64_e32 v[6:7], 0x400, v[6:7]
	v_add_nc_u64_e32 v[8:9], 0x800, v[8:9]
	s_delay_alu instid0(VALU_DEP_3)
	v_cmp_ge_i64_e32 vcc_lo, v[4:5], v[2:3]
	s_or_b32 s0, vcc_lo, s0
	s_wait_loadcnt 0x1
	v_sub_nc_u64_e64 v[12:13], v[12:13], s[18:19]
	s_wait_loadcnt 0x0
	v_mul_f32_e32 v1, s20, v1
	s_delay_alu instid0(VALU_DEP_2)
	v_lshl_add_u64 v[12:13], v[12:13], 2, s[8:9]
	global_load_b32 v11, v[12:13], off
	s_wait_loadcnt 0x0
	v_fmac_f32_e32 v10, v1, v11
	s_wait_xcnt 0x0
	s_and_not1_b32 exec_lo, exec_lo, s0
	s_cbranch_execnz .LBB25_11
; %bb.12:
	s_or_b32 exec_lo, exec_lo, s0
.LBB25_13:
	s_delay_alu instid0(SALU_CYCLE_1)
	s_or_b32 exec_lo, exec_lo, s3
	v_lshlrev_b32_e32 v1, 2, v0
	s_mov_b32 s0, exec_lo
	ds_store_b32 v1, v10
	s_wait_storecnt 0x0
	s_wait_loadcnt_dscnt 0x0
	s_barrier_signal -1
	s_barrier_wait -1
	v_cmpx_gt_u32_e32 0x80, v0
	s_cbranch_execz .LBB25_15
; %bb.14:
	ds_load_2addr_stride64_b32 v[2:3], v1 offset1:2
	s_wait_dscnt 0x0
	v_add_f32_e32 v2, v2, v3
	ds_store_b32 v1, v2
.LBB25_15:
	s_or_b32 exec_lo, exec_lo, s0
	s_delay_alu instid0(SALU_CYCLE_1)
	s_mov_b32 s0, exec_lo
	s_wait_dscnt 0x0
	s_barrier_signal -1
	s_barrier_wait -1
	v_cmpx_gt_u32_e32 64, v0
	s_cbranch_execz .LBB25_17
; %bb.16:
	ds_load_2addr_stride64_b32 v[2:3], v1 offset1:1
	s_wait_dscnt 0x0
	v_add_f32_e32 v2, v2, v3
	ds_store_b32 v1, v2
.LBB25_17:
	s_or_b32 exec_lo, exec_lo, s0
	s_delay_alu instid0(SALU_CYCLE_1)
	s_mov_b32 s0, exec_lo
	s_wait_dscnt 0x0
	s_barrier_signal -1
	s_barrier_wait -1
	v_cmpx_gt_u32_e32 32, v0
	s_cbranch_execz .LBB25_19
; %bb.18:
	ds_load_2addr_b32 v[2:3], v1 offset1:32
	s_wait_dscnt 0x0
	v_add_f32_e32 v2, v2, v3
	ds_store_b32 v1, v2
.LBB25_19:
	s_or_b32 exec_lo, exec_lo, s0
	s_delay_alu instid0(SALU_CYCLE_1)
	s_mov_b32 s0, exec_lo
	s_wait_dscnt 0x0
	s_barrier_signal -1
	s_barrier_wait -1
	v_cmpx_gt_u32_e32 16, v0
	s_cbranch_execz .LBB25_21
; %bb.20:
	ds_load_2addr_b32 v[2:3], v1 offset1:16
	s_wait_dscnt 0x0
	v_add_f32_e32 v2, v2, v3
	ds_store_b32 v1, v2
.LBB25_21:
	;; [unrolled: 14-line block ×5, first 2 shown]
	s_or_b32 exec_lo, exec_lo, s0
	v_cmp_eq_u32_e32 vcc_lo, 0, v0
	s_wait_dscnt 0x0
	s_barrier_signal -1
	s_barrier_wait -1
	s_and_saveexec_b32 s0, vcc_lo
	s_cbranch_execz .LBB25_29
; %bb.28:
	v_mov_b32_e32 v2, 0
	ds_load_b64 v[0:1], v2
	s_wait_dscnt 0x0
	v_add_f32_e32 v0, v0, v1
	ds_store_b32 v2, v0
.LBB25_29:
	s_or_b32 exec_lo, exec_lo, s0
	s_wait_dscnt 0x0
	s_barrier_signal -1
	s_barrier_wait -1
	s_and_saveexec_b32 s0, vcc_lo
	s_cbranch_execz .LBB25_38
; %bb.30:
	s_cmp_eq_u32 s2, 0
	s_cbranch_scc1 .LBB25_36
; %bb.31:
	v_mov_b32_e32 v0, 0
	s_lshl_b64 s[0:1], s[16:17], 2
	s_delay_alu instid0(SALU_CYCLE_1)
	s_add_nc_u64 s[0:1], s[4:5], s[0:1]
	s_branch .LBB25_33
.LBB25_32:                              ;   in Loop: Header=BB25_33 Depth=1
	s_wait_xcnt 0x0
	s_or_b32 exec_lo, exec_lo, s2
	s_wait_loadcnt 0x0
	v_readfirstlane_b32 s2, v1
	s_cmp_eq_u32 s2, s21
	s_cbranch_scc0 .LBB25_35
.LBB25_33:                              ; =>This Inner Loop Header: Depth=1
	v_mbcnt_lo_u32_b32 v1, exec_lo, 0
	s_delay_alu instid0(VALU_DEP_1)
	v_cmp_eq_u32_e32 vcc_lo, 0, v1
                                        ; implicit-def: $vgpr1
	s_and_saveexec_b32 s2, vcc_lo
	s_cbranch_execz .LBB25_32
; %bb.34:                               ;   in Loop: Header=BB25_33 Depth=1
	global_load_b32 v1, v0, s[0:1] scope:SCOPE_DEV
	s_branch .LBB25_32
.LBB25_35:
	v_mov_b32_e32 v0, 0
	global_load_u16 v1, v0, s[14:15]
	s_wait_loadcnt 0x0
	v_xor_b32_e32 v1, 1, v1
	global_store_b16 v0, v1, s[14:15]
.LBB25_36:
	s_mov_b32 s0, exec_lo
	s_wait_xcnt 0x0
	v_mbcnt_lo_u32_b32 v0, s0, 0
	s_delay_alu instid0(VALU_DEP_1) | instskip(SKIP_1) | instid1(SALU_CYCLE_1)
	v_cmp_eq_u32_e32 vcc_lo, 0, v0
	s_and_b32 s1, exec_lo, vcc_lo
	s_mov_b32 exec_lo, s1
	s_cbranch_execz .LBB25_38
; %bb.37:
	s_bcnt1_i32_b32 s0, s0
	s_delay_alu instid0(SALU_CYCLE_1) | instskip(SKIP_2) | instid1(SALU_CYCLE_1)
	v_cvt_f32_ubyte0_e32 v2, s0
	v_mov_b32_e32 v0, 0
	s_lshl_b64 s[0:1], s[6:7], 2
	s_add_nc_u64 s[0:1], s[12:13], s[0:1]
	ds_load_b32 v1, v0
	s_wait_dscnt 0x0
	v_mul_f32_e32 v1, v1, v2
	global_atomic_add_f32 v0, v1, s[0:1] scope:SCOPE_DEV
.LBB25_38:
	s_endpgm
	.section	.rodata,"a",@progbits
	.p2align	6, 0x0
	.amdhsa_kernel _ZN9rocsparseL27csrmvn_lrb_long_rows_kernelIllffffEEvbT_PjPT0_S4_jNS_24const_host_device_scalarIT4_EEPKS1_PKS3_PKT1_PKT2_S7_PT3_21rocsparse_index_base_b
		.amdhsa_group_segment_fixed_size 1024
		.amdhsa_private_segment_fixed_size 0
		.amdhsa_kernarg_size 112
		.amdhsa_user_sgpr_count 2
		.amdhsa_user_sgpr_dispatch_ptr 0
		.amdhsa_user_sgpr_queue_ptr 0
		.amdhsa_user_sgpr_kernarg_segment_ptr 1
		.amdhsa_user_sgpr_dispatch_id 0
		.amdhsa_user_sgpr_kernarg_preload_length 0
		.amdhsa_user_sgpr_kernarg_preload_offset 0
		.amdhsa_user_sgpr_private_segment_size 0
		.amdhsa_wavefront_size32 1
		.amdhsa_uses_dynamic_stack 0
		.amdhsa_enable_private_segment 0
		.amdhsa_system_sgpr_workgroup_id_x 1
		.amdhsa_system_sgpr_workgroup_id_y 0
		.amdhsa_system_sgpr_workgroup_id_z 0
		.amdhsa_system_sgpr_workgroup_info 0
		.amdhsa_system_vgpr_workitem_id 0
		.amdhsa_next_free_vgpr 14
		.amdhsa_next_free_sgpr 28
		.amdhsa_named_barrier_count 0
		.amdhsa_reserve_vcc 1
		.amdhsa_float_round_mode_32 0
		.amdhsa_float_round_mode_16_64 0
		.amdhsa_float_denorm_mode_32 3
		.amdhsa_float_denorm_mode_16_64 3
		.amdhsa_fp16_overflow 0
		.amdhsa_memory_ordered 1
		.amdhsa_forward_progress 1
		.amdhsa_inst_pref_size 13
		.amdhsa_round_robin_scheduling 0
		.amdhsa_exception_fp_ieee_invalid_op 0
		.amdhsa_exception_fp_denorm_src 0
		.amdhsa_exception_fp_ieee_div_zero 0
		.amdhsa_exception_fp_ieee_overflow 0
		.amdhsa_exception_fp_ieee_underflow 0
		.amdhsa_exception_fp_ieee_inexact 0
		.amdhsa_exception_int_div_zero 0
	.end_amdhsa_kernel
	.section	.text._ZN9rocsparseL27csrmvn_lrb_long_rows_kernelIllffffEEvbT_PjPT0_S4_jNS_24const_host_device_scalarIT4_EEPKS1_PKS3_PKT1_PKT2_S7_PT3_21rocsparse_index_base_b,"axG",@progbits,_ZN9rocsparseL27csrmvn_lrb_long_rows_kernelIllffffEEvbT_PjPT0_S4_jNS_24const_host_device_scalarIT4_EEPKS1_PKS3_PKT1_PKT2_S7_PT3_21rocsparse_index_base_b,comdat
.Lfunc_end25:
	.size	_ZN9rocsparseL27csrmvn_lrb_long_rows_kernelIllffffEEvbT_PjPT0_S4_jNS_24const_host_device_scalarIT4_EEPKS1_PKS3_PKT1_PKT2_S7_PT3_21rocsparse_index_base_b, .Lfunc_end25-_ZN9rocsparseL27csrmvn_lrb_long_rows_kernelIllffffEEvbT_PjPT0_S4_jNS_24const_host_device_scalarIT4_EEPKS1_PKS3_PKT1_PKT2_S7_PT3_21rocsparse_index_base_b
                                        ; -- End function
	.set _ZN9rocsparseL27csrmvn_lrb_long_rows_kernelIllffffEEvbT_PjPT0_S4_jNS_24const_host_device_scalarIT4_EEPKS1_PKS3_PKT1_PKT2_S7_PT3_21rocsparse_index_base_b.num_vgpr, 14
	.set _ZN9rocsparseL27csrmvn_lrb_long_rows_kernelIllffffEEvbT_PjPT0_S4_jNS_24const_host_device_scalarIT4_EEPKS1_PKS3_PKT1_PKT2_S7_PT3_21rocsparse_index_base_b.num_agpr, 0
	.set _ZN9rocsparseL27csrmvn_lrb_long_rows_kernelIllffffEEvbT_PjPT0_S4_jNS_24const_host_device_scalarIT4_EEPKS1_PKS3_PKT1_PKT2_S7_PT3_21rocsparse_index_base_b.numbered_sgpr, 28
	.set _ZN9rocsparseL27csrmvn_lrb_long_rows_kernelIllffffEEvbT_PjPT0_S4_jNS_24const_host_device_scalarIT4_EEPKS1_PKS3_PKT1_PKT2_S7_PT3_21rocsparse_index_base_b.num_named_barrier, 0
	.set _ZN9rocsparseL27csrmvn_lrb_long_rows_kernelIllffffEEvbT_PjPT0_S4_jNS_24const_host_device_scalarIT4_EEPKS1_PKS3_PKT1_PKT2_S7_PT3_21rocsparse_index_base_b.private_seg_size, 0
	.set _ZN9rocsparseL27csrmvn_lrb_long_rows_kernelIllffffEEvbT_PjPT0_S4_jNS_24const_host_device_scalarIT4_EEPKS1_PKS3_PKT1_PKT2_S7_PT3_21rocsparse_index_base_b.uses_vcc, 1
	.set _ZN9rocsparseL27csrmvn_lrb_long_rows_kernelIllffffEEvbT_PjPT0_S4_jNS_24const_host_device_scalarIT4_EEPKS1_PKS3_PKT1_PKT2_S7_PT3_21rocsparse_index_base_b.uses_flat_scratch, 0
	.set _ZN9rocsparseL27csrmvn_lrb_long_rows_kernelIllffffEEvbT_PjPT0_S4_jNS_24const_host_device_scalarIT4_EEPKS1_PKS3_PKT1_PKT2_S7_PT3_21rocsparse_index_base_b.has_dyn_sized_stack, 0
	.set _ZN9rocsparseL27csrmvn_lrb_long_rows_kernelIllffffEEvbT_PjPT0_S4_jNS_24const_host_device_scalarIT4_EEPKS1_PKS3_PKT1_PKT2_S7_PT3_21rocsparse_index_base_b.has_recursion, 0
	.set _ZN9rocsparseL27csrmvn_lrb_long_rows_kernelIllffffEEvbT_PjPT0_S4_jNS_24const_host_device_scalarIT4_EEPKS1_PKS3_PKT1_PKT2_S7_PT3_21rocsparse_index_base_b.has_indirect_call, 0
	.section	.AMDGPU.csdata,"",@progbits
; Kernel info:
; codeLenInByte = 1556
; TotalNumSgprs: 30
; NumVgprs: 14
; ScratchSize: 0
; MemoryBound: 0
; FloatMode: 240
; IeeeMode: 1
; LDSByteSize: 1024 bytes/workgroup (compile time only)
; SGPRBlocks: 0
; VGPRBlocks: 0
; NumSGPRsForWavesPerEU: 30
; NumVGPRsForWavesPerEU: 14
; NamedBarCnt: 0
; Occupancy: 16
; WaveLimiterHint : 1
; COMPUTE_PGM_RSRC2:SCRATCH_EN: 0
; COMPUTE_PGM_RSRC2:USER_SGPR: 2
; COMPUTE_PGM_RSRC2:TRAP_HANDLER: 0
; COMPUTE_PGM_RSRC2:TGID_X_EN: 1
; COMPUTE_PGM_RSRC2:TGID_Y_EN: 0
; COMPUTE_PGM_RSRC2:TGID_Z_EN: 0
; COMPUTE_PGM_RSRC2:TIDIG_COMP_CNT: 0
	.section	.text._ZN9rocsparseL28csrmvn_lrb_short_rows_kernelIiiddddEEvbT_PT0_S3_jNS_24const_host_device_scalarIT4_EEPKS1_PKS2_PKT1_PKT2_S6_PT3_21rocsparse_index_base_b,"axG",@progbits,_ZN9rocsparseL28csrmvn_lrb_short_rows_kernelIiiddddEEvbT_PT0_S3_jNS_24const_host_device_scalarIT4_EEPKS1_PKS2_PKT1_PKT2_S6_PT3_21rocsparse_index_base_b,comdat
	.globl	_ZN9rocsparseL28csrmvn_lrb_short_rows_kernelIiiddddEEvbT_PT0_S3_jNS_24const_host_device_scalarIT4_EEPKS1_PKS2_PKT1_PKT2_S6_PT3_21rocsparse_index_base_b ; -- Begin function _ZN9rocsparseL28csrmvn_lrb_short_rows_kernelIiiddddEEvbT_PT0_S3_jNS_24const_host_device_scalarIT4_EEPKS1_PKS2_PKT1_PKT2_S6_PT3_21rocsparse_index_base_b
	.p2align	8
	.type	_ZN9rocsparseL28csrmvn_lrb_short_rows_kernelIiiddddEEvbT_PT0_S3_jNS_24const_host_device_scalarIT4_EEPKS1_PKS2_PKT1_PKT2_S6_PT3_21rocsparse_index_base_b,@function
_ZN9rocsparseL28csrmvn_lrb_short_rows_kernelIiiddddEEvbT_PT0_S3_jNS_24const_host_device_scalarIT4_EEPKS1_PKS2_PKT1_PKT2_S6_PT3_21rocsparse_index_base_b: ; @_ZN9rocsparseL28csrmvn_lrb_short_rows_kernelIiiddddEEvbT_PT0_S3_jNS_24const_host_device_scalarIT4_EEPKS1_PKS2_PKT1_PKT2_S6_PT3_21rocsparse_index_base_b
; %bb.0:
	s_clause 0x2
	s_load_b64 s[16:17], s[0:1], 0x58
	s_load_b64 s[4:5], s[0:1], 0x20
	s_load_b64 s[2:3], s[0:1], 0x48
	s_wait_kmcnt 0x0
	s_bitcmp1_b32 s17, 0
	v_mov_b64_e32 v[4:5], s[4:5]
	s_cselect_b32 s6, -1, 0
	s_delay_alu instid0(SALU_CYCLE_1)
	s_and_b32 vcc_lo, exec_lo, s6
	s_xor_b32 s6, s6, -1
	s_cbranch_vccnz .LBB26_2
; %bb.1:
	v_mov_b32_e32 v1, 0
	flat_load_b64 v[4:5], v1, s[4:5]
.LBB26_2:
	v_mov_b64_e32 v[2:3], s[2:3]
	s_and_not1_b32 vcc_lo, exec_lo, s6
	s_cbranch_vccnz .LBB26_4
; %bb.3:
	s_wait_xcnt 0x0
	v_mov_b32_e32 v1, 0
	flat_load_b64 v[2:3], v1, s[2:3]
.LBB26_4:
	s_wait_loadcnt_dscnt 0x0
	v_cmp_neq_f64_e32 vcc_lo, 0, v[4:5]
	s_delay_alu instid0(VALU_DEP_2) | instskip(SKIP_1) | instid1(SALU_CYCLE_1)
	v_cmp_neq_f64_e64 s2, 1.0, v[2:3]
	s_or_b32 s2, vcc_lo, s2
	s_and_saveexec_b32 s3, s2
	s_cbranch_execz .LBB26_18
; %bb.5:
	s_clause 0x1
	s_load_b32 s2, s[0:1], 0x18
	s_load_b128 s[12:15], s[0:1], 0x8
	s_and_b32 s6, ttmp6, 15
	s_getreg_b32 s7, hwreg(HW_REG_IB_STS2, 6, 4)
	s_mov_b32 s17, 0
	s_wait_kmcnt 0x0
	s_add_co_i32 s4, s2, 1
	s_clause 0x1
	s_load_b32 s3, s[14:15], s2 offset:0x0 scale_offset
	s_load_b32 s5, s[14:15], s4 offset:0x0 scale_offset
	s_wait_xcnt 0x0
	s_bfe_u32 s4, ttmp6, 0x4000c
	s_delay_alu instid0(SALU_CYCLE_1) | instskip(NEXT) | instid1(SALU_CYCLE_1)
	s_add_co_i32 s4, s4, 1
	s_mul_i32 s4, ttmp9, s4
	s_delay_alu instid0(SALU_CYCLE_1) | instskip(SKIP_4) | instid1(SALU_CYCLE_1)
	s_add_co_i32 s6, s6, s4
	s_wait_kmcnt 0x0
	s_sub_co_i32 s5, s5, s3
	s_cmp_eq_u32 s7, 0
	s_cselect_b32 s4, ttmp9, s6
	s_lshl_b32 s14, s4, 8
	s_delay_alu instid0(SALU_CYCLE_1) | instskip(NEXT) | instid1(SALU_CYCLE_1)
	s_add_co_i32 s4, s14, 0x100
	s_min_u32 s15, s5, s4
	s_cmp_gt_u32 s2, 23
	s_cbranch_scc1 .LBB26_12
; %bb.6:
	s_load_b256 s[4:11], s[0:1], 0x28
	v_bfe_u32 v1, v0, 0, s2
	v_lshl_add_u32 v11, v0, 3, 0
	s_lshl_b32 s18, 0x100, s2
	s_delay_alu instid0(VALU_DEP_2)
	v_subrev_nc_u32_e32 v10, s16, v1
	s_branch .LBB26_9
.LBB26_7:                               ;   in Loop: Header=BB26_9 Depth=1
	s_wait_xcnt 0x0
	s_or_b32 exec_lo, exec_lo, s20
	ds_store_b64 v11, v[6:7]
.LBB26_8:                               ;   in Loop: Header=BB26_9 Depth=1
	s_or_b32 exec_lo, exec_lo, s19
	v_add_nc_u32_e32 v11, 0x800, v11
	s_addk_co_i32 s17, 0x100
	s_delay_alu instid0(SALU_CYCLE_1)
	s_cmp_ge_u32 s17, s18
	s_cbranch_scc1 .LBB26_12
.LBB26_9:                               ; =>This Inner Loop Header: Depth=1
	v_add_nc_u32_e32 v6, s17, v0
	s_mov_b32 s19, exec_lo
	s_delay_alu instid0(VALU_DEP_1) | instskip(NEXT) | instid1(VALU_DEP_1)
	v_lshrrev_b32_e32 v6, s2, v6
	v_add_nc_u32_e32 v6, s14, v6
	s_delay_alu instid0(VALU_DEP_1)
	v_cmpx_gt_u32_e64 s15, v6
	s_cbranch_execz .LBB26_8
; %bb.10:                               ;   in Loop: Header=BB26_9 Depth=1
	v_add_nc_u32_e32 v6, s3, v6
	s_mov_b32 s20, exec_lo
	global_load_b32 v6, v6, s[12:13] scale_offset
	s_wait_loadcnt 0x0
	v_ashrrev_i32_e32 v7, 31, v6
	s_wait_kmcnt 0x0
	s_wait_xcnt 0x0
	s_delay_alu instid0(VALU_DEP_1)
	v_lshl_add_u64 v[6:7], v[6:7], 2, s[4:5]
	global_load_b64 v[8:9], v[6:7], off
	s_wait_xcnt 0x0
	v_mov_b64_e32 v[6:7], 0
	s_wait_loadcnt 0x0
	v_sub_nc_u32_e32 v9, v9, v8
	s_delay_alu instid0(VALU_DEP_1)
	v_cmpx_lt_u32_e64 v1, v9
	s_cbranch_execz .LBB26_7
; %bb.11:                               ;   in Loop: Header=BB26_9 Depth=1
	v_add_nc_u32_e32 v8, v10, v8
	s_clause 0x1
	global_load_b32 v9, v8, s[6:7] scale_offset
	global_load_b64 v[6:7], v8, s[8:9] scale_offset
	s_wait_loadcnt 0x1
	s_wait_xcnt 0x0
	v_subrev_nc_u32_e32 v8, s16, v9
	s_wait_loadcnt 0x0
	v_mul_f64_e32 v[6:7], v[4:5], v[6:7]
	global_load_b64 v[8:9], v8, s[10:11] scale_offset
	s_wait_loadcnt 0x0
	v_mul_f64_e32 v[6:7], v[6:7], v[8:9]
	s_branch .LBB26_7
.LBB26_12:
	s_wait_kmcnt 0x0
	s_sub_co_i32 s4, s15, s14
	s_wait_dscnt 0x0
	v_cmp_gt_u32_e32 vcc_lo, s4, v0
	s_barrier_signal -1
	s_barrier_wait -1
	s_and_b32 exec_lo, exec_lo, vcc_lo
	s_cbranch_execz .LBB26_18
; %bb.13:
	v_add3_u32 v1, s3, s14, v0
	s_load_b64 s[0:1], s[0:1], 0x50
	v_lshlrev_b32_e32 v5, s2, v0
	s_mov_b32 s3, 1
	global_load_b32 v4, v1, s[12:13] scale_offset
	s_wait_xcnt 0x0
	v_mov_b64_e32 v[0:1], 0
	v_lshl_add_u32 v5, v5, 3, 0
.LBB26_14:                              ; =>This Inner Loop Header: Depth=1
	ds_load_b64 v[6:7], v5
	s_lshr_b32 s4, s3, s2
	s_add_co_i32 s3, s3, 1
	s_cmp_lg_u32 s4, 0
	s_wait_dscnt 0x0
	v_dual_add_f64 v[0:1], v[0:1], v[6:7] :: v_dual_add_nc_u32 v5, 8, v5
	s_cbranch_scc0 .LBB26_14
; %bb.15:
	s_wait_loadcnt 0x0
	v_ashrrev_i32_e32 v5, 31, v4
	s_wait_kmcnt 0x0
	s_delay_alu instid0(VALU_DEP_1)
	v_lshl_add_u64 v[4:5], v[4:5], 3, s[0:1]
	s_mov_b32 s0, exec_lo
	v_cmpx_neq_f64_e32 0, v[2:3]
	s_cbranch_execz .LBB26_17
; %bb.16:
	global_load_b64 v[6:7], v[4:5], off
	s_wait_loadcnt 0x0
	v_fmac_f64_e32 v[0:1], v[2:3], v[6:7]
.LBB26_17:
	s_or_b32 exec_lo, exec_lo, s0
	global_store_b64 v[4:5], v[0:1], off
.LBB26_18:
	s_endpgm
	.section	.rodata,"a",@progbits
	.p2align	6, 0x0
	.amdhsa_kernel _ZN9rocsparseL28csrmvn_lrb_short_rows_kernelIiiddddEEvbT_PT0_S3_jNS_24const_host_device_scalarIT4_EEPKS1_PKS2_PKT1_PKT2_S6_PT3_21rocsparse_index_base_b
		.amdhsa_group_segment_fixed_size 0
		.amdhsa_private_segment_fixed_size 0
		.amdhsa_kernarg_size 96
		.amdhsa_user_sgpr_count 2
		.amdhsa_user_sgpr_dispatch_ptr 0
		.amdhsa_user_sgpr_queue_ptr 0
		.amdhsa_user_sgpr_kernarg_segment_ptr 1
		.amdhsa_user_sgpr_dispatch_id 0
		.amdhsa_user_sgpr_kernarg_preload_length 0
		.amdhsa_user_sgpr_kernarg_preload_offset 0
		.amdhsa_user_sgpr_private_segment_size 0
		.amdhsa_wavefront_size32 1
		.amdhsa_uses_dynamic_stack 0
		.amdhsa_enable_private_segment 0
		.amdhsa_system_sgpr_workgroup_id_x 1
		.amdhsa_system_sgpr_workgroup_id_y 0
		.amdhsa_system_sgpr_workgroup_id_z 0
		.amdhsa_system_sgpr_workgroup_info 0
		.amdhsa_system_vgpr_workitem_id 0
		.amdhsa_next_free_vgpr 12
		.amdhsa_next_free_sgpr 21
		.amdhsa_named_barrier_count 0
		.amdhsa_reserve_vcc 1
		.amdhsa_float_round_mode_32 0
		.amdhsa_float_round_mode_16_64 0
		.amdhsa_float_denorm_mode_32 3
		.amdhsa_float_denorm_mode_16_64 3
		.amdhsa_fp16_overflow 0
		.amdhsa_memory_ordered 1
		.amdhsa_forward_progress 1
		.amdhsa_inst_pref_size 6
		.amdhsa_round_robin_scheduling 0
		.amdhsa_exception_fp_ieee_invalid_op 0
		.amdhsa_exception_fp_denorm_src 0
		.amdhsa_exception_fp_ieee_div_zero 0
		.amdhsa_exception_fp_ieee_overflow 0
		.amdhsa_exception_fp_ieee_underflow 0
		.amdhsa_exception_fp_ieee_inexact 0
		.amdhsa_exception_int_div_zero 0
	.end_amdhsa_kernel
	.section	.text._ZN9rocsparseL28csrmvn_lrb_short_rows_kernelIiiddddEEvbT_PT0_S3_jNS_24const_host_device_scalarIT4_EEPKS1_PKS2_PKT1_PKT2_S6_PT3_21rocsparse_index_base_b,"axG",@progbits,_ZN9rocsparseL28csrmvn_lrb_short_rows_kernelIiiddddEEvbT_PT0_S3_jNS_24const_host_device_scalarIT4_EEPKS1_PKS2_PKT1_PKT2_S6_PT3_21rocsparse_index_base_b,comdat
.Lfunc_end26:
	.size	_ZN9rocsparseL28csrmvn_lrb_short_rows_kernelIiiddddEEvbT_PT0_S3_jNS_24const_host_device_scalarIT4_EEPKS1_PKS2_PKT1_PKT2_S6_PT3_21rocsparse_index_base_b, .Lfunc_end26-_ZN9rocsparseL28csrmvn_lrb_short_rows_kernelIiiddddEEvbT_PT0_S3_jNS_24const_host_device_scalarIT4_EEPKS1_PKS2_PKT1_PKT2_S6_PT3_21rocsparse_index_base_b
                                        ; -- End function
	.set _ZN9rocsparseL28csrmvn_lrb_short_rows_kernelIiiddddEEvbT_PT0_S3_jNS_24const_host_device_scalarIT4_EEPKS1_PKS2_PKT1_PKT2_S6_PT3_21rocsparse_index_base_b.num_vgpr, 12
	.set _ZN9rocsparseL28csrmvn_lrb_short_rows_kernelIiiddddEEvbT_PT0_S3_jNS_24const_host_device_scalarIT4_EEPKS1_PKS2_PKT1_PKT2_S6_PT3_21rocsparse_index_base_b.num_agpr, 0
	.set _ZN9rocsparseL28csrmvn_lrb_short_rows_kernelIiiddddEEvbT_PT0_S3_jNS_24const_host_device_scalarIT4_EEPKS1_PKS2_PKT1_PKT2_S6_PT3_21rocsparse_index_base_b.numbered_sgpr, 21
	.set _ZN9rocsparseL28csrmvn_lrb_short_rows_kernelIiiddddEEvbT_PT0_S3_jNS_24const_host_device_scalarIT4_EEPKS1_PKS2_PKT1_PKT2_S6_PT3_21rocsparse_index_base_b.num_named_barrier, 0
	.set _ZN9rocsparseL28csrmvn_lrb_short_rows_kernelIiiddddEEvbT_PT0_S3_jNS_24const_host_device_scalarIT4_EEPKS1_PKS2_PKT1_PKT2_S6_PT3_21rocsparse_index_base_b.private_seg_size, 0
	.set _ZN9rocsparseL28csrmvn_lrb_short_rows_kernelIiiddddEEvbT_PT0_S3_jNS_24const_host_device_scalarIT4_EEPKS1_PKS2_PKT1_PKT2_S6_PT3_21rocsparse_index_base_b.uses_vcc, 1
	.set _ZN9rocsparseL28csrmvn_lrb_short_rows_kernelIiiddddEEvbT_PT0_S3_jNS_24const_host_device_scalarIT4_EEPKS1_PKS2_PKT1_PKT2_S6_PT3_21rocsparse_index_base_b.uses_flat_scratch, 0
	.set _ZN9rocsparseL28csrmvn_lrb_short_rows_kernelIiiddddEEvbT_PT0_S3_jNS_24const_host_device_scalarIT4_EEPKS1_PKS2_PKT1_PKT2_S6_PT3_21rocsparse_index_base_b.has_dyn_sized_stack, 0
	.set _ZN9rocsparseL28csrmvn_lrb_short_rows_kernelIiiddddEEvbT_PT0_S3_jNS_24const_host_device_scalarIT4_EEPKS1_PKS2_PKT1_PKT2_S6_PT3_21rocsparse_index_base_b.has_recursion, 0
	.set _ZN9rocsparseL28csrmvn_lrb_short_rows_kernelIiiddddEEvbT_PT0_S3_jNS_24const_host_device_scalarIT4_EEPKS1_PKS2_PKT1_PKT2_S6_PT3_21rocsparse_index_base_b.has_indirect_call, 0
	.section	.AMDGPU.csdata,"",@progbits
; Kernel info:
; codeLenInByte = 768
; TotalNumSgprs: 23
; NumVgprs: 12
; ScratchSize: 0
; MemoryBound: 0
; FloatMode: 240
; IeeeMode: 1
; LDSByteSize: 0 bytes/workgroup (compile time only)
; SGPRBlocks: 0
; VGPRBlocks: 0
; NumSGPRsForWavesPerEU: 23
; NumVGPRsForWavesPerEU: 12
; NamedBarCnt: 0
; Occupancy: 16
; WaveLimiterHint : 1
; COMPUTE_PGM_RSRC2:SCRATCH_EN: 0
; COMPUTE_PGM_RSRC2:USER_SGPR: 2
; COMPUTE_PGM_RSRC2:TRAP_HANDLER: 0
; COMPUTE_PGM_RSRC2:TGID_X_EN: 1
; COMPUTE_PGM_RSRC2:TGID_Y_EN: 0
; COMPUTE_PGM_RSRC2:TGID_Z_EN: 0
; COMPUTE_PGM_RSRC2:TIDIG_COMP_CNT: 0
	.section	.text._ZN9rocsparseL30csrmvn_lrb_short_rows_2_kernelIiiddddEEvbT_PT0_S3_jNS_24const_host_device_scalarIT4_EEPKS1_PKS2_PKT1_PKT2_S6_PT3_21rocsparse_index_base_b,"axG",@progbits,_ZN9rocsparseL30csrmvn_lrb_short_rows_2_kernelIiiddddEEvbT_PT0_S3_jNS_24const_host_device_scalarIT4_EEPKS1_PKS2_PKT1_PKT2_S6_PT3_21rocsparse_index_base_b,comdat
	.globl	_ZN9rocsparseL30csrmvn_lrb_short_rows_2_kernelIiiddddEEvbT_PT0_S3_jNS_24const_host_device_scalarIT4_EEPKS1_PKS2_PKT1_PKT2_S6_PT3_21rocsparse_index_base_b ; -- Begin function _ZN9rocsparseL30csrmvn_lrb_short_rows_2_kernelIiiddddEEvbT_PT0_S3_jNS_24const_host_device_scalarIT4_EEPKS1_PKS2_PKT1_PKT2_S6_PT3_21rocsparse_index_base_b
	.p2align	8
	.type	_ZN9rocsparseL30csrmvn_lrb_short_rows_2_kernelIiiddddEEvbT_PT0_S3_jNS_24const_host_device_scalarIT4_EEPKS1_PKS2_PKT1_PKT2_S6_PT3_21rocsparse_index_base_b,@function
_ZN9rocsparseL30csrmvn_lrb_short_rows_2_kernelIiiddddEEvbT_PT0_S3_jNS_24const_host_device_scalarIT4_EEPKS1_PKS2_PKT1_PKT2_S6_PT3_21rocsparse_index_base_b: ; @_ZN9rocsparseL30csrmvn_lrb_short_rows_2_kernelIiiddddEEvbT_PT0_S3_jNS_24const_host_device_scalarIT4_EEPKS1_PKS2_PKT1_PKT2_S6_PT3_21rocsparse_index_base_b
; %bb.0:
	s_clause 0x2
	s_load_b64 s[16:17], s[0:1], 0x58
	s_load_b64 s[4:5], s[0:1], 0x20
	;; [unrolled: 1-line block ×3, first 2 shown]
	s_wait_kmcnt 0x0
	s_bitcmp1_b32 s17, 0
	v_mov_b64_e32 v[4:5], s[4:5]
	s_cselect_b32 s6, -1, 0
	s_delay_alu instid0(SALU_CYCLE_1)
	s_and_b32 vcc_lo, exec_lo, s6
	s_xor_b32 s6, s6, -1
	s_cbranch_vccnz .LBB27_2
; %bb.1:
	v_mov_b32_e32 v1, 0
	flat_load_b64 v[4:5], v1, s[4:5]
.LBB27_2:
	v_mov_b64_e32 v[2:3], s[2:3]
	s_and_not1_b32 vcc_lo, exec_lo, s6
	s_cbranch_vccnz .LBB27_4
; %bb.3:
	s_wait_xcnt 0x0
	v_mov_b32_e32 v1, 0
	flat_load_b64 v[2:3], v1, s[2:3]
.LBB27_4:
	s_wait_loadcnt_dscnt 0x0
	v_cmp_neq_f64_e32 vcc_lo, 0, v[4:5]
	s_delay_alu instid0(VALU_DEP_2) | instskip(SKIP_1) | instid1(SALU_CYCLE_1)
	v_cmp_neq_f64_e64 s2, 1.0, v[2:3]
	s_or_b32 s2, vcc_lo, s2
	s_and_saveexec_b32 s3, s2
	s_cbranch_execz .LBB27_30
; %bb.5:
	s_clause 0x1
	s_load_b32 s17, s[0:1], 0x18
	s_load_b128 s[12:15], s[0:1], 0x8
	s_getreg_b32 s19, hwreg(HW_REG_IB_STS2, 6, 4)
	s_wait_kmcnt 0x0
	s_add_co_i32 s2, s17, 1
	s_clause 0x1
	s_load_b32 s18, s[14:15], s17 offset:0x0 scale_offset
	s_load_b32 s3, s[14:15], s2 offset:0x0 scale_offset
	s_load_b256 s[4:11], s[0:1], 0x28
	s_wait_xcnt 0x0
	s_bfe_u32 s2, ttmp6, 0x4000c
	s_and_b32 s15, ttmp6, 15
	s_add_co_i32 s2, s2, 1
	s_lshr_b32 s14, 0x400, s17
	s_mul_i32 s2, ttmp9, s2
	v_lshrrev_b32_e32 v1, s17, v0
	s_add_co_i32 s15, s15, s2
	v_bfe_u32 v10, v0, 0, s17
	s_wait_kmcnt 0x0
	s_sub_co_i32 s3, s3, s18
	s_cmp_eq_u32 s19, 0
	s_cselect_b32 s2, ttmp9, s15
	s_delay_alu instid0(SALU_CYCLE_1) | instskip(NEXT) | instid1(SALU_CYCLE_1)
	s_mul_i32 s15, s14, s2
	v_add_nc_u32_e32 v6, s15, v1
	v_subrev_nc_u32_e32 v1, s16, v10
	s_add_co_i32 s2, s15, s14
	s_delay_alu instid0(SALU_CYCLE_1)
	s_min_u32 s19, s3, s2
	s_mov_b32 s2, exec_lo
	v_cmpx_gt_u32_e64 s19, v6
	s_cbranch_execz .LBB27_9
; %bb.6:
	v_add_nc_u32_e32 v6, s18, v6
	s_mov_b32 s3, exec_lo
	global_load_b32 v6, v6, s[12:13] scale_offset
	s_wait_loadcnt 0x0
	v_ashrrev_i32_e32 v7, 31, v6
	s_delay_alu instid0(VALU_DEP_1)
	v_lshl_add_u64 v[6:7], v[6:7], 2, s[4:5]
	global_load_b64 v[8:9], v[6:7], off
	s_wait_xcnt 0x0
	v_mov_b64_e32 v[6:7], 0
	s_wait_loadcnt 0x0
	v_sub_nc_u32_e32 v9, v9, v8
	s_delay_alu instid0(VALU_DEP_1)
	v_cmpx_lt_u32_e64 v10, v9
	s_cbranch_execz .LBB27_8
; %bb.7:
	v_add_nc_u32_e32 v8, v8, v1
	s_clause 0x1
	global_load_b32 v9, v8, s[6:7] scale_offset
	global_load_b64 v[6:7], v8, s[8:9] scale_offset
	s_wait_loadcnt 0x1
	s_wait_xcnt 0x0
	v_subrev_nc_u32_e32 v8, s16, v9
	s_wait_loadcnt 0x0
	v_mul_f64_e32 v[6:7], v[4:5], v[6:7]
	global_load_b64 v[8:9], v8, s[10:11] scale_offset
	s_wait_loadcnt 0x0
	v_mul_f64_e32 v[6:7], v[6:7], v[8:9]
.LBB27_8:
	s_or_b32 exec_lo, exec_lo, s3
	v_lshlrev_b32_e32 v8, 3, v0
	ds_store_b64 v8, v[6:7]
.LBB27_9:
	s_or_b32 exec_lo, exec_lo, s2
	s_load_b64 s[2:3], s[0:1], 0x50
	v_or_b32_e32 v6, 0x100, v0
	s_wait_xcnt 0x0
	s_mov_b32 s0, exec_lo
	s_delay_alu instid0(VALU_DEP_1) | instskip(NEXT) | instid1(VALU_DEP_1)
	v_lshrrev_b32_e32 v6, s17, v6
	v_add_nc_u32_e32 v6, s15, v6
	s_delay_alu instid0(VALU_DEP_1)
	v_cmpx_gt_u32_e64 s19, v6
	s_cbranch_execz .LBB27_13
; %bb.10:
	v_add_nc_u32_e32 v6, s18, v6
	s_mov_b32 s1, exec_lo
	global_load_b32 v6, v6, s[12:13] scale_offset
	s_wait_loadcnt 0x0
	v_ashrrev_i32_e32 v7, 31, v6
	s_delay_alu instid0(VALU_DEP_1)
	v_lshl_add_u64 v[6:7], v[6:7], 2, s[4:5]
	global_load_b64 v[8:9], v[6:7], off
	s_wait_xcnt 0x0
	v_mov_b64_e32 v[6:7], 0
	s_wait_loadcnt 0x0
	v_sub_nc_u32_e32 v9, v9, v8
	s_delay_alu instid0(VALU_DEP_1)
	v_cmpx_lt_u32_e64 v10, v9
	s_cbranch_execz .LBB27_12
; %bb.11:
	v_add_nc_u32_e32 v8, v8, v1
	s_clause 0x1
	global_load_b32 v9, v8, s[6:7] scale_offset
	global_load_b64 v[6:7], v8, s[8:9] scale_offset
	s_wait_loadcnt 0x1
	s_wait_xcnt 0x0
	v_subrev_nc_u32_e32 v8, s16, v9
	s_wait_loadcnt 0x0
	v_mul_f64_e32 v[6:7], v[4:5], v[6:7]
	global_load_b64 v[8:9], v8, s[10:11] scale_offset
	s_wait_loadcnt 0x0
	v_mul_f64_e32 v[6:7], v[6:7], v[8:9]
.LBB27_12:
	s_or_b32 exec_lo, exec_lo, s1
	v_lshlrev_b32_e32 v8, 3, v0
	ds_store_b64 v8, v[6:7] offset:2048
.LBB27_13:
	s_or_b32 exec_lo, exec_lo, s0
	v_or_b32_e32 v6, 0x200, v0
	s_mov_b32 s0, exec_lo
	s_delay_alu instid0(VALU_DEP_1) | instskip(NEXT) | instid1(VALU_DEP_1)
	v_lshrrev_b32_e32 v6, s17, v6
	v_add_nc_u32_e32 v6, s15, v6
	s_delay_alu instid0(VALU_DEP_1)
	v_cmpx_gt_u32_e64 s19, v6
	s_cbranch_execz .LBB27_17
; %bb.14:
	v_add_nc_u32_e32 v6, s18, v6
	s_mov_b32 s1, exec_lo
	global_load_b32 v6, v6, s[12:13] scale_offset
	s_wait_loadcnt 0x0
	v_ashrrev_i32_e32 v7, 31, v6
	s_delay_alu instid0(VALU_DEP_1)
	v_lshl_add_u64 v[6:7], v[6:7], 2, s[4:5]
	global_load_b64 v[8:9], v[6:7], off
	s_wait_xcnt 0x0
	v_mov_b64_e32 v[6:7], 0
	s_wait_loadcnt 0x0
	v_sub_nc_u32_e32 v9, v9, v8
	s_delay_alu instid0(VALU_DEP_1)
	v_cmpx_lt_u32_e64 v10, v9
	s_cbranch_execz .LBB27_16
; %bb.15:
	v_add_nc_u32_e32 v8, v8, v1
	s_clause 0x1
	global_load_b32 v9, v8, s[6:7] scale_offset
	global_load_b64 v[6:7], v8, s[8:9] scale_offset
	s_wait_loadcnt 0x1
	s_wait_xcnt 0x0
	v_subrev_nc_u32_e32 v8, s16, v9
	s_wait_loadcnt 0x0
	v_mul_f64_e32 v[6:7], v[4:5], v[6:7]
	global_load_b64 v[8:9], v8, s[10:11] scale_offset
	s_wait_loadcnt 0x0
	v_mul_f64_e32 v[6:7], v[6:7], v[8:9]
.LBB27_16:
	s_or_b32 exec_lo, exec_lo, s1
	v_lshlrev_b32_e32 v8, 3, v0
	ds_store_b64 v8, v[6:7] offset:4096
.LBB27_17:
	s_or_b32 exec_lo, exec_lo, s0
	v_or_b32_e32 v6, 0x300, v0
	s_mov_b32 s0, exec_lo
	s_delay_alu instid0(VALU_DEP_1) | instskip(NEXT) | instid1(VALU_DEP_1)
	v_lshrrev_b32_e32 v6, s17, v6
	v_add_nc_u32_e32 v6, s15, v6
	s_delay_alu instid0(VALU_DEP_1)
	v_cmpx_gt_u32_e64 s19, v6
	s_cbranch_execz .LBB27_21
; %bb.18:
	v_add_nc_u32_e32 v6, s18, v6
	s_mov_b32 s1, exec_lo
	global_load_b32 v6, v6, s[12:13] scale_offset
	s_wait_loadcnt 0x0
	v_ashrrev_i32_e32 v7, 31, v6
	s_delay_alu instid0(VALU_DEP_1)
	v_lshl_add_u64 v[6:7], v[6:7], 2, s[4:5]
	global_load_b64 v[8:9], v[6:7], off
	s_wait_xcnt 0x0
	v_mov_b64_e32 v[6:7], 0
	s_wait_loadcnt 0x0
	v_sub_nc_u32_e32 v9, v9, v8
	s_delay_alu instid0(VALU_DEP_1)
	v_cmpx_lt_u32_e64 v10, v9
	s_cbranch_execz .LBB27_20
; %bb.19:
	v_add_nc_u32_e32 v1, v8, v1
	s_clause 0x1
	global_load_b32 v8, v1, s[6:7] scale_offset
	global_load_b64 v[6:7], v1, s[8:9] scale_offset
	s_wait_loadcnt 0x1
	s_wait_xcnt 0x0
	v_subrev_nc_u32_e32 v1, s16, v8
	s_wait_loadcnt 0x0
	v_mul_f64_e32 v[4:5], v[4:5], v[6:7]
	global_load_b64 v[8:9], v1, s[10:11] scale_offset
	s_wait_loadcnt 0x0
	v_mul_f64_e32 v[6:7], v[4:5], v[8:9]
.LBB27_20:
	s_or_b32 exec_lo, exec_lo, s1
	v_lshlrev_b32_e32 v1, 3, v0
	ds_store_b64 v1, v[6:7] offset:6144
.LBB27_21:
	s_or_b32 exec_lo, exec_lo, s0
	s_cmp_lt_u32 s17, 11
	s_wait_dscnt 0x0
	s_barrier_signal -1
	s_barrier_wait -1
	s_cbranch_scc0 .LBB27_30
; %bb.22:
	s_sub_co_i32 s1, s19, s15
	s_add_co_i32 s18, s18, s15
	s_mov_b32 s4, 0
	v_cmp_neq_f64_e32 vcc_lo, 0, v[2:3]
	s_branch .LBB27_25
.LBB27_23:                              ;   in Loop: Header=BB27_25 Depth=1
	s_wait_xcnt 0x0
	s_or_b32 exec_lo, exec_lo, s0
	global_store_b64 v[6:7], v[4:5], off
.LBB27_24:                              ;   in Loop: Header=BB27_25 Depth=1
	s_wait_xcnt 0x0
	s_or_b32 exec_lo, exec_lo, s5
	s_addk_co_i32 s4, 0x100
	s_delay_alu instid0(SALU_CYCLE_1)
	s_cmp_lt_u32 s4, s14
	s_cbranch_scc0 .LBB27_30
.LBB27_25:                              ; =>This Loop Header: Depth=1
                                        ;     Child Loop BB27_27 Depth 2
	v_add_nc_u32_e32 v1, s4, v0
	s_mov_b32 s5, exec_lo
	s_delay_alu instid0(VALU_DEP_1)
	v_cmpx_gt_u32_e64 s1, v1
	s_cbranch_execz .LBB27_24
; %bb.26:                               ;   in Loop: Header=BB27_25 Depth=1
	v_dual_add_nc_u32 v4, s18, v1 :: v_dual_lshlrev_b32 v1, s17, v1
	s_mov_b32 s0, 1
	global_load_b32 v6, v4, s[12:13] scale_offset
	s_wait_xcnt 0x0
	v_mov_b64_e32 v[4:5], 0
	v_lshlrev_b32_e32 v1, 3, v1
.LBB27_27:                              ;   Parent Loop BB27_25 Depth=1
                                        ; =>  This Inner Loop Header: Depth=2
	ds_load_b64 v[8:9], v1
	v_add_nc_u32_e32 v1, 8, v1
	s_lshr_b32 s6, s0, s17
	s_add_co_i32 s0, s0, 1
	s_cmp_lg_u32 s6, 0
	s_wait_dscnt 0x0
	v_add_f64_e32 v[4:5], v[4:5], v[8:9]
	s_cbranch_scc0 .LBB27_27
; %bb.28:                               ;   in Loop: Header=BB27_25 Depth=1
	s_wait_loadcnt 0x0
	v_ashrrev_i32_e32 v7, 31, v6
	s_wait_kmcnt 0x0
	s_delay_alu instid0(VALU_DEP_1)
	v_lshl_add_u64 v[6:7], v[6:7], 3, s[2:3]
	s_and_saveexec_b32 s0, vcc_lo
	s_cbranch_execz .LBB27_23
; %bb.29:                               ;   in Loop: Header=BB27_25 Depth=1
	global_load_b64 v[8:9], v[6:7], off
	s_wait_loadcnt 0x0
	v_fmac_f64_e32 v[4:5], v[2:3], v[8:9]
	s_branch .LBB27_23
.LBB27_30:
	s_endpgm
	.section	.rodata,"a",@progbits
	.p2align	6, 0x0
	.amdhsa_kernel _ZN9rocsparseL30csrmvn_lrb_short_rows_2_kernelIiiddddEEvbT_PT0_S3_jNS_24const_host_device_scalarIT4_EEPKS1_PKS2_PKT1_PKT2_S6_PT3_21rocsparse_index_base_b
		.amdhsa_group_segment_fixed_size 8192
		.amdhsa_private_segment_fixed_size 0
		.amdhsa_kernarg_size 96
		.amdhsa_user_sgpr_count 2
		.amdhsa_user_sgpr_dispatch_ptr 0
		.amdhsa_user_sgpr_queue_ptr 0
		.amdhsa_user_sgpr_kernarg_segment_ptr 1
		.amdhsa_user_sgpr_dispatch_id 0
		.amdhsa_user_sgpr_kernarg_preload_length 0
		.amdhsa_user_sgpr_kernarg_preload_offset 0
		.amdhsa_user_sgpr_private_segment_size 0
		.amdhsa_wavefront_size32 1
		.amdhsa_uses_dynamic_stack 0
		.amdhsa_enable_private_segment 0
		.amdhsa_system_sgpr_workgroup_id_x 1
		.amdhsa_system_sgpr_workgroup_id_y 0
		.amdhsa_system_sgpr_workgroup_id_z 0
		.amdhsa_system_sgpr_workgroup_info 0
		.amdhsa_system_vgpr_workitem_id 0
		.amdhsa_next_free_vgpr 11
		.amdhsa_next_free_sgpr 20
		.amdhsa_named_barrier_count 0
		.amdhsa_reserve_vcc 1
		.amdhsa_float_round_mode_32 0
		.amdhsa_float_round_mode_16_64 0
		.amdhsa_float_denorm_mode_32 3
		.amdhsa_float_denorm_mode_16_64 3
		.amdhsa_fp16_overflow 0
		.amdhsa_memory_ordered 1
		.amdhsa_forward_progress 1
		.amdhsa_inst_pref_size 11
		.amdhsa_round_robin_scheduling 0
		.amdhsa_exception_fp_ieee_invalid_op 0
		.amdhsa_exception_fp_denorm_src 0
		.amdhsa_exception_fp_ieee_div_zero 0
		.amdhsa_exception_fp_ieee_overflow 0
		.amdhsa_exception_fp_ieee_underflow 0
		.amdhsa_exception_fp_ieee_inexact 0
		.amdhsa_exception_int_div_zero 0
	.end_amdhsa_kernel
	.section	.text._ZN9rocsparseL30csrmvn_lrb_short_rows_2_kernelIiiddddEEvbT_PT0_S3_jNS_24const_host_device_scalarIT4_EEPKS1_PKS2_PKT1_PKT2_S6_PT3_21rocsparse_index_base_b,"axG",@progbits,_ZN9rocsparseL30csrmvn_lrb_short_rows_2_kernelIiiddddEEvbT_PT0_S3_jNS_24const_host_device_scalarIT4_EEPKS1_PKS2_PKT1_PKT2_S6_PT3_21rocsparse_index_base_b,comdat
.Lfunc_end27:
	.size	_ZN9rocsparseL30csrmvn_lrb_short_rows_2_kernelIiiddddEEvbT_PT0_S3_jNS_24const_host_device_scalarIT4_EEPKS1_PKS2_PKT1_PKT2_S6_PT3_21rocsparse_index_base_b, .Lfunc_end27-_ZN9rocsparseL30csrmvn_lrb_short_rows_2_kernelIiiddddEEvbT_PT0_S3_jNS_24const_host_device_scalarIT4_EEPKS1_PKS2_PKT1_PKT2_S6_PT3_21rocsparse_index_base_b
                                        ; -- End function
	.set _ZN9rocsparseL30csrmvn_lrb_short_rows_2_kernelIiiddddEEvbT_PT0_S3_jNS_24const_host_device_scalarIT4_EEPKS1_PKS2_PKT1_PKT2_S6_PT3_21rocsparse_index_base_b.num_vgpr, 11
	.set _ZN9rocsparseL30csrmvn_lrb_short_rows_2_kernelIiiddddEEvbT_PT0_S3_jNS_24const_host_device_scalarIT4_EEPKS1_PKS2_PKT1_PKT2_S6_PT3_21rocsparse_index_base_b.num_agpr, 0
	.set _ZN9rocsparseL30csrmvn_lrb_short_rows_2_kernelIiiddddEEvbT_PT0_S3_jNS_24const_host_device_scalarIT4_EEPKS1_PKS2_PKT1_PKT2_S6_PT3_21rocsparse_index_base_b.numbered_sgpr, 20
	.set _ZN9rocsparseL30csrmvn_lrb_short_rows_2_kernelIiiddddEEvbT_PT0_S3_jNS_24const_host_device_scalarIT4_EEPKS1_PKS2_PKT1_PKT2_S6_PT3_21rocsparse_index_base_b.num_named_barrier, 0
	.set _ZN9rocsparseL30csrmvn_lrb_short_rows_2_kernelIiiddddEEvbT_PT0_S3_jNS_24const_host_device_scalarIT4_EEPKS1_PKS2_PKT1_PKT2_S6_PT3_21rocsparse_index_base_b.private_seg_size, 0
	.set _ZN9rocsparseL30csrmvn_lrb_short_rows_2_kernelIiiddddEEvbT_PT0_S3_jNS_24const_host_device_scalarIT4_EEPKS1_PKS2_PKT1_PKT2_S6_PT3_21rocsparse_index_base_b.uses_vcc, 1
	.set _ZN9rocsparseL30csrmvn_lrb_short_rows_2_kernelIiiddddEEvbT_PT0_S3_jNS_24const_host_device_scalarIT4_EEPKS1_PKS2_PKT1_PKT2_S6_PT3_21rocsparse_index_base_b.uses_flat_scratch, 0
	.set _ZN9rocsparseL30csrmvn_lrb_short_rows_2_kernelIiiddddEEvbT_PT0_S3_jNS_24const_host_device_scalarIT4_EEPKS1_PKS2_PKT1_PKT2_S6_PT3_21rocsparse_index_base_b.has_dyn_sized_stack, 0
	.set _ZN9rocsparseL30csrmvn_lrb_short_rows_2_kernelIiiddddEEvbT_PT0_S3_jNS_24const_host_device_scalarIT4_EEPKS1_PKS2_PKT1_PKT2_S6_PT3_21rocsparse_index_base_b.has_recursion, 0
	.set _ZN9rocsparseL30csrmvn_lrb_short_rows_2_kernelIiiddddEEvbT_PT0_S3_jNS_24const_host_device_scalarIT4_EEPKS1_PKS2_PKT1_PKT2_S6_PT3_21rocsparse_index_base_b.has_indirect_call, 0
	.section	.AMDGPU.csdata,"",@progbits
; Kernel info:
; codeLenInByte = 1388
; TotalNumSgprs: 22
; NumVgprs: 11
; ScratchSize: 0
; MemoryBound: 0
; FloatMode: 240
; IeeeMode: 1
; LDSByteSize: 8192 bytes/workgroup (compile time only)
; SGPRBlocks: 0
; VGPRBlocks: 0
; NumSGPRsForWavesPerEU: 22
; NumVGPRsForWavesPerEU: 11
; NamedBarCnt: 0
; Occupancy: 16
; WaveLimiterHint : 1
; COMPUTE_PGM_RSRC2:SCRATCH_EN: 0
; COMPUTE_PGM_RSRC2:USER_SGPR: 2
; COMPUTE_PGM_RSRC2:TRAP_HANDLER: 0
; COMPUTE_PGM_RSRC2:TGID_X_EN: 1
; COMPUTE_PGM_RSRC2:TGID_Y_EN: 0
; COMPUTE_PGM_RSRC2:TGID_Z_EN: 0
; COMPUTE_PGM_RSRC2:TIDIG_COMP_CNT: 0
	.section	.text._ZN9rocsparseL41csrmvn_lrb_medium_rows_warp_reduce_kernelILj256ELj32EiiddddEEvbT1_lPT2_S3_jNS_24const_host_device_scalarIT6_EEPKS1_PKS2_PKT3_PKT4_S6_PT5_21rocsparse_index_base_b,"axG",@progbits,_ZN9rocsparseL41csrmvn_lrb_medium_rows_warp_reduce_kernelILj256ELj32EiiddddEEvbT1_lPT2_S3_jNS_24const_host_device_scalarIT6_EEPKS1_PKS2_PKT3_PKT4_S6_PT5_21rocsparse_index_base_b,comdat
	.globl	_ZN9rocsparseL41csrmvn_lrb_medium_rows_warp_reduce_kernelILj256ELj32EiiddddEEvbT1_lPT2_S3_jNS_24const_host_device_scalarIT6_EEPKS1_PKS2_PKT3_PKT4_S6_PT5_21rocsparse_index_base_b ; -- Begin function _ZN9rocsparseL41csrmvn_lrb_medium_rows_warp_reduce_kernelILj256ELj32EiiddddEEvbT1_lPT2_S3_jNS_24const_host_device_scalarIT6_EEPKS1_PKS2_PKT3_PKT4_S6_PT5_21rocsparse_index_base_b
	.p2align	8
	.type	_ZN9rocsparseL41csrmvn_lrb_medium_rows_warp_reduce_kernelILj256ELj32EiiddddEEvbT1_lPT2_S3_jNS_24const_host_device_scalarIT6_EEPKS1_PKS2_PKT3_PKT4_S6_PT5_21rocsparse_index_base_b,@function
_ZN9rocsparseL41csrmvn_lrb_medium_rows_warp_reduce_kernelILj256ELj32EiiddddEEvbT1_lPT2_S3_jNS_24const_host_device_scalarIT6_EEPKS1_PKS2_PKT3_PKT4_S6_PT5_21rocsparse_index_base_b: ; @_ZN9rocsparseL41csrmvn_lrb_medium_rows_warp_reduce_kernelILj256ELj32EiiddddEEvbT1_lPT2_S3_jNS_24const_host_device_scalarIT6_EEPKS1_PKS2_PKT3_PKT4_S6_PT5_21rocsparse_index_base_b
; %bb.0:
	s_clause 0x2
	s_load_b64 s[8:9], s[0:1], 0x60
	s_load_b64 s[4:5], s[0:1], 0x28
	;; [unrolled: 1-line block ×3, first 2 shown]
	s_wait_kmcnt 0x0
	s_bitcmp1_b32 s9, 0
	v_mov_b64_e32 v[4:5], s[4:5]
	s_cselect_b32 s6, -1, 0
	s_delay_alu instid0(SALU_CYCLE_1)
	s_and_b32 vcc_lo, exec_lo, s6
	s_xor_b32 s6, s6, -1
	s_cbranch_vccnz .LBB28_2
; %bb.1:
	v_mov_b32_e32 v1, 0
	flat_load_b64 v[4:5], v1, s[4:5]
.LBB28_2:
	v_mov_b64_e32 v[2:3], s[2:3]
	s_and_not1_b32 vcc_lo, exec_lo, s6
	s_cbranch_vccnz .LBB28_4
; %bb.3:
	s_wait_xcnt 0x0
	v_mov_b32_e32 v1, 0
	flat_load_b64 v[2:3], v1, s[2:3]
.LBB28_4:
	s_wait_loadcnt_dscnt 0x0
	v_cmp_neq_f64_e32 vcc_lo, 0, v[4:5]
	s_delay_alu instid0(VALU_DEP_2) | instskip(SKIP_1) | instid1(SALU_CYCLE_1)
	v_cmp_neq_f64_e64 s2, 1.0, v[2:3]
	s_or_b32 s2, vcc_lo, s2
	s_and_saveexec_b32 s3, s2
	s_cbranch_execz .LBB28_14
; %bb.5:
	s_bfe_u32 s4, ttmp6, 0x4000c
	s_load_b64 s[2:3], s[0:1], 0x8
	s_add_co_i32 s4, s4, 1
	s_and_b32 s5, ttmp6, 15
	s_mul_i32 s4, ttmp9, s4
	s_getreg_b32 s6, hwreg(HW_REG_IB_STS2, 6, 4)
	v_lshrrev_b32_e32 v1, 5, v0
	s_add_co_i32 s5, s5, s4
	s_cmp_eq_u32 s6, 0
	s_cselect_b32 s4, ttmp9, s5
	s_delay_alu instid0(VALU_DEP_1) | instid1(SALU_CYCLE_1)
	v_lshl_or_b32 v6, s4, 3, v1
	s_delay_alu instid0(VALU_DEP_1) | instskip(SKIP_1) | instid1(VALU_DEP_1)
	v_ashrrev_i32_e32 v7, 31, v6
	s_wait_kmcnt 0x0
	v_cmp_gt_i64_e32 vcc_lo, s[2:3], v[6:7]
	s_and_b32 exec_lo, exec_lo, vcc_lo
	s_cbranch_execz .LBB28_14
; %bb.6:
	s_clause 0x1
	s_load_b128 s[4:7], s[0:1], 0x10
	s_load_b32 s2, s[0:1], 0x20
	s_mov_b32 s9, exec_lo
	s_wait_kmcnt 0x0
	s_load_b32 s2, s[6:7], s2 offset:0x0 scale_offset
	s_wait_kmcnt 0x0
	v_add_nc_u32_e32 v1, s2, v6
	s_load_b64 s[2:3], s[0:1], 0x30
	global_load_b32 v6, v1, s[4:5] scale_offset
	s_wait_loadcnt 0x0
	v_ashrrev_i32_e32 v7, 31, v6
	s_wait_kmcnt 0x0
	s_delay_alu instid0(VALU_DEP_1) | instskip(SKIP_3) | instid1(VALU_DEP_1)
	v_lshl_add_u64 v[8:9], v[6:7], 2, s[2:3]
	global_load_b64 v[10:11], v[8:9], off
	s_wait_xcnt 0x0
	v_and_b32_e32 v8, 31, v0
	v_subrev_nc_u32_e32 v0, s8, v8
	s_wait_loadcnt 0x0
	s_delay_alu instid0(VALU_DEP_1) | instskip(SKIP_2) | instid1(VALU_DEP_1)
	v_add_nc_u32_e32 v10, v10, v0
	v_mov_b64_e32 v[0:1], 0
	v_subrev_nc_u32_e32 v9, s8, v11
	v_cmpx_lt_i32_e64 v10, v9
	s_cbranch_execz .LBB28_10
; %bb.7:
	s_clause 0x1
	s_load_b128 s[4:7], s[0:1], 0x38
	s_load_b64 s[2:3], s[0:1], 0x48
	v_mov_b64_e32 v[0:1], 0
	s_mov_b32 s10, 0
.LBB28_8:                               ; =>This Inner Loop Header: Depth=1
	s_wait_kmcnt 0x0
	s_clause 0x1
	global_load_b32 v11, v10, s[4:5] scale_offset
	global_load_b64 v[12:13], v10, s[6:7] scale_offset
	s_wait_xcnt 0x0
	v_add_nc_u32_e32 v10, 32, v10
	s_delay_alu instid0(VALU_DEP_1)
	v_cmp_ge_i32_e32 vcc_lo, v10, v9
	s_or_b32 s10, vcc_lo, s10
	s_wait_loadcnt 0x1
	v_subrev_nc_u32_e32 v11, s8, v11
	s_wait_loadcnt 0x0
	v_mul_f64_e32 v[12:13], v[4:5], v[12:13]
	global_load_b64 v[14:15], v11, s[2:3] scale_offset
	s_wait_loadcnt 0x0
	v_fmac_f64_e32 v[0:1], v[12:13], v[14:15]
	s_and_not1_b32 exec_lo, exec_lo, s10
	s_cbranch_execnz .LBB28_8
; %bb.9:
	s_or_b32 exec_lo, exec_lo, s10
.LBB28_10:
	s_delay_alu instid0(SALU_CYCLE_1) | instskip(SKIP_2) | instid1(VALU_DEP_1)
	s_or_b32 exec_lo, exec_lo, s9
	v_mbcnt_lo_u32_b32 v9, -1, 0
	s_load_b64 s[0:1], s[0:1], 0x58
	v_xor_b32_e32 v4, 16, v9
	s_delay_alu instid0(VALU_DEP_1) | instskip(SKIP_1) | instid1(VALU_DEP_1)
	v_cmp_gt_i32_e32 vcc_lo, 32, v4
	v_cndmask_b32_e32 v4, v9, v4, vcc_lo
	v_lshlrev_b32_e32 v5, 2, v4
	ds_bpermute_b32 v4, v5, v0
	ds_bpermute_b32 v5, v5, v1
	s_wait_dscnt 0x0
	v_add_f64_e32 v[0:1], v[0:1], v[4:5]
	v_xor_b32_e32 v4, 8, v9
	s_delay_alu instid0(VALU_DEP_1) | instskip(SKIP_1) | instid1(VALU_DEP_1)
	v_cmp_gt_i32_e32 vcc_lo, 32, v4
	v_cndmask_b32_e32 v4, v9, v4, vcc_lo
	v_lshlrev_b32_e32 v5, 2, v4
	ds_bpermute_b32 v4, v5, v0
	ds_bpermute_b32 v5, v5, v1
	s_wait_dscnt 0x0
	v_add_f64_e32 v[0:1], v[0:1], v[4:5]
	;; [unrolled: 9-line block ×4, first 2 shown]
	v_xor_b32_e32 v4, 1, v9
	s_delay_alu instid0(VALU_DEP_1) | instskip(SKIP_2) | instid1(VALU_DEP_2)
	v_cmp_gt_i32_e32 vcc_lo, 32, v4
	v_cndmask_b32_e32 v4, v9, v4, vcc_lo
	v_cmp_eq_u32_e32 vcc_lo, 31, v8
	v_lshlrev_b32_e32 v5, 2, v4
	ds_bpermute_b32 v4, v5, v0
	ds_bpermute_b32 v5, v5, v1
	s_and_b32 exec_lo, exec_lo, vcc_lo
	s_cbranch_execz .LBB28_14
; %bb.11:
	s_wait_dscnt 0x0
	v_add_f64_e32 v[0:1], v[0:1], v[4:5]
	s_wait_kmcnt 0x0
	v_lshl_add_u64 v[4:5], v[6:7], 3, s[0:1]
	s_mov_b32 s0, exec_lo
	v_cmpx_neq_f64_e32 0, v[2:3]
	s_cbranch_execz .LBB28_13
; %bb.12:
	global_load_b64 v[6:7], v[4:5], off
	s_wait_loadcnt 0x0
	v_fmac_f64_e32 v[0:1], v[2:3], v[6:7]
.LBB28_13:
	s_or_b32 exec_lo, exec_lo, s0
	global_store_b64 v[4:5], v[0:1], off
.LBB28_14:
	s_endpgm
	.section	.rodata,"a",@progbits
	.p2align	6, 0x0
	.amdhsa_kernel _ZN9rocsparseL41csrmvn_lrb_medium_rows_warp_reduce_kernelILj256ELj32EiiddddEEvbT1_lPT2_S3_jNS_24const_host_device_scalarIT6_EEPKS1_PKS2_PKT3_PKT4_S6_PT5_21rocsparse_index_base_b
		.amdhsa_group_segment_fixed_size 0
		.amdhsa_private_segment_fixed_size 0
		.amdhsa_kernarg_size 104
		.amdhsa_user_sgpr_count 2
		.amdhsa_user_sgpr_dispatch_ptr 0
		.amdhsa_user_sgpr_queue_ptr 0
		.amdhsa_user_sgpr_kernarg_segment_ptr 1
		.amdhsa_user_sgpr_dispatch_id 0
		.amdhsa_user_sgpr_kernarg_preload_length 0
		.amdhsa_user_sgpr_kernarg_preload_offset 0
		.amdhsa_user_sgpr_private_segment_size 0
		.amdhsa_wavefront_size32 1
		.amdhsa_uses_dynamic_stack 0
		.amdhsa_enable_private_segment 0
		.amdhsa_system_sgpr_workgroup_id_x 1
		.amdhsa_system_sgpr_workgroup_id_y 0
		.amdhsa_system_sgpr_workgroup_id_z 0
		.amdhsa_system_sgpr_workgroup_info 0
		.amdhsa_system_vgpr_workitem_id 0
		.amdhsa_next_free_vgpr 16
		.amdhsa_next_free_sgpr 11
		.amdhsa_named_barrier_count 0
		.amdhsa_reserve_vcc 1
		.amdhsa_float_round_mode_32 0
		.amdhsa_float_round_mode_16_64 0
		.amdhsa_float_denorm_mode_32 3
		.amdhsa_float_denorm_mode_16_64 3
		.amdhsa_fp16_overflow 0
		.amdhsa_memory_ordered 1
		.amdhsa_forward_progress 1
		.amdhsa_inst_pref_size 7
		.amdhsa_round_robin_scheduling 0
		.amdhsa_exception_fp_ieee_invalid_op 0
		.amdhsa_exception_fp_denorm_src 0
		.amdhsa_exception_fp_ieee_div_zero 0
		.amdhsa_exception_fp_ieee_overflow 0
		.amdhsa_exception_fp_ieee_underflow 0
		.amdhsa_exception_fp_ieee_inexact 0
		.amdhsa_exception_int_div_zero 0
	.end_amdhsa_kernel
	.section	.text._ZN9rocsparseL41csrmvn_lrb_medium_rows_warp_reduce_kernelILj256ELj32EiiddddEEvbT1_lPT2_S3_jNS_24const_host_device_scalarIT6_EEPKS1_PKS2_PKT3_PKT4_S6_PT5_21rocsparse_index_base_b,"axG",@progbits,_ZN9rocsparseL41csrmvn_lrb_medium_rows_warp_reduce_kernelILj256ELj32EiiddddEEvbT1_lPT2_S3_jNS_24const_host_device_scalarIT6_EEPKS1_PKS2_PKT3_PKT4_S6_PT5_21rocsparse_index_base_b,comdat
.Lfunc_end28:
	.size	_ZN9rocsparseL41csrmvn_lrb_medium_rows_warp_reduce_kernelILj256ELj32EiiddddEEvbT1_lPT2_S3_jNS_24const_host_device_scalarIT6_EEPKS1_PKS2_PKT3_PKT4_S6_PT5_21rocsparse_index_base_b, .Lfunc_end28-_ZN9rocsparseL41csrmvn_lrb_medium_rows_warp_reduce_kernelILj256ELj32EiiddddEEvbT1_lPT2_S3_jNS_24const_host_device_scalarIT6_EEPKS1_PKS2_PKT3_PKT4_S6_PT5_21rocsparse_index_base_b
                                        ; -- End function
	.set _ZN9rocsparseL41csrmvn_lrb_medium_rows_warp_reduce_kernelILj256ELj32EiiddddEEvbT1_lPT2_S3_jNS_24const_host_device_scalarIT6_EEPKS1_PKS2_PKT3_PKT4_S6_PT5_21rocsparse_index_base_b.num_vgpr, 16
	.set _ZN9rocsparseL41csrmvn_lrb_medium_rows_warp_reduce_kernelILj256ELj32EiiddddEEvbT1_lPT2_S3_jNS_24const_host_device_scalarIT6_EEPKS1_PKS2_PKT3_PKT4_S6_PT5_21rocsparse_index_base_b.num_agpr, 0
	.set _ZN9rocsparseL41csrmvn_lrb_medium_rows_warp_reduce_kernelILj256ELj32EiiddddEEvbT1_lPT2_S3_jNS_24const_host_device_scalarIT6_EEPKS1_PKS2_PKT3_PKT4_S6_PT5_21rocsparse_index_base_b.numbered_sgpr, 11
	.set _ZN9rocsparseL41csrmvn_lrb_medium_rows_warp_reduce_kernelILj256ELj32EiiddddEEvbT1_lPT2_S3_jNS_24const_host_device_scalarIT6_EEPKS1_PKS2_PKT3_PKT4_S6_PT5_21rocsparse_index_base_b.num_named_barrier, 0
	.set _ZN9rocsparseL41csrmvn_lrb_medium_rows_warp_reduce_kernelILj256ELj32EiiddddEEvbT1_lPT2_S3_jNS_24const_host_device_scalarIT6_EEPKS1_PKS2_PKT3_PKT4_S6_PT5_21rocsparse_index_base_b.private_seg_size, 0
	.set _ZN9rocsparseL41csrmvn_lrb_medium_rows_warp_reduce_kernelILj256ELj32EiiddddEEvbT1_lPT2_S3_jNS_24const_host_device_scalarIT6_EEPKS1_PKS2_PKT3_PKT4_S6_PT5_21rocsparse_index_base_b.uses_vcc, 1
	.set _ZN9rocsparseL41csrmvn_lrb_medium_rows_warp_reduce_kernelILj256ELj32EiiddddEEvbT1_lPT2_S3_jNS_24const_host_device_scalarIT6_EEPKS1_PKS2_PKT3_PKT4_S6_PT5_21rocsparse_index_base_b.uses_flat_scratch, 0
	.set _ZN9rocsparseL41csrmvn_lrb_medium_rows_warp_reduce_kernelILj256ELj32EiiddddEEvbT1_lPT2_S3_jNS_24const_host_device_scalarIT6_EEPKS1_PKS2_PKT3_PKT4_S6_PT5_21rocsparse_index_base_b.has_dyn_sized_stack, 0
	.set _ZN9rocsparseL41csrmvn_lrb_medium_rows_warp_reduce_kernelILj256ELj32EiiddddEEvbT1_lPT2_S3_jNS_24const_host_device_scalarIT6_EEPKS1_PKS2_PKT3_PKT4_S6_PT5_21rocsparse_index_base_b.has_recursion, 0
	.set _ZN9rocsparseL41csrmvn_lrb_medium_rows_warp_reduce_kernelILj256ELj32EiiddddEEvbT1_lPT2_S3_jNS_24const_host_device_scalarIT6_EEPKS1_PKS2_PKT3_PKT4_S6_PT5_21rocsparse_index_base_b.has_indirect_call, 0
	.section	.AMDGPU.csdata,"",@progbits
; Kernel info:
; codeLenInByte = 816
; TotalNumSgprs: 13
; NumVgprs: 16
; ScratchSize: 0
; MemoryBound: 0
; FloatMode: 240
; IeeeMode: 1
; LDSByteSize: 0 bytes/workgroup (compile time only)
; SGPRBlocks: 0
; VGPRBlocks: 0
; NumSGPRsForWavesPerEU: 13
; NumVGPRsForWavesPerEU: 16
; NamedBarCnt: 0
; Occupancy: 16
; WaveLimiterHint : 1
; COMPUTE_PGM_RSRC2:SCRATCH_EN: 0
; COMPUTE_PGM_RSRC2:USER_SGPR: 2
; COMPUTE_PGM_RSRC2:TRAP_HANDLER: 0
; COMPUTE_PGM_RSRC2:TGID_X_EN: 1
; COMPUTE_PGM_RSRC2:TGID_Y_EN: 0
; COMPUTE_PGM_RSRC2:TGID_Z_EN: 0
; COMPUTE_PGM_RSRC2:TIDIG_COMP_CNT: 0
	.section	.text._ZN9rocsparseL41csrmvn_lrb_medium_rows_warp_reduce_kernelILj256ELj64EiiddddEEvbT1_lPT2_S3_jNS_24const_host_device_scalarIT6_EEPKS1_PKS2_PKT3_PKT4_S6_PT5_21rocsparse_index_base_b,"axG",@progbits,_ZN9rocsparseL41csrmvn_lrb_medium_rows_warp_reduce_kernelILj256ELj64EiiddddEEvbT1_lPT2_S3_jNS_24const_host_device_scalarIT6_EEPKS1_PKS2_PKT3_PKT4_S6_PT5_21rocsparse_index_base_b,comdat
	.globl	_ZN9rocsparseL41csrmvn_lrb_medium_rows_warp_reduce_kernelILj256ELj64EiiddddEEvbT1_lPT2_S3_jNS_24const_host_device_scalarIT6_EEPKS1_PKS2_PKT3_PKT4_S6_PT5_21rocsparse_index_base_b ; -- Begin function _ZN9rocsparseL41csrmvn_lrb_medium_rows_warp_reduce_kernelILj256ELj64EiiddddEEvbT1_lPT2_S3_jNS_24const_host_device_scalarIT6_EEPKS1_PKS2_PKT3_PKT4_S6_PT5_21rocsparse_index_base_b
	.p2align	8
	.type	_ZN9rocsparseL41csrmvn_lrb_medium_rows_warp_reduce_kernelILj256ELj64EiiddddEEvbT1_lPT2_S3_jNS_24const_host_device_scalarIT6_EEPKS1_PKS2_PKT3_PKT4_S6_PT5_21rocsparse_index_base_b,@function
_ZN9rocsparseL41csrmvn_lrb_medium_rows_warp_reduce_kernelILj256ELj64EiiddddEEvbT1_lPT2_S3_jNS_24const_host_device_scalarIT6_EEPKS1_PKS2_PKT3_PKT4_S6_PT5_21rocsparse_index_base_b: ; @_ZN9rocsparseL41csrmvn_lrb_medium_rows_warp_reduce_kernelILj256ELj64EiiddddEEvbT1_lPT2_S3_jNS_24const_host_device_scalarIT6_EEPKS1_PKS2_PKT3_PKT4_S6_PT5_21rocsparse_index_base_b
; %bb.0:
	s_clause 0x2
	s_load_b64 s[8:9], s[0:1], 0x60
	s_load_b64 s[4:5], s[0:1], 0x28
	;; [unrolled: 1-line block ×3, first 2 shown]
	s_wait_kmcnt 0x0
	s_bitcmp1_b32 s9, 0
	v_mov_b64_e32 v[6:7], s[4:5]
	s_cselect_b32 s6, -1, 0
	s_delay_alu instid0(SALU_CYCLE_1)
	s_and_b32 vcc_lo, exec_lo, s6
	s_xor_b32 s6, s6, -1
	s_cbranch_vccnz .LBB29_2
; %bb.1:
	v_mov_b32_e32 v1, 0
	flat_load_b64 v[6:7], v1, s[4:5]
.LBB29_2:
	v_mov_b64_e32 v[2:3], s[2:3]
	s_and_not1_b32 vcc_lo, exec_lo, s6
	s_cbranch_vccnz .LBB29_4
; %bb.3:
	s_wait_xcnt 0x0
	v_mov_b32_e32 v1, 0
	flat_load_b64 v[2:3], v1, s[2:3]
.LBB29_4:
	s_wait_loadcnt_dscnt 0x0
	v_cmp_neq_f64_e32 vcc_lo, 0, v[6:7]
	s_delay_alu instid0(VALU_DEP_2) | instskip(SKIP_1) | instid1(SALU_CYCLE_1)
	v_cmp_neq_f64_e64 s2, 1.0, v[2:3]
	s_or_b32 s2, vcc_lo, s2
	s_and_saveexec_b32 s3, s2
	s_cbranch_execz .LBB29_14
; %bb.5:
	s_bfe_u32 s4, ttmp6, 0x4000c
	s_load_b64 s[2:3], s[0:1], 0x8
	s_add_co_i32 s4, s4, 1
	s_and_b32 s5, ttmp6, 15
	s_mul_i32 s4, ttmp9, s4
	s_getreg_b32 s6, hwreg(HW_REG_IB_STS2, 6, 4)
	v_lshrrev_b32_e32 v1, 6, v0
	s_add_co_i32 s5, s5, s4
	s_cmp_eq_u32 s6, 0
	s_cselect_b32 s4, ttmp9, s5
	s_delay_alu instid0(VALU_DEP_1) | instid1(SALU_CYCLE_1)
	v_lshl_or_b32 v4, s4, 2, v1
	s_delay_alu instid0(VALU_DEP_1) | instskip(SKIP_1) | instid1(VALU_DEP_1)
	v_ashrrev_i32_e32 v5, 31, v4
	s_wait_kmcnt 0x0
	v_cmp_gt_i64_e32 vcc_lo, s[2:3], v[4:5]
	s_and_b32 exec_lo, exec_lo, vcc_lo
	s_cbranch_execz .LBB29_14
; %bb.6:
	s_clause 0x1
	s_load_b128 s[4:7], s[0:1], 0x10
	s_load_b32 s2, s[0:1], 0x20
	s_mov_b32 s9, exec_lo
	s_wait_kmcnt 0x0
	s_load_b32 s2, s[6:7], s2 offset:0x0 scale_offset
	s_wait_kmcnt 0x0
	v_add_nc_u32_e32 v1, s2, v4
	s_load_b64 s[2:3], s[0:1], 0x30
	global_load_b32 v4, v1, s[4:5] scale_offset
	s_wait_loadcnt 0x0
	v_ashrrev_i32_e32 v5, 31, v4
	s_wait_kmcnt 0x0
	s_delay_alu instid0(VALU_DEP_1) | instskip(SKIP_3) | instid1(VALU_DEP_1)
	v_lshl_add_u64 v[8:9], v[4:5], 2, s[2:3]
	global_load_b64 v[10:11], v[8:9], off
	s_wait_xcnt 0x0
	v_and_b32_e32 v8, 63, v0
	v_subrev_nc_u32_e32 v0, s8, v8
	s_wait_loadcnt 0x0
	s_delay_alu instid0(VALU_DEP_1) | instskip(SKIP_2) | instid1(VALU_DEP_1)
	v_add_nc_u32_e32 v10, v10, v0
	v_mov_b64_e32 v[0:1], 0
	v_subrev_nc_u32_e32 v9, s8, v11
	v_cmpx_lt_i32_e64 v10, v9
	s_cbranch_execz .LBB29_10
; %bb.7:
	s_clause 0x1
	s_load_b128 s[4:7], s[0:1], 0x38
	s_load_b64 s[2:3], s[0:1], 0x48
	v_mov_b64_e32 v[0:1], 0
	s_mov_b32 s10, 0
.LBB29_8:                               ; =>This Inner Loop Header: Depth=1
	s_wait_kmcnt 0x0
	s_clause 0x1
	global_load_b32 v11, v10, s[4:5] scale_offset
	global_load_b64 v[12:13], v10, s[6:7] scale_offset
	s_wait_xcnt 0x0
	v_add_nc_u32_e32 v10, 64, v10
	s_delay_alu instid0(VALU_DEP_1)
	v_cmp_ge_i32_e32 vcc_lo, v10, v9
	s_or_b32 s10, vcc_lo, s10
	s_wait_loadcnt 0x1
	v_subrev_nc_u32_e32 v11, s8, v11
	s_wait_loadcnt 0x0
	v_mul_f64_e32 v[12:13], v[6:7], v[12:13]
	global_load_b64 v[14:15], v11, s[2:3] scale_offset
	s_wait_loadcnt 0x0
	v_fmac_f64_e32 v[0:1], v[12:13], v[14:15]
	s_and_not1_b32 exec_lo, exec_lo, s10
	s_cbranch_execnz .LBB29_8
; %bb.9:
	s_or_b32 exec_lo, exec_lo, s10
.LBB29_10:
	s_delay_alu instid0(SALU_CYCLE_1) | instskip(SKIP_2) | instid1(VALU_DEP_1)
	s_or_b32 exec_lo, exec_lo, s9
	v_mbcnt_lo_u32_b32 v9, -1, 0
	s_load_b64 s[0:1], s[0:1], 0x58
	v_or_b32_e32 v6, 32, v9
	s_delay_alu instid0(VALU_DEP_1) | instskip(SKIP_1) | instid1(VALU_DEP_1)
	v_cmp_gt_i32_e32 vcc_lo, 32, v6
	v_cndmask_b32_e32 v6, v9, v6, vcc_lo
	v_lshlrev_b32_e32 v7, 2, v6
	ds_bpermute_b32 v6, v7, v0
	ds_bpermute_b32 v7, v7, v1
	s_wait_dscnt 0x0
	v_dual_add_f64 v[0:1], v[0:1], v[6:7] :: v_dual_bitop2_b32 v6, 16, v9 bitop3:0x14
	s_delay_alu instid0(VALU_DEP_1) | instskip(SKIP_1) | instid1(VALU_DEP_1)
	v_cmp_gt_i32_e32 vcc_lo, 32, v6
	v_cndmask_b32_e32 v6, v9, v6, vcc_lo
	v_lshlrev_b32_e32 v7, 2, v6
	ds_bpermute_b32 v6, v7, v0
	ds_bpermute_b32 v7, v7, v1
	s_wait_dscnt 0x0
	v_dual_add_f64 v[0:1], v[0:1], v[6:7] :: v_dual_bitop2_b32 v6, 8, v9 bitop3:0x14
	;; [unrolled: 8-line block ×5, first 2 shown]
	s_delay_alu instid0(VALU_DEP_1) | instskip(SKIP_2) | instid1(VALU_DEP_2)
	v_cmp_gt_i32_e32 vcc_lo, 32, v6
	v_cndmask_b32_e32 v6, v9, v6, vcc_lo
	v_cmp_eq_u32_e32 vcc_lo, 63, v8
	v_lshlrev_b32_e32 v7, 2, v6
	ds_bpermute_b32 v6, v7, v0
	ds_bpermute_b32 v7, v7, v1
	s_and_b32 exec_lo, exec_lo, vcc_lo
	s_cbranch_execz .LBB29_14
; %bb.11:
	s_wait_dscnt 0x0
	v_add_f64_e32 v[0:1], v[0:1], v[6:7]
	s_wait_kmcnt 0x0
	v_lshl_add_u64 v[4:5], v[4:5], 3, s[0:1]
	s_mov_b32 s0, exec_lo
	v_cmpx_neq_f64_e32 0, v[2:3]
	s_cbranch_execz .LBB29_13
; %bb.12:
	global_load_b64 v[6:7], v[4:5], off
	s_wait_loadcnt 0x0
	v_fmac_f64_e32 v[0:1], v[2:3], v[6:7]
.LBB29_13:
	s_or_b32 exec_lo, exec_lo, s0
	global_store_b64 v[4:5], v[0:1], off
.LBB29_14:
	s_endpgm
	.section	.rodata,"a",@progbits
	.p2align	6, 0x0
	.amdhsa_kernel _ZN9rocsparseL41csrmvn_lrb_medium_rows_warp_reduce_kernelILj256ELj64EiiddddEEvbT1_lPT2_S3_jNS_24const_host_device_scalarIT6_EEPKS1_PKS2_PKT3_PKT4_S6_PT5_21rocsparse_index_base_b
		.amdhsa_group_segment_fixed_size 0
		.amdhsa_private_segment_fixed_size 0
		.amdhsa_kernarg_size 104
		.amdhsa_user_sgpr_count 2
		.amdhsa_user_sgpr_dispatch_ptr 0
		.amdhsa_user_sgpr_queue_ptr 0
		.amdhsa_user_sgpr_kernarg_segment_ptr 1
		.amdhsa_user_sgpr_dispatch_id 0
		.amdhsa_user_sgpr_kernarg_preload_length 0
		.amdhsa_user_sgpr_kernarg_preload_offset 0
		.amdhsa_user_sgpr_private_segment_size 0
		.amdhsa_wavefront_size32 1
		.amdhsa_uses_dynamic_stack 0
		.amdhsa_enable_private_segment 0
		.amdhsa_system_sgpr_workgroup_id_x 1
		.amdhsa_system_sgpr_workgroup_id_y 0
		.amdhsa_system_sgpr_workgroup_id_z 0
		.amdhsa_system_sgpr_workgroup_info 0
		.amdhsa_system_vgpr_workitem_id 0
		.amdhsa_next_free_vgpr 16
		.amdhsa_next_free_sgpr 11
		.amdhsa_named_barrier_count 0
		.amdhsa_reserve_vcc 1
		.amdhsa_float_round_mode_32 0
		.amdhsa_float_round_mode_16_64 0
		.amdhsa_float_denorm_mode_32 3
		.amdhsa_float_denorm_mode_16_64 3
		.amdhsa_fp16_overflow 0
		.amdhsa_memory_ordered 1
		.amdhsa_forward_progress 1
		.amdhsa_inst_pref_size 7
		.amdhsa_round_robin_scheduling 0
		.amdhsa_exception_fp_ieee_invalid_op 0
		.amdhsa_exception_fp_denorm_src 0
		.amdhsa_exception_fp_ieee_div_zero 0
		.amdhsa_exception_fp_ieee_overflow 0
		.amdhsa_exception_fp_ieee_underflow 0
		.amdhsa_exception_fp_ieee_inexact 0
		.amdhsa_exception_int_div_zero 0
	.end_amdhsa_kernel
	.section	.text._ZN9rocsparseL41csrmvn_lrb_medium_rows_warp_reduce_kernelILj256ELj64EiiddddEEvbT1_lPT2_S3_jNS_24const_host_device_scalarIT6_EEPKS1_PKS2_PKT3_PKT4_S6_PT5_21rocsparse_index_base_b,"axG",@progbits,_ZN9rocsparseL41csrmvn_lrb_medium_rows_warp_reduce_kernelILj256ELj64EiiddddEEvbT1_lPT2_S3_jNS_24const_host_device_scalarIT6_EEPKS1_PKS2_PKT3_PKT4_S6_PT5_21rocsparse_index_base_b,comdat
.Lfunc_end29:
	.size	_ZN9rocsparseL41csrmvn_lrb_medium_rows_warp_reduce_kernelILj256ELj64EiiddddEEvbT1_lPT2_S3_jNS_24const_host_device_scalarIT6_EEPKS1_PKS2_PKT3_PKT4_S6_PT5_21rocsparse_index_base_b, .Lfunc_end29-_ZN9rocsparseL41csrmvn_lrb_medium_rows_warp_reduce_kernelILj256ELj64EiiddddEEvbT1_lPT2_S3_jNS_24const_host_device_scalarIT6_EEPKS1_PKS2_PKT3_PKT4_S6_PT5_21rocsparse_index_base_b
                                        ; -- End function
	.set _ZN9rocsparseL41csrmvn_lrb_medium_rows_warp_reduce_kernelILj256ELj64EiiddddEEvbT1_lPT2_S3_jNS_24const_host_device_scalarIT6_EEPKS1_PKS2_PKT3_PKT4_S6_PT5_21rocsparse_index_base_b.num_vgpr, 16
	.set _ZN9rocsparseL41csrmvn_lrb_medium_rows_warp_reduce_kernelILj256ELj64EiiddddEEvbT1_lPT2_S3_jNS_24const_host_device_scalarIT6_EEPKS1_PKS2_PKT3_PKT4_S6_PT5_21rocsparse_index_base_b.num_agpr, 0
	.set _ZN9rocsparseL41csrmvn_lrb_medium_rows_warp_reduce_kernelILj256ELj64EiiddddEEvbT1_lPT2_S3_jNS_24const_host_device_scalarIT6_EEPKS1_PKS2_PKT3_PKT4_S6_PT5_21rocsparse_index_base_b.numbered_sgpr, 11
	.set _ZN9rocsparseL41csrmvn_lrb_medium_rows_warp_reduce_kernelILj256ELj64EiiddddEEvbT1_lPT2_S3_jNS_24const_host_device_scalarIT6_EEPKS1_PKS2_PKT3_PKT4_S6_PT5_21rocsparse_index_base_b.num_named_barrier, 0
	.set _ZN9rocsparseL41csrmvn_lrb_medium_rows_warp_reduce_kernelILj256ELj64EiiddddEEvbT1_lPT2_S3_jNS_24const_host_device_scalarIT6_EEPKS1_PKS2_PKT3_PKT4_S6_PT5_21rocsparse_index_base_b.private_seg_size, 0
	.set _ZN9rocsparseL41csrmvn_lrb_medium_rows_warp_reduce_kernelILj256ELj64EiiddddEEvbT1_lPT2_S3_jNS_24const_host_device_scalarIT6_EEPKS1_PKS2_PKT3_PKT4_S6_PT5_21rocsparse_index_base_b.uses_vcc, 1
	.set _ZN9rocsparseL41csrmvn_lrb_medium_rows_warp_reduce_kernelILj256ELj64EiiddddEEvbT1_lPT2_S3_jNS_24const_host_device_scalarIT6_EEPKS1_PKS2_PKT3_PKT4_S6_PT5_21rocsparse_index_base_b.uses_flat_scratch, 0
	.set _ZN9rocsparseL41csrmvn_lrb_medium_rows_warp_reduce_kernelILj256ELj64EiiddddEEvbT1_lPT2_S3_jNS_24const_host_device_scalarIT6_EEPKS1_PKS2_PKT3_PKT4_S6_PT5_21rocsparse_index_base_b.has_dyn_sized_stack, 0
	.set _ZN9rocsparseL41csrmvn_lrb_medium_rows_warp_reduce_kernelILj256ELj64EiiddddEEvbT1_lPT2_S3_jNS_24const_host_device_scalarIT6_EEPKS1_PKS2_PKT3_PKT4_S6_PT5_21rocsparse_index_base_b.has_recursion, 0
	.set _ZN9rocsparseL41csrmvn_lrb_medium_rows_warp_reduce_kernelILj256ELj64EiiddddEEvbT1_lPT2_S3_jNS_24const_host_device_scalarIT6_EEPKS1_PKS2_PKT3_PKT4_S6_PT5_21rocsparse_index_base_b.has_indirect_call, 0
	.section	.AMDGPU.csdata,"",@progbits
; Kernel info:
; codeLenInByte = 880
; TotalNumSgprs: 13
; NumVgprs: 16
; ScratchSize: 0
; MemoryBound: 0
; FloatMode: 240
; IeeeMode: 1
; LDSByteSize: 0 bytes/workgroup (compile time only)
; SGPRBlocks: 0
; VGPRBlocks: 0
; NumSGPRsForWavesPerEU: 13
; NumVGPRsForWavesPerEU: 16
; NamedBarCnt: 0
; Occupancy: 16
; WaveLimiterHint : 1
; COMPUTE_PGM_RSRC2:SCRATCH_EN: 0
; COMPUTE_PGM_RSRC2:USER_SGPR: 2
; COMPUTE_PGM_RSRC2:TRAP_HANDLER: 0
; COMPUTE_PGM_RSRC2:TGID_X_EN: 1
; COMPUTE_PGM_RSRC2:TGID_Y_EN: 0
; COMPUTE_PGM_RSRC2:TGID_Z_EN: 0
; COMPUTE_PGM_RSRC2:TIDIG_COMP_CNT: 0
	.section	.text._ZN9rocsparseL29csrmvn_lrb_medium_rows_kernelILj256EiiddddEEvbT0_PT1_S3_jNS_24const_host_device_scalarIT5_EEPKS1_PKS2_PKT2_PKT3_S6_PT4_21rocsparse_index_base_b,"axG",@progbits,_ZN9rocsparseL29csrmvn_lrb_medium_rows_kernelILj256EiiddddEEvbT0_PT1_S3_jNS_24const_host_device_scalarIT5_EEPKS1_PKS2_PKT2_PKT3_S6_PT4_21rocsparse_index_base_b,comdat
	.globl	_ZN9rocsparseL29csrmvn_lrb_medium_rows_kernelILj256EiiddddEEvbT0_PT1_S3_jNS_24const_host_device_scalarIT5_EEPKS1_PKS2_PKT2_PKT3_S6_PT4_21rocsparse_index_base_b ; -- Begin function _ZN9rocsparseL29csrmvn_lrb_medium_rows_kernelILj256EiiddddEEvbT0_PT1_S3_jNS_24const_host_device_scalarIT5_EEPKS1_PKS2_PKT2_PKT3_S6_PT4_21rocsparse_index_base_b
	.p2align	8
	.type	_ZN9rocsparseL29csrmvn_lrb_medium_rows_kernelILj256EiiddddEEvbT0_PT1_S3_jNS_24const_host_device_scalarIT5_EEPKS1_PKS2_PKT2_PKT3_S6_PT4_21rocsparse_index_base_b,@function
_ZN9rocsparseL29csrmvn_lrb_medium_rows_kernelILj256EiiddddEEvbT0_PT1_S3_jNS_24const_host_device_scalarIT5_EEPKS1_PKS2_PKT2_PKT3_S6_PT4_21rocsparse_index_base_b: ; @_ZN9rocsparseL29csrmvn_lrb_medium_rows_kernelILj256EiiddddEEvbT0_PT1_S3_jNS_24const_host_device_scalarIT5_EEPKS1_PKS2_PKT2_PKT3_S6_PT4_21rocsparse_index_base_b
; %bb.0:
	s_clause 0x2
	s_load_b64 s[8:9], s[0:1], 0x58
	s_load_b64 s[4:5], s[0:1], 0x20
	;; [unrolled: 1-line block ×3, first 2 shown]
	s_wait_kmcnt 0x0
	s_bitcmp1_b32 s9, 0
	v_mov_b64_e32 v[4:5], s[4:5]
	s_cselect_b32 s6, -1, 0
	s_delay_alu instid0(SALU_CYCLE_1)
	s_and_b32 vcc_lo, exec_lo, s6
	s_xor_b32 s6, s6, -1
	s_cbranch_vccnz .LBB30_2
; %bb.1:
	v_mov_b32_e32 v1, 0
	flat_load_b64 v[4:5], v1, s[4:5]
.LBB30_2:
	v_mov_b64_e32 v[2:3], s[2:3]
	s_and_not1_b32 vcc_lo, exec_lo, s6
	s_cbranch_vccnz .LBB30_4
; %bb.3:
	s_wait_xcnt 0x0
	v_mov_b32_e32 v1, 0
	flat_load_b64 v[2:3], v1, s[2:3]
.LBB30_4:
	s_wait_loadcnt_dscnt 0x0
	v_cmp_neq_f64_e32 vcc_lo, 0, v[4:5]
	s_delay_alu instid0(VALU_DEP_2) | instskip(SKIP_1) | instid1(SALU_CYCLE_1)
	v_cmp_neq_f64_e64 s2, 1.0, v[2:3]
	s_or_b32 s2, vcc_lo, s2
	s_and_saveexec_b32 s3, s2
	s_cbranch_execz .LBB30_29
; %bb.5:
	s_clause 0x1
	s_load_b128 s[4:7], s[0:1], 0x8
	s_load_b32 s2, s[0:1], 0x18
	s_bfe_u32 s3, ttmp6, 0x4000c
	v_subrev_nc_u32_e32 v1, s8, v0
	s_add_co_i32 s3, s3, 1
	v_mov_b64_e32 v[6:7], 0
	s_mul_i32 s3, ttmp9, s3
	s_mov_b32 s13, 0
	s_mov_b32 s12, exec_lo
	s_wait_kmcnt 0x0
	s_load_b32 s2, s[6:7], s2 offset:0x0 scale_offset
	s_wait_xcnt 0x0
	s_and_b32 s6, ttmp6, 15
	s_getreg_b32 s7, hwreg(HW_REG_IB_STS2, 6, 4)
	s_add_co_i32 s6, s6, s3
	s_cmp_eq_u32 s7, 0
	s_cselect_b32 s3, ttmp9, s6
	s_wait_kmcnt 0x0
	s_add_co_i32 s2, s2, s3
	s_delay_alu instid0(SALU_CYCLE_1) | instskip(NEXT) | instid1(SALU_CYCLE_1)
	s_ashr_i32 s3, s2, 31
	s_lshl_b64 s[2:3], s[2:3], 2
	s_delay_alu instid0(SALU_CYCLE_1) | instskip(SKIP_4) | instid1(SALU_CYCLE_1)
	s_add_nc_u64 s[4:5], s[4:5], s[2:3]
	s_load_b32 s2, s[4:5], 0x0
	s_load_b64 s[6:7], s[0:1], 0x28
	s_wait_kmcnt 0x0
	s_ashr_i32 s3, s2, 31
	s_lshl_b64 s[4:5], s[2:3], 2
	s_delay_alu instid0(SALU_CYCLE_1)
	s_add_nc_u64 s[4:5], s[6:7], s[4:5]
	s_load_b64 s[6:7], s[4:5], 0x0
	s_wait_kmcnt 0x0
	v_add_nc_u32_e32 v1, s6, v1
	s_sub_co_i32 s9, s7, s8
	s_delay_alu instid0(VALU_DEP_1) | instid1(SALU_CYCLE_1)
	v_cmpx_gt_i32_e64 s9, v1
	s_cbranch_execz .LBB30_9
; %bb.6:
	s_clause 0x1
	s_load_b128 s[4:7], s[0:1], 0x30
	s_load_b64 s[10:11], s[0:1], 0x40
	v_mov_b64_e32 v[6:7], 0
.LBB30_7:                               ; =>This Inner Loop Header: Depth=1
	s_wait_kmcnt 0x0
	s_clause 0x1
	global_load_b32 v10, v1, s[4:5] scale_offset
	global_load_b64 v[8:9], v1, s[6:7] scale_offset
	s_wait_xcnt 0x0
	v_add_nc_u32_e32 v1, 0x100, v1
	s_delay_alu instid0(VALU_DEP_1)
	v_cmp_le_i32_e32 vcc_lo, s9, v1
	s_or_b32 s13, vcc_lo, s13
	s_wait_loadcnt 0x1
	v_subrev_nc_u32_e32 v10, s8, v10
	s_wait_loadcnt 0x0
	v_mul_f64_e32 v[8:9], v[4:5], v[8:9]
	global_load_b64 v[10:11], v10, s[10:11] scale_offset
	s_wait_loadcnt 0x0
	v_fmac_f64_e32 v[6:7], v[8:9], v[10:11]
	s_and_not1_b32 exec_lo, exec_lo, s13
	s_cbranch_execnz .LBB30_7
; %bb.8:
	s_or_b32 exec_lo, exec_lo, s13
.LBB30_9:
	s_delay_alu instid0(SALU_CYCLE_1)
	s_or_b32 exec_lo, exec_lo, s12
	s_load_b64 s[0:1], s[0:1], 0x50
	v_lshlrev_b32_e32 v1, 3, v0
	s_mov_b32 s4, exec_lo
	ds_store_b64 v1, v[6:7]
	s_wait_dscnt 0x0
	s_barrier_signal -1
	s_barrier_wait -1
	v_cmpx_gt_u32_e32 0x80, v0
	s_cbranch_execz .LBB30_11
; %bb.10:
	ds_load_2addr_stride64_b64 v[4:7], v1 offset1:2
	s_wait_dscnt 0x0
	v_add_f64_e32 v[4:5], v[4:5], v[6:7]
	ds_store_b64 v1, v[4:5]
.LBB30_11:
	s_or_b32 exec_lo, exec_lo, s4
	s_delay_alu instid0(SALU_CYCLE_1)
	s_mov_b32 s4, exec_lo
	s_wait_dscnt 0x0
	s_barrier_signal -1
	s_barrier_wait -1
	v_cmpx_gt_u32_e32 64, v0
	s_cbranch_execz .LBB30_13
; %bb.12:
	ds_load_2addr_stride64_b64 v[4:7], v1 offset1:1
	s_wait_dscnt 0x0
	v_add_f64_e32 v[4:5], v[4:5], v[6:7]
	ds_store_b64 v1, v[4:5]
.LBB30_13:
	s_or_b32 exec_lo, exec_lo, s4
	s_delay_alu instid0(SALU_CYCLE_1)
	s_mov_b32 s4, exec_lo
	s_wait_dscnt 0x0
	s_barrier_signal -1
	s_barrier_wait -1
	v_cmpx_gt_u32_e32 32, v0
	s_cbranch_execz .LBB30_15
; %bb.14:
	ds_load_2addr_b64 v[4:7], v1 offset1:32
	s_wait_dscnt 0x0
	v_add_f64_e32 v[4:5], v[4:5], v[6:7]
	ds_store_b64 v1, v[4:5]
.LBB30_15:
	s_or_b32 exec_lo, exec_lo, s4
	s_delay_alu instid0(SALU_CYCLE_1)
	s_mov_b32 s4, exec_lo
	s_wait_dscnt 0x0
	s_barrier_signal -1
	s_barrier_wait -1
	v_cmpx_gt_u32_e32 16, v0
	s_cbranch_execz .LBB30_17
; %bb.16:
	ds_load_2addr_b64 v[4:7], v1 offset1:16
	s_wait_dscnt 0x0
	v_add_f64_e32 v[4:5], v[4:5], v[6:7]
	ds_store_b64 v1, v[4:5]
.LBB30_17:
	;; [unrolled: 14-line block ×5, first 2 shown]
	s_or_b32 exec_lo, exec_lo, s4
	v_cmp_eq_u32_e32 vcc_lo, 0, v0
	s_wait_dscnt 0x0
	s_barrier_signal -1
	s_barrier_wait -1
	s_and_saveexec_b32 s4, vcc_lo
	s_cbranch_execz .LBB30_25
; %bb.24:
	v_mov_b32_e32 v8, 0
	ds_load_b128 v[4:7], v8
	s_wait_dscnt 0x0
	v_add_f64_e32 v[0:1], v[4:5], v[6:7]
	ds_store_b64 v8, v[0:1]
.LBB30_25:
	s_or_b32 exec_lo, exec_lo, s4
	s_wait_dscnt 0x0
	s_barrier_signal -1
	s_barrier_wait -1
	s_and_b32 exec_lo, exec_lo, vcc_lo
	s_cbranch_execz .LBB30_29
; %bb.26:
	v_mov_b32_e32 v4, 0
	s_mov_b32 s4, exec_lo
	ds_load_b64 v[0:1], v4
	v_cmpx_neq_f64_e32 0, v[2:3]
	s_cbranch_execz .LBB30_28
; %bb.27:
	s_lshl_b64 s[6:7], s[2:3], 3
	s_wait_kmcnt 0x0
	s_add_nc_u64 s[6:7], s[0:1], s[6:7]
	s_load_b64 s[6:7], s[6:7], 0x0
	s_wait_dscnt 0x0
	s_wait_kmcnt 0x0
	v_fmac_f64_e32 v[0:1], s[6:7], v[2:3]
.LBB30_28:
	s_or_b32 exec_lo, exec_lo, s4
	s_lshl_b64 s[2:3], s[2:3], 3
	s_wait_kmcnt 0x0
	s_add_nc_u64 s[0:1], s[0:1], s[2:3]
	s_wait_dscnt 0x0
	global_store_b64 v4, v[0:1], s[0:1]
.LBB30_29:
	s_endpgm
	.section	.rodata,"a",@progbits
	.p2align	6, 0x0
	.amdhsa_kernel _ZN9rocsparseL29csrmvn_lrb_medium_rows_kernelILj256EiiddddEEvbT0_PT1_S3_jNS_24const_host_device_scalarIT5_EEPKS1_PKS2_PKT2_PKT3_S6_PT4_21rocsparse_index_base_b
		.amdhsa_group_segment_fixed_size 2048
		.amdhsa_private_segment_fixed_size 0
		.amdhsa_kernarg_size 96
		.amdhsa_user_sgpr_count 2
		.amdhsa_user_sgpr_dispatch_ptr 0
		.amdhsa_user_sgpr_queue_ptr 0
		.amdhsa_user_sgpr_kernarg_segment_ptr 1
		.amdhsa_user_sgpr_dispatch_id 0
		.amdhsa_user_sgpr_kernarg_preload_length 0
		.amdhsa_user_sgpr_kernarg_preload_offset 0
		.amdhsa_user_sgpr_private_segment_size 0
		.amdhsa_wavefront_size32 1
		.amdhsa_uses_dynamic_stack 0
		.amdhsa_enable_private_segment 0
		.amdhsa_system_sgpr_workgroup_id_x 1
		.amdhsa_system_sgpr_workgroup_id_y 0
		.amdhsa_system_sgpr_workgroup_id_z 0
		.amdhsa_system_sgpr_workgroup_info 0
		.amdhsa_system_vgpr_workitem_id 0
		.amdhsa_next_free_vgpr 12
		.amdhsa_next_free_sgpr 14
		.amdhsa_named_barrier_count 0
		.amdhsa_reserve_vcc 1
		.amdhsa_float_round_mode_32 0
		.amdhsa_float_round_mode_16_64 0
		.amdhsa_float_denorm_mode_32 3
		.amdhsa_float_denorm_mode_16_64 3
		.amdhsa_fp16_overflow 0
		.amdhsa_memory_ordered 1
		.amdhsa_forward_progress 1
		.amdhsa_inst_pref_size 9
		.amdhsa_round_robin_scheduling 0
		.amdhsa_exception_fp_ieee_invalid_op 0
		.amdhsa_exception_fp_denorm_src 0
		.amdhsa_exception_fp_ieee_div_zero 0
		.amdhsa_exception_fp_ieee_overflow 0
		.amdhsa_exception_fp_ieee_underflow 0
		.amdhsa_exception_fp_ieee_inexact 0
		.amdhsa_exception_int_div_zero 0
	.end_amdhsa_kernel
	.section	.text._ZN9rocsparseL29csrmvn_lrb_medium_rows_kernelILj256EiiddddEEvbT0_PT1_S3_jNS_24const_host_device_scalarIT5_EEPKS1_PKS2_PKT2_PKT3_S6_PT4_21rocsparse_index_base_b,"axG",@progbits,_ZN9rocsparseL29csrmvn_lrb_medium_rows_kernelILj256EiiddddEEvbT0_PT1_S3_jNS_24const_host_device_scalarIT5_EEPKS1_PKS2_PKT2_PKT3_S6_PT4_21rocsparse_index_base_b,comdat
.Lfunc_end30:
	.size	_ZN9rocsparseL29csrmvn_lrb_medium_rows_kernelILj256EiiddddEEvbT0_PT1_S3_jNS_24const_host_device_scalarIT5_EEPKS1_PKS2_PKT2_PKT3_S6_PT4_21rocsparse_index_base_b, .Lfunc_end30-_ZN9rocsparseL29csrmvn_lrb_medium_rows_kernelILj256EiiddddEEvbT0_PT1_S3_jNS_24const_host_device_scalarIT5_EEPKS1_PKS2_PKT2_PKT3_S6_PT4_21rocsparse_index_base_b
                                        ; -- End function
	.set _ZN9rocsparseL29csrmvn_lrb_medium_rows_kernelILj256EiiddddEEvbT0_PT1_S3_jNS_24const_host_device_scalarIT5_EEPKS1_PKS2_PKT2_PKT3_S6_PT4_21rocsparse_index_base_b.num_vgpr, 12
	.set _ZN9rocsparseL29csrmvn_lrb_medium_rows_kernelILj256EiiddddEEvbT0_PT1_S3_jNS_24const_host_device_scalarIT5_EEPKS1_PKS2_PKT2_PKT3_S6_PT4_21rocsparse_index_base_b.num_agpr, 0
	.set _ZN9rocsparseL29csrmvn_lrb_medium_rows_kernelILj256EiiddddEEvbT0_PT1_S3_jNS_24const_host_device_scalarIT5_EEPKS1_PKS2_PKT2_PKT3_S6_PT4_21rocsparse_index_base_b.numbered_sgpr, 14
	.set _ZN9rocsparseL29csrmvn_lrb_medium_rows_kernelILj256EiiddddEEvbT0_PT1_S3_jNS_24const_host_device_scalarIT5_EEPKS1_PKS2_PKT2_PKT3_S6_PT4_21rocsparse_index_base_b.num_named_barrier, 0
	.set _ZN9rocsparseL29csrmvn_lrb_medium_rows_kernelILj256EiiddddEEvbT0_PT1_S3_jNS_24const_host_device_scalarIT5_EEPKS1_PKS2_PKT2_PKT3_S6_PT4_21rocsparse_index_base_b.private_seg_size, 0
	.set _ZN9rocsparseL29csrmvn_lrb_medium_rows_kernelILj256EiiddddEEvbT0_PT1_S3_jNS_24const_host_device_scalarIT5_EEPKS1_PKS2_PKT2_PKT3_S6_PT4_21rocsparse_index_base_b.uses_vcc, 1
	.set _ZN9rocsparseL29csrmvn_lrb_medium_rows_kernelILj256EiiddddEEvbT0_PT1_S3_jNS_24const_host_device_scalarIT5_EEPKS1_PKS2_PKT2_PKT3_S6_PT4_21rocsparse_index_base_b.uses_flat_scratch, 0
	.set _ZN9rocsparseL29csrmvn_lrb_medium_rows_kernelILj256EiiddddEEvbT0_PT1_S3_jNS_24const_host_device_scalarIT5_EEPKS1_PKS2_PKT2_PKT3_S6_PT4_21rocsparse_index_base_b.has_dyn_sized_stack, 0
	.set _ZN9rocsparseL29csrmvn_lrb_medium_rows_kernelILj256EiiddddEEvbT0_PT1_S3_jNS_24const_host_device_scalarIT5_EEPKS1_PKS2_PKT2_PKT3_S6_PT4_21rocsparse_index_base_b.has_recursion, 0
	.set _ZN9rocsparseL29csrmvn_lrb_medium_rows_kernelILj256EiiddddEEvbT0_PT1_S3_jNS_24const_host_device_scalarIT5_EEPKS1_PKS2_PKT2_PKT3_S6_PT4_21rocsparse_index_base_b.has_indirect_call, 0
	.section	.AMDGPU.csdata,"",@progbits
; Kernel info:
; codeLenInByte = 1044
; TotalNumSgprs: 16
; NumVgprs: 12
; ScratchSize: 0
; MemoryBound: 0
; FloatMode: 240
; IeeeMode: 1
; LDSByteSize: 2048 bytes/workgroup (compile time only)
; SGPRBlocks: 0
; VGPRBlocks: 0
; NumSGPRsForWavesPerEU: 16
; NumVGPRsForWavesPerEU: 12
; NamedBarCnt: 0
; Occupancy: 16
; WaveLimiterHint : 1
; COMPUTE_PGM_RSRC2:SCRATCH_EN: 0
; COMPUTE_PGM_RSRC2:USER_SGPR: 2
; COMPUTE_PGM_RSRC2:TRAP_HANDLER: 0
; COMPUTE_PGM_RSRC2:TGID_X_EN: 1
; COMPUTE_PGM_RSRC2:TGID_Y_EN: 0
; COMPUTE_PGM_RSRC2:TGID_Z_EN: 0
; COMPUTE_PGM_RSRC2:TIDIG_COMP_CNT: 0
	.section	.text._ZN9rocsparseL27csrmvn_lrb_long_rows_kernelIiiddddEEvbT_PjPT0_S4_jNS_24const_host_device_scalarIT4_EEPKS1_PKS3_PKT1_PKT2_S7_PT3_21rocsparse_index_base_b,"axG",@progbits,_ZN9rocsparseL27csrmvn_lrb_long_rows_kernelIiiddddEEvbT_PjPT0_S4_jNS_24const_host_device_scalarIT4_EEPKS1_PKS3_PKT1_PKT2_S7_PT3_21rocsparse_index_base_b,comdat
	.globl	_ZN9rocsparseL27csrmvn_lrb_long_rows_kernelIiiddddEEvbT_PjPT0_S4_jNS_24const_host_device_scalarIT4_EEPKS1_PKS3_PKT1_PKT2_S7_PT3_21rocsparse_index_base_b ; -- Begin function _ZN9rocsparseL27csrmvn_lrb_long_rows_kernelIiiddddEEvbT_PjPT0_S4_jNS_24const_host_device_scalarIT4_EEPKS1_PKS3_PKT1_PKT2_S7_PT3_21rocsparse_index_base_b
	.p2align	8
	.type	_ZN9rocsparseL27csrmvn_lrb_long_rows_kernelIiiddddEEvbT_PjPT0_S4_jNS_24const_host_device_scalarIT4_EEPKS1_PKS3_PKT1_PKT2_S7_PT3_21rocsparse_index_base_b,@function
_ZN9rocsparseL27csrmvn_lrb_long_rows_kernelIiiddddEEvbT_PjPT0_S4_jNS_24const_host_device_scalarIT4_EEPKS1_PKS3_PKT1_PKT2_S7_PT3_21rocsparse_index_base_b: ; @_ZN9rocsparseL27csrmvn_lrb_long_rows_kernelIiiddddEEvbT_PjPT0_S4_jNS_24const_host_device_scalarIT4_EEPKS1_PKS3_PKT1_PKT2_S7_PT3_21rocsparse_index_base_b
; %bb.0:
	s_clause 0x2
	s_load_b64 s[16:17], s[0:1], 0x60
	s_load_b64 s[4:5], s[0:1], 0x28
	;; [unrolled: 1-line block ×3, first 2 shown]
	s_wait_kmcnt 0x0
	s_bitcmp1_b32 s17, 0
	v_mov_b64_e32 v[2:3], s[4:5]
	s_cselect_b32 s6, -1, 0
	s_delay_alu instid0(SALU_CYCLE_1)
	s_and_b32 vcc_lo, exec_lo, s6
	s_xor_b32 s6, s6, -1
	s_cbranch_vccnz .LBB31_2
; %bb.1:
	v_mov_b32_e32 v1, 0
	flat_load_b64 v[2:3], v1, s[4:5]
.LBB31_2:
	v_mov_b64_e32 v[4:5], s[2:3]
	s_and_not1_b32 vcc_lo, exec_lo, s6
	s_cbranch_vccnz .LBB31_4
; %bb.3:
	s_wait_xcnt 0x0
	v_mov_b32_e32 v1, 0
	flat_load_b64 v[4:5], v1, s[2:3]
.LBB31_4:
	s_wait_loadcnt_dscnt 0x0
	v_cmp_neq_f64_e32 vcc_lo, 0, v[2:3]
	s_delay_alu instid0(VALU_DEP_2) | instskip(SKIP_1) | instid1(SALU_CYCLE_1)
	v_cmp_neq_f64_e64 s2, 1.0, v[4:5]
	s_or_b32 s2, vcc_lo, s2
	s_and_saveexec_b32 s3, s2
	s_cbranch_execz .LBB31_38
; %bb.5:
	s_load_b96 s[4:6], s[0:1], 0x18
	s_bfe_u32 s8, ttmp6, 0x4000c
	s_and_b32 s7, ttmp6, 15
	s_add_co_i32 s8, s8, 1
	s_getreg_b32 s9, hwreg(HW_REG_IB_STS2, 6, 4)
	s_mul_i32 s8, ttmp9, s8
	v_mov_b64_e32 v[6:7], 0
	s_add_co_i32 s7, s7, s8
	s_wait_kmcnt 0x0
	s_lshl_b32 s2, -1, s6
	s_load_b32 s8, s[4:5], s6 offset:0x0 scale_offset
	s_not_b32 s2, s2
	s_delay_alu instid0(SALU_CYCLE_1) | instskip(NEXT) | instid1(SALU_CYCLE_1)
	s_mul_hi_u32 s2, s2, 0x2aaaaaab
	s_lshr_b32 s2, s2, 7
	s_delay_alu instid0(SALU_CYCLE_1) | instskip(SKIP_2) | instid1(SALU_CYCLE_3)
	s_add_co_i32 s20, s2, 1
	s_not_b32 s2, s2
	s_cvt_f32_u32 s3, s20
	v_rcp_iflag_f32_e32 v1, s3
	v_nop
	s_delay_alu instid0(TRANS32_DEP_1) | instskip(SKIP_1) | instid1(SALU_CYCLE_3)
	v_readfirstlane_b32 s3, v1
	s_mul_f32 s3, s3, 0x4f7ffffe
	s_cvt_u32_f32 s3, s3
	s_delay_alu instid0(SALU_CYCLE_3) | instskip(NEXT) | instid1(SALU_CYCLE_1)
	s_mul_i32 s2, s2, s3
	s_mul_hi_u32 s2, s3, s2
	s_delay_alu instid0(SALU_CYCLE_1)
	s_add_co_i32 s3, s3, s2
	s_cmp_eq_u32 s9, 0
	s_cselect_b32 s10, ttmp9, s7
	s_wait_xcnt 0x0
	s_load_b128 s[4:7], s[0:1], 0x8
	s_mul_hi_u32 s2, s10, s3
	s_delay_alu instid0(SALU_CYCLE_1) | instskip(SKIP_2) | instid1(SALU_CYCLE_1)
	s_mul_i32 s3, s2, s20
	s_add_co_i32 s9, s2, 1
	s_sub_co_i32 s3, s10, s3
	s_sub_co_i32 s11, s3, s20
	s_cmp_ge_u32 s3, s20
	s_cselect_b32 s2, s9, s2
	s_cselect_b32 s3, s11, s3
	s_add_co_i32 s9, s2, 1
	s_cmp_ge_u32 s3, s20
	s_cselect_b32 s21, s9, s2
	s_ashr_i32 s11, s10, 31
	s_wait_kmcnt 0x0
	s_add_co_i32 s2, s21, s8
	s_lshl_b64 s[14:15], s[10:11], 2
	s_ashr_i32 s3, s2, 31
	s_delay_alu instid0(SALU_CYCLE_1) | instskip(NEXT) | instid1(SALU_CYCLE_1)
	s_lshl_b64 s[2:3], s[2:3], 2
	s_add_nc_u64 s[8:9], s[6:7], s[2:3]
	s_load_b32 s2, s[8:9], 0x0
	s_clause 0x1
	s_load_b64 s[12:13], s[0:1], 0x30
	s_load_b64 s[6:7], s[0:1], 0x58
	s_wait_kmcnt 0x0
	s_ashr_i32 s3, s2, 31
	s_delay_alu instid0(SALU_CYCLE_1) | instskip(NEXT) | instid1(SALU_CYCLE_1)
	s_lshl_b64 s[8:9], s[2:3], 2
	s_add_nc_u64 s[18:19], s[12:13], s[8:9]
	s_add_nc_u64 s[12:13], s[4:5], s[14:15]
	s_load_b64 s[8:9], s[18:19], 0x0
	s_load_b32 s17, s[12:13], 0x0
	s_mul_i32 s14, s21, s20
	s_wait_xcnt 0x0
	s_mov_b32 s18, exec_lo
	s_sub_co_i32 s15, s10, s14
	s_delay_alu instid0(SALU_CYCLE_1) | instskip(NEXT) | instid1(VALU_DEP_1)
	v_or_b32_e32 v1, s15, v0
	v_cmpx_eq_u32_e32 0, v1
	s_cbranch_execz .LBB31_9
; %bb.6:
	v_add_f64_e32 v[4:5], -1.0, v[4:5]
	s_lshl_b64 s[10:11], s[2:3], 3
	s_mov_b32 s19, exec_lo
	s_add_nc_u64 s[10:11], s[6:7], s[10:11]
	v_mbcnt_lo_u32_b32 v1, s19, 0
	s_load_b64 s[10:11], s[10:11], 0x0
	s_mov_b32 s20, exec_lo
	global_wb scope:SCOPE_DEV
	s_wait_storecnt 0x0
	global_inv scope:SCOPE_DEV
	v_cmpx_eq_u32_e32 0, v1
	s_cbranch_execz .LBB31_8
; %bb.7:
	s_bcnt1_i32_b32 s19, s19
	s_delay_alu instid0(SALU_CYCLE_1) | instskip(NEXT) | instid1(SALU_CYCLE_1)
	s_and_b32 s19, s19, 1
	v_dual_mov_b32 v1, s14 :: v_dual_mov_b32 v6, s19
	s_wait_xcnt 0x0
	global_atomic_xor_b32 v1, v6, s[4:5] scale_offset scope:SCOPE_DEV
.LBB31_8:
	s_wait_xcnt 0x0
	s_or_b32 exec_lo, exec_lo, s20
	s_wait_kmcnt 0x0
	v_mul_f64_e32 v[6:7], s[10:11], v[4:5]
.LBB31_9:
	s_or_b32 exec_lo, exec_lo, s18
	s_mul_i32 s10, s15, 0x300
	s_wait_kmcnt 0x0
	s_sub_co_i32 s9, s9, s16
	s_sub_co_i32 s10, s10, s16
	s_mov_b32 s20, exec_lo
	s_add_co_i32 s8, s10, s8
	s_delay_alu instid0(SALU_CYCLE_1) | instskip(SKIP_1) | instid1(SALU_CYCLE_1)
	v_add_nc_u32_e32 v1, s8, v0
	s_addk_co_i32 s8, 0x300
	s_min_i32 s21, s8, s9
	s_delay_alu instid0(VALU_DEP_1) | instid1(SALU_CYCLE_1)
	v_cmpx_gt_i32_e64 s21, v1
	s_cbranch_execz .LBB31_13
; %bb.10:
	s_clause 0x1
	s_load_b64 s[18:19], s[0:1], 0x48
	s_load_b128 s[8:11], s[0:1], 0x38
	s_wait_xcnt 0x0
	s_mov_b32 s0, 0
.LBB31_11:                              ; =>This Inner Loop Header: Depth=1
	s_wait_kmcnt 0x0
	s_clause 0x1
	global_load_b32 v8, v1, s[8:9] scale_offset
	global_load_b64 v[4:5], v1, s[10:11] scale_offset
	s_wait_xcnt 0x0
	v_add_nc_u32_e32 v1, 0x100, v1
	s_delay_alu instid0(VALU_DEP_1)
	v_cmp_le_i32_e32 vcc_lo, s21, v1
	s_or_b32 s0, vcc_lo, s0
	s_wait_loadcnt 0x1
	v_subrev_nc_u32_e32 v8, s16, v8
	s_wait_loadcnt 0x0
	v_mul_f64_e32 v[4:5], v[2:3], v[4:5]
	global_load_b64 v[8:9], v8, s[18:19] scale_offset
	s_wait_loadcnt 0x0
	v_fmac_f64_e32 v[6:7], v[4:5], v[8:9]
	s_wait_xcnt 0x0
	s_and_not1_b32 exec_lo, exec_lo, s0
	s_cbranch_execnz .LBB31_11
; %bb.12:
	s_or_b32 exec_lo, exec_lo, s0
.LBB31_13:
	s_delay_alu instid0(SALU_CYCLE_1)
	s_or_b32 exec_lo, exec_lo, s20
	v_lshlrev_b32_e32 v1, 3, v0
	s_mov_b32 s0, exec_lo
	ds_store_b64 v1, v[6:7]
	s_wait_storecnt 0x0
	s_wait_loadcnt_dscnt 0x0
	s_barrier_signal -1
	s_barrier_wait -1
	v_cmpx_gt_u32_e32 0x80, v0
	s_cbranch_execz .LBB31_15
; %bb.14:
	ds_load_2addr_stride64_b64 v[2:5], v1 offset1:2
	s_wait_dscnt 0x0
	v_add_f64_e32 v[2:3], v[2:3], v[4:5]
	ds_store_b64 v1, v[2:3]
.LBB31_15:
	s_or_b32 exec_lo, exec_lo, s0
	s_delay_alu instid0(SALU_CYCLE_1)
	s_mov_b32 s0, exec_lo
	s_wait_dscnt 0x0
	s_barrier_signal -1
	s_barrier_wait -1
	v_cmpx_gt_u32_e32 64, v0
	s_cbranch_execz .LBB31_17
; %bb.16:
	ds_load_2addr_stride64_b64 v[2:5], v1 offset1:1
	s_wait_dscnt 0x0
	v_add_f64_e32 v[2:3], v[2:3], v[4:5]
	ds_store_b64 v1, v[2:3]
.LBB31_17:
	s_or_b32 exec_lo, exec_lo, s0
	s_delay_alu instid0(SALU_CYCLE_1)
	s_mov_b32 s0, exec_lo
	s_wait_dscnt 0x0
	s_barrier_signal -1
	s_barrier_wait -1
	v_cmpx_gt_u32_e32 32, v0
	s_cbranch_execz .LBB31_19
; %bb.18:
	ds_load_2addr_b64 v[2:5], v1 offset1:32
	s_wait_dscnt 0x0
	v_add_f64_e32 v[2:3], v[2:3], v[4:5]
	ds_store_b64 v1, v[2:3]
.LBB31_19:
	s_or_b32 exec_lo, exec_lo, s0
	s_delay_alu instid0(SALU_CYCLE_1)
	s_mov_b32 s0, exec_lo
	s_wait_dscnt 0x0
	s_barrier_signal -1
	s_barrier_wait -1
	v_cmpx_gt_u32_e32 16, v0
	s_cbranch_execz .LBB31_21
; %bb.20:
	ds_load_2addr_b64 v[2:5], v1 offset1:16
	s_wait_dscnt 0x0
	v_add_f64_e32 v[2:3], v[2:3], v[4:5]
	ds_store_b64 v1, v[2:3]
.LBB31_21:
	s_or_b32 exec_lo, exec_lo, s0
	s_delay_alu instid0(SALU_CYCLE_1)
	s_mov_b32 s0, exec_lo
	s_wait_dscnt 0x0
	s_barrier_signal -1
	s_barrier_wait -1
	v_cmpx_gt_u32_e32 8, v0
	s_cbranch_execz .LBB31_23
; %bb.22:
	ds_load_2addr_b64 v[2:5], v1 offset1:8
	s_wait_dscnt 0x0
	v_add_f64_e32 v[2:3], v[2:3], v[4:5]
	ds_store_b64 v1, v[2:3]
.LBB31_23:
	s_or_b32 exec_lo, exec_lo, s0
	s_delay_alu instid0(SALU_CYCLE_1)
	s_mov_b32 s0, exec_lo
	s_wait_dscnt 0x0
	s_barrier_signal -1
	s_barrier_wait -1
	v_cmpx_gt_u32_e32 4, v0
	s_cbranch_execz .LBB31_25
; %bb.24:
	ds_load_2addr_b64 v[2:5], v1 offset1:4
	s_wait_dscnt 0x0
	v_add_f64_e32 v[2:3], v[2:3], v[4:5]
	ds_store_b64 v1, v[2:3]
.LBB31_25:
	s_or_b32 exec_lo, exec_lo, s0
	s_delay_alu instid0(SALU_CYCLE_1)
	s_mov_b32 s0, exec_lo
	s_wait_dscnt 0x0
	s_barrier_signal -1
	s_barrier_wait -1
	v_cmpx_gt_u32_e32 2, v0
	s_cbranch_execz .LBB31_27
; %bb.26:
	ds_load_2addr_b64 v[2:5], v1 offset1:2
	s_wait_dscnt 0x0
	v_add_f64_e32 v[2:3], v[2:3], v[4:5]
	ds_store_b64 v1, v[2:3]
.LBB31_27:
	s_or_b32 exec_lo, exec_lo, s0
	v_cmp_eq_u32_e32 vcc_lo, 0, v0
	s_wait_dscnt 0x0
	s_barrier_signal -1
	s_barrier_wait -1
	s_and_saveexec_b32 s0, vcc_lo
	s_cbranch_execz .LBB31_29
; %bb.28:
	v_mov_b32_e32 v4, 0
	ds_load_b128 v[0:3], v4
	s_wait_dscnt 0x0
	v_add_f64_e32 v[0:1], v[0:1], v[2:3]
	ds_store_b64 v4, v[0:1]
.LBB31_29:
	s_or_b32 exec_lo, exec_lo, s0
	s_wait_dscnt 0x0
	s_barrier_signal -1
	s_barrier_wait -1
	s_and_b32 exec_lo, exec_lo, vcc_lo
	s_cbranch_execz .LBB31_38
; %bb.30:
	s_cmp_eq_u32 s15, 0
	s_cbranch_scc1 .LBB31_36
; %bb.31:
	s_ashr_i32 s15, s14, 31
	v_mov_b32_e32 v0, 0
	s_lshl_b64 s[0:1], s[14:15], 2
	s_delay_alu instid0(SALU_CYCLE_1)
	s_add_nc_u64 s[0:1], s[4:5], s[0:1]
	s_branch .LBB31_33
.LBB31_32:                              ;   in Loop: Header=BB31_33 Depth=1
	s_wait_xcnt 0x0
	s_or_b32 exec_lo, exec_lo, s4
	s_wait_loadcnt 0x0
	v_readfirstlane_b32 s4, v1
	s_cmp_eq_u32 s4, s17
	s_cbranch_scc0 .LBB31_35
.LBB31_33:                              ; =>This Inner Loop Header: Depth=1
	v_mbcnt_lo_u32_b32 v1, exec_lo, 0
	s_delay_alu instid0(VALU_DEP_1)
	v_cmp_eq_u32_e32 vcc_lo, 0, v1
                                        ; implicit-def: $vgpr1
	s_and_saveexec_b32 s4, vcc_lo
	s_cbranch_execz .LBB31_32
; %bb.34:                               ;   in Loop: Header=BB31_33 Depth=1
	global_load_b32 v1, v0, s[0:1] scope:SCOPE_DEV
	s_branch .LBB31_32
.LBB31_35:
	v_mov_b32_e32 v0, 0
	global_load_u16 v1, v0, s[12:13]
	s_wait_loadcnt 0x0
	v_xor_b32_e32 v1, 1, v1
	global_store_b16 v0, v1, s[12:13]
.LBB31_36:
	s_mov_b32 s0, exec_lo
	s_wait_xcnt 0x0
	v_mbcnt_lo_u32_b32 v0, s0, 0
	s_delay_alu instid0(VALU_DEP_1) | instskip(SKIP_1) | instid1(SALU_CYCLE_1)
	v_cmp_eq_u32_e32 vcc_lo, 0, v0
	s_and_b32 s1, exec_lo, vcc_lo
	s_mov_b32 exec_lo, s1
	s_cbranch_execz .LBB31_38
; %bb.37:
	s_bcnt1_i32_b32 s0, s0
	s_delay_alu instid0(SALU_CYCLE_1) | instskip(SKIP_2) | instid1(SALU_CYCLE_1)
	v_cvt_f64_u32_e32 v[0:1], s0
	v_mov_b32_e32 v4, 0
	s_lshl_b64 s[0:1], s[2:3], 3
	s_add_nc_u64 s[0:1], s[6:7], s[0:1]
	ds_load_b64 v[2:3], v4
	s_wait_dscnt 0x0
	v_mul_f64_e32 v[0:1], v[2:3], v[0:1]
	global_atomic_add_f64 v4, v[0:1], s[0:1] scope:SCOPE_DEV
.LBB31_38:
	s_endpgm
	.section	.rodata,"a",@progbits
	.p2align	6, 0x0
	.amdhsa_kernel _ZN9rocsparseL27csrmvn_lrb_long_rows_kernelIiiddddEEvbT_PjPT0_S4_jNS_24const_host_device_scalarIT4_EEPKS1_PKS3_PKT1_PKT2_S7_PT3_21rocsparse_index_base_b
		.amdhsa_group_segment_fixed_size 2048
		.amdhsa_private_segment_fixed_size 0
		.amdhsa_kernarg_size 104
		.amdhsa_user_sgpr_count 2
		.amdhsa_user_sgpr_dispatch_ptr 0
		.amdhsa_user_sgpr_queue_ptr 0
		.amdhsa_user_sgpr_kernarg_segment_ptr 1
		.amdhsa_user_sgpr_dispatch_id 0
		.amdhsa_user_sgpr_kernarg_preload_length 0
		.amdhsa_user_sgpr_kernarg_preload_offset 0
		.amdhsa_user_sgpr_private_segment_size 0
		.amdhsa_wavefront_size32 1
		.amdhsa_uses_dynamic_stack 0
		.amdhsa_enable_private_segment 0
		.amdhsa_system_sgpr_workgroup_id_x 1
		.amdhsa_system_sgpr_workgroup_id_y 0
		.amdhsa_system_sgpr_workgroup_id_z 0
		.amdhsa_system_sgpr_workgroup_info 0
		.amdhsa_system_vgpr_workitem_id 0
		.amdhsa_next_free_vgpr 10
		.amdhsa_next_free_sgpr 22
		.amdhsa_named_barrier_count 0
		.amdhsa_reserve_vcc 1
		.amdhsa_float_round_mode_32 0
		.amdhsa_float_round_mode_16_64 0
		.amdhsa_float_denorm_mode_32 3
		.amdhsa_float_denorm_mode_16_64 3
		.amdhsa_fp16_overflow 0
		.amdhsa_memory_ordered 1
		.amdhsa_forward_progress 1
		.amdhsa_inst_pref_size 12
		.amdhsa_round_robin_scheduling 0
		.amdhsa_exception_fp_ieee_invalid_op 0
		.amdhsa_exception_fp_denorm_src 0
		.amdhsa_exception_fp_ieee_div_zero 0
		.amdhsa_exception_fp_ieee_overflow 0
		.amdhsa_exception_fp_ieee_underflow 0
		.amdhsa_exception_fp_ieee_inexact 0
		.amdhsa_exception_int_div_zero 0
	.end_amdhsa_kernel
	.section	.text._ZN9rocsparseL27csrmvn_lrb_long_rows_kernelIiiddddEEvbT_PjPT0_S4_jNS_24const_host_device_scalarIT4_EEPKS1_PKS3_PKT1_PKT2_S7_PT3_21rocsparse_index_base_b,"axG",@progbits,_ZN9rocsparseL27csrmvn_lrb_long_rows_kernelIiiddddEEvbT_PjPT0_S4_jNS_24const_host_device_scalarIT4_EEPKS1_PKS3_PKT1_PKT2_S7_PT3_21rocsparse_index_base_b,comdat
.Lfunc_end31:
	.size	_ZN9rocsparseL27csrmvn_lrb_long_rows_kernelIiiddddEEvbT_PjPT0_S4_jNS_24const_host_device_scalarIT4_EEPKS1_PKS3_PKT1_PKT2_S7_PT3_21rocsparse_index_base_b, .Lfunc_end31-_ZN9rocsparseL27csrmvn_lrb_long_rows_kernelIiiddddEEvbT_PjPT0_S4_jNS_24const_host_device_scalarIT4_EEPKS1_PKS3_PKT1_PKT2_S7_PT3_21rocsparse_index_base_b
                                        ; -- End function
	.set _ZN9rocsparseL27csrmvn_lrb_long_rows_kernelIiiddddEEvbT_PjPT0_S4_jNS_24const_host_device_scalarIT4_EEPKS1_PKS3_PKT1_PKT2_S7_PT3_21rocsparse_index_base_b.num_vgpr, 10
	.set _ZN9rocsparseL27csrmvn_lrb_long_rows_kernelIiiddddEEvbT_PjPT0_S4_jNS_24const_host_device_scalarIT4_EEPKS1_PKS3_PKT1_PKT2_S7_PT3_21rocsparse_index_base_b.num_agpr, 0
	.set _ZN9rocsparseL27csrmvn_lrb_long_rows_kernelIiiddddEEvbT_PjPT0_S4_jNS_24const_host_device_scalarIT4_EEPKS1_PKS3_PKT1_PKT2_S7_PT3_21rocsparse_index_base_b.numbered_sgpr, 22
	.set _ZN9rocsparseL27csrmvn_lrb_long_rows_kernelIiiddddEEvbT_PjPT0_S4_jNS_24const_host_device_scalarIT4_EEPKS1_PKS3_PKT1_PKT2_S7_PT3_21rocsparse_index_base_b.num_named_barrier, 0
	.set _ZN9rocsparseL27csrmvn_lrb_long_rows_kernelIiiddddEEvbT_PjPT0_S4_jNS_24const_host_device_scalarIT4_EEPKS1_PKS3_PKT1_PKT2_S7_PT3_21rocsparse_index_base_b.private_seg_size, 0
	.set _ZN9rocsparseL27csrmvn_lrb_long_rows_kernelIiiddddEEvbT_PjPT0_S4_jNS_24const_host_device_scalarIT4_EEPKS1_PKS3_PKT1_PKT2_S7_PT3_21rocsparse_index_base_b.uses_vcc, 1
	.set _ZN9rocsparseL27csrmvn_lrb_long_rows_kernelIiiddddEEvbT_PjPT0_S4_jNS_24const_host_device_scalarIT4_EEPKS1_PKS3_PKT1_PKT2_S7_PT3_21rocsparse_index_base_b.uses_flat_scratch, 0
	.set _ZN9rocsparseL27csrmvn_lrb_long_rows_kernelIiiddddEEvbT_PjPT0_S4_jNS_24const_host_device_scalarIT4_EEPKS1_PKS3_PKT1_PKT2_S7_PT3_21rocsparse_index_base_b.has_dyn_sized_stack, 0
	.set _ZN9rocsparseL27csrmvn_lrb_long_rows_kernelIiiddddEEvbT_PjPT0_S4_jNS_24const_host_device_scalarIT4_EEPKS1_PKS3_PKT1_PKT2_S7_PT3_21rocsparse_index_base_b.has_recursion, 0
	.set _ZN9rocsparseL27csrmvn_lrb_long_rows_kernelIiiddddEEvbT_PjPT0_S4_jNS_24const_host_device_scalarIT4_EEPKS1_PKS3_PKT1_PKT2_S7_PT3_21rocsparse_index_base_b.has_indirect_call, 0
	.section	.AMDGPU.csdata,"",@progbits
; Kernel info:
; codeLenInByte = 1520
; TotalNumSgprs: 24
; NumVgprs: 10
; ScratchSize: 0
; MemoryBound: 0
; FloatMode: 240
; IeeeMode: 1
; LDSByteSize: 2048 bytes/workgroup (compile time only)
; SGPRBlocks: 0
; VGPRBlocks: 0
; NumSGPRsForWavesPerEU: 24
; NumVGPRsForWavesPerEU: 10
; NamedBarCnt: 0
; Occupancy: 16
; WaveLimiterHint : 1
; COMPUTE_PGM_RSRC2:SCRATCH_EN: 0
; COMPUTE_PGM_RSRC2:USER_SGPR: 2
; COMPUTE_PGM_RSRC2:TRAP_HANDLER: 0
; COMPUTE_PGM_RSRC2:TGID_X_EN: 1
; COMPUTE_PGM_RSRC2:TGID_Y_EN: 0
; COMPUTE_PGM_RSRC2:TGID_Z_EN: 0
; COMPUTE_PGM_RSRC2:TIDIG_COMP_CNT: 0
	.section	.text._ZN9rocsparseL28csrmvn_lrb_short_rows_kernelIliddddEEvbT_PT0_S3_jNS_24const_host_device_scalarIT4_EEPKS1_PKS2_PKT1_PKT2_S6_PT3_21rocsparse_index_base_b,"axG",@progbits,_ZN9rocsparseL28csrmvn_lrb_short_rows_kernelIliddddEEvbT_PT0_S3_jNS_24const_host_device_scalarIT4_EEPKS1_PKS2_PKT1_PKT2_S6_PT3_21rocsparse_index_base_b,comdat
	.globl	_ZN9rocsparseL28csrmvn_lrb_short_rows_kernelIliddddEEvbT_PT0_S3_jNS_24const_host_device_scalarIT4_EEPKS1_PKS2_PKT1_PKT2_S6_PT3_21rocsparse_index_base_b ; -- Begin function _ZN9rocsparseL28csrmvn_lrb_short_rows_kernelIliddddEEvbT_PT0_S3_jNS_24const_host_device_scalarIT4_EEPKS1_PKS2_PKT1_PKT2_S6_PT3_21rocsparse_index_base_b
	.p2align	8
	.type	_ZN9rocsparseL28csrmvn_lrb_short_rows_kernelIliddddEEvbT_PT0_S3_jNS_24const_host_device_scalarIT4_EEPKS1_PKS2_PKT1_PKT2_S6_PT3_21rocsparse_index_base_b,@function
_ZN9rocsparseL28csrmvn_lrb_short_rows_kernelIliddddEEvbT_PT0_S3_jNS_24const_host_device_scalarIT4_EEPKS1_PKS2_PKT1_PKT2_S6_PT3_21rocsparse_index_base_b: ; @_ZN9rocsparseL28csrmvn_lrb_short_rows_kernelIliddddEEvbT_PT0_S3_jNS_24const_host_device_scalarIT4_EEPKS1_PKS2_PKT1_PKT2_S6_PT3_21rocsparse_index_base_b
; %bb.0:
	s_clause 0x2
	s_load_b64 s[16:17], s[0:1], 0x60
	s_load_b64 s[4:5], s[0:1], 0x28
	;; [unrolled: 1-line block ×3, first 2 shown]
	s_wait_kmcnt 0x0
	s_bitcmp1_b32 s17, 0
	v_mov_b64_e32 v[8:9], s[4:5]
	s_cselect_b32 s6, -1, 0
	s_delay_alu instid0(SALU_CYCLE_1)
	s_and_b32 vcc_lo, exec_lo, s6
	s_xor_b32 s6, s6, -1
	s_cbranch_vccnz .LBB32_2
; %bb.1:
	v_mov_b32_e32 v1, 0
	flat_load_b64 v[8:9], v1, s[4:5]
.LBB32_2:
	v_mov_b64_e32 v[6:7], s[2:3]
	s_and_not1_b32 vcc_lo, exec_lo, s6
	s_cbranch_vccnz .LBB32_4
; %bb.3:
	s_wait_xcnt 0x0
	v_mov_b32_e32 v1, 0
	flat_load_b64 v[6:7], v1, s[2:3]
.LBB32_4:
	s_wait_loadcnt_dscnt 0x0
	v_cmp_neq_f64_e32 vcc_lo, 0, v[8:9]
	s_delay_alu instid0(VALU_DEP_2) | instskip(SKIP_1) | instid1(SALU_CYCLE_1)
	v_cmp_neq_f64_e64 s2, 1.0, v[6:7]
	s_or_b32 s2, vcc_lo, s2
	s_and_saveexec_b32 s3, s2
	s_cbranch_execz .LBB32_18
; %bb.5:
	s_clause 0x1
	s_load_b32 s2, s[0:1], 0x20
	s_load_b128 s[12:15], s[0:1], 0x10
	s_and_b32 s6, ttmp6, 15
	s_getreg_b32 s7, hwreg(HW_REG_IB_STS2, 6, 4)
	s_mov_b32 s17, 0
	s_wait_kmcnt 0x0
	s_add_co_i32 s4, s2, 1
	s_clause 0x1
	s_load_b32 s3, s[14:15], s2 offset:0x0 scale_offset
	s_load_b32 s5, s[14:15], s4 offset:0x0 scale_offset
	s_wait_xcnt 0x0
	s_bfe_u32 s4, ttmp6, 0x4000c
	s_delay_alu instid0(SALU_CYCLE_1) | instskip(NEXT) | instid1(SALU_CYCLE_1)
	s_add_co_i32 s4, s4, 1
	s_mul_i32 s4, ttmp9, s4
	s_delay_alu instid0(SALU_CYCLE_1) | instskip(SKIP_4) | instid1(SALU_CYCLE_1)
	s_add_co_i32 s6, s6, s4
	s_wait_kmcnt 0x0
	s_sub_co_i32 s5, s5, s3
	s_cmp_eq_u32 s7, 0
	s_cselect_b32 s4, ttmp9, s6
	s_lshl_b32 s14, s4, 8
	s_delay_alu instid0(SALU_CYCLE_1) | instskip(NEXT) | instid1(SALU_CYCLE_1)
	s_add_co_i32 s4, s14, 0x100
	s_min_u32 s15, s5, s4
	s_cmp_gt_u32 s2, 23
	s_cbranch_scc1 .LBB32_12
; %bb.6:
	s_load_b256 s[4:11], s[0:1], 0x30
	v_bfe_u32 v10, v0, 0, s2
	v_mov_b32_e32 v11, 0
	v_lshl_add_u32 v1, v0, 3, 0
	s_lshl_b32 s18, 0x100, s2
	s_mov_b32 s19, s17
	s_branch .LBB32_9
.LBB32_7:                               ;   in Loop: Header=BB32_9 Depth=1
	s_or_b32 exec_lo, exec_lo, s21
	ds_store_b64 v1, v[4:5]
.LBB32_8:                               ;   in Loop: Header=BB32_9 Depth=1
	s_or_b32 exec_lo, exec_lo, s20
	v_add_nc_u32_e32 v1, 0x800, v1
	s_addk_co_i32 s19, 0x100
	s_delay_alu instid0(SALU_CYCLE_1)
	s_cmp_ge_u32 s19, s18
	s_cbranch_scc1 .LBB32_12
.LBB32_9:                               ; =>This Inner Loop Header: Depth=1
	v_add_nc_u32_e32 v2, s19, v0
	s_mov_b32 s20, exec_lo
	s_delay_alu instid0(VALU_DEP_1) | instskip(NEXT) | instid1(VALU_DEP_1)
	v_lshrrev_b32_e32 v2, s2, v2
	v_add_nc_u32_e32 v2, s14, v2
	s_delay_alu instid0(VALU_DEP_1)
	v_cmpx_gt_u32_e64 s15, v2
	s_cbranch_execz .LBB32_8
; %bb.10:                               ;   in Loop: Header=BB32_9 Depth=1
	v_add_nc_u32_e32 v2, s3, v2
	global_load_b32 v2, v2, s[12:13] scale_offset
	s_wait_loadcnt 0x0
	v_ashrrev_i32_e32 v3, 31, v2
	s_wait_kmcnt 0x0
	s_wait_xcnt 0x0
	s_delay_alu instid0(VALU_DEP_1) | instskip(SKIP_3) | instid1(VALU_DEP_1)
	v_lshl_add_u64 v[2:3], v[2:3], 3, s[4:5]
	global_load_b128 v[2:5], v[2:3], off
	s_wait_loadcnt 0x0
	v_sub_nc_u64_e32 v[4:5], v[4:5], v[2:3]
	v_cmp_gt_i64_e32 vcc_lo, v[4:5], v[10:11]
	v_mov_b64_e32 v[4:5], 0
	s_wait_xcnt 0x0
	s_and_saveexec_b32 s21, vcc_lo
	s_cbranch_execz .LBB32_7
; %bb.11:                               ;   in Loop: Header=BB32_9 Depth=1
	v_sub_nc_u64_e64 v[2:3], v[2:3], s[16:17]
	s_delay_alu instid0(VALU_DEP_1) | instskip(NEXT) | instid1(VALU_DEP_1)
	v_add_nc_u64_e32 v[2:3], v[2:3], v[10:11]
	v_lshl_add_u64 v[4:5], v[2:3], 2, s[6:7]
	v_lshl_add_u64 v[2:3], v[2:3], 3, s[8:9]
	global_load_b32 v4, v[4:5], off
	global_load_b64 v[2:3], v[2:3], off
	s_wait_loadcnt 0x1
	s_wait_xcnt 0x1
	v_subrev_nc_u32_e32 v4, s16, v4
	s_wait_loadcnt 0x0
	s_wait_xcnt 0x0
	v_mul_f64_e32 v[2:3], v[8:9], v[2:3]
	global_load_b64 v[4:5], v4, s[10:11] scale_offset
	s_wait_loadcnt 0x0
	s_wait_xcnt 0x0
	v_mul_f64_e32 v[4:5], v[2:3], v[4:5]
	s_branch .LBB32_7
.LBB32_12:
	s_wait_kmcnt 0x0
	s_sub_co_i32 s4, s15, s14
	s_wait_dscnt 0x0
	v_cmp_gt_u32_e32 vcc_lo, s4, v0
	s_barrier_signal -1
	s_barrier_wait -1
	s_and_b32 exec_lo, exec_lo, vcc_lo
	s_cbranch_execz .LBB32_18
; %bb.13:
	v_add3_u32 v1, s3, s14, v0
	s_load_b64 s[0:1], s[0:1], 0x58
	v_lshlrev_b32_e32 v3, s2, v0
	s_mov_b32 s3, 1
	global_load_b32 v2, v1, s[12:13] scale_offset
	s_wait_xcnt 0x0
	v_mov_b64_e32 v[0:1], 0
	v_lshl_add_u32 v3, v3, 3, 0
.LBB32_14:                              ; =>This Inner Loop Header: Depth=1
	ds_load_b64 v[4:5], v3
	s_lshr_b32 s4, s3, s2
	s_add_co_i32 s3, s3, 1
	s_cmp_lg_u32 s4, 0
	s_wait_dscnt 0x0
	v_dual_add_f64 v[0:1], v[0:1], v[4:5] :: v_dual_add_nc_u32 v3, 8, v3
	s_cbranch_scc0 .LBB32_14
; %bb.15:
	s_wait_loadcnt 0x0
	v_ashrrev_i32_e32 v3, 31, v2
	s_wait_kmcnt 0x0
	s_delay_alu instid0(VALU_DEP_1)
	v_lshl_add_u64 v[2:3], v[2:3], 3, s[0:1]
	s_mov_b32 s0, exec_lo
	v_cmpx_neq_f64_e32 0, v[6:7]
	s_cbranch_execz .LBB32_17
; %bb.16:
	global_load_b64 v[4:5], v[2:3], off
	s_wait_loadcnt 0x0
	v_fmac_f64_e32 v[0:1], v[6:7], v[4:5]
.LBB32_17:
	s_or_b32 exec_lo, exec_lo, s0
	global_store_b64 v[2:3], v[0:1], off
.LBB32_18:
	s_endpgm
	.section	.rodata,"a",@progbits
	.p2align	6, 0x0
	.amdhsa_kernel _ZN9rocsparseL28csrmvn_lrb_short_rows_kernelIliddddEEvbT_PT0_S3_jNS_24const_host_device_scalarIT4_EEPKS1_PKS2_PKT1_PKT2_S6_PT3_21rocsparse_index_base_b
		.amdhsa_group_segment_fixed_size 0
		.amdhsa_private_segment_fixed_size 0
		.amdhsa_kernarg_size 104
		.amdhsa_user_sgpr_count 2
		.amdhsa_user_sgpr_dispatch_ptr 0
		.amdhsa_user_sgpr_queue_ptr 0
		.amdhsa_user_sgpr_kernarg_segment_ptr 1
		.amdhsa_user_sgpr_dispatch_id 0
		.amdhsa_user_sgpr_kernarg_preload_length 0
		.amdhsa_user_sgpr_kernarg_preload_offset 0
		.amdhsa_user_sgpr_private_segment_size 0
		.amdhsa_wavefront_size32 1
		.amdhsa_uses_dynamic_stack 0
		.amdhsa_enable_private_segment 0
		.amdhsa_system_sgpr_workgroup_id_x 1
		.amdhsa_system_sgpr_workgroup_id_y 0
		.amdhsa_system_sgpr_workgroup_id_z 0
		.amdhsa_system_sgpr_workgroup_info 0
		.amdhsa_system_vgpr_workitem_id 0
		.amdhsa_next_free_vgpr 12
		.amdhsa_next_free_sgpr 22
		.amdhsa_named_barrier_count 0
		.amdhsa_reserve_vcc 1
		.amdhsa_float_round_mode_32 0
		.amdhsa_float_round_mode_16_64 0
		.amdhsa_float_denorm_mode_32 3
		.amdhsa_float_denorm_mode_16_64 3
		.amdhsa_fp16_overflow 0
		.amdhsa_memory_ordered 1
		.amdhsa_forward_progress 1
		.amdhsa_inst_pref_size 7
		.amdhsa_round_robin_scheduling 0
		.amdhsa_exception_fp_ieee_invalid_op 0
		.amdhsa_exception_fp_denorm_src 0
		.amdhsa_exception_fp_ieee_div_zero 0
		.amdhsa_exception_fp_ieee_overflow 0
		.amdhsa_exception_fp_ieee_underflow 0
		.amdhsa_exception_fp_ieee_inexact 0
		.amdhsa_exception_int_div_zero 0
	.end_amdhsa_kernel
	.section	.text._ZN9rocsparseL28csrmvn_lrb_short_rows_kernelIliddddEEvbT_PT0_S3_jNS_24const_host_device_scalarIT4_EEPKS1_PKS2_PKT1_PKT2_S6_PT3_21rocsparse_index_base_b,"axG",@progbits,_ZN9rocsparseL28csrmvn_lrb_short_rows_kernelIliddddEEvbT_PT0_S3_jNS_24const_host_device_scalarIT4_EEPKS1_PKS2_PKT1_PKT2_S6_PT3_21rocsparse_index_base_b,comdat
.Lfunc_end32:
	.size	_ZN9rocsparseL28csrmvn_lrb_short_rows_kernelIliddddEEvbT_PT0_S3_jNS_24const_host_device_scalarIT4_EEPKS1_PKS2_PKT1_PKT2_S6_PT3_21rocsparse_index_base_b, .Lfunc_end32-_ZN9rocsparseL28csrmvn_lrb_short_rows_kernelIliddddEEvbT_PT0_S3_jNS_24const_host_device_scalarIT4_EEPKS1_PKS2_PKT1_PKT2_S6_PT3_21rocsparse_index_base_b
                                        ; -- End function
	.set _ZN9rocsparseL28csrmvn_lrb_short_rows_kernelIliddddEEvbT_PT0_S3_jNS_24const_host_device_scalarIT4_EEPKS1_PKS2_PKT1_PKT2_S6_PT3_21rocsparse_index_base_b.num_vgpr, 12
	.set _ZN9rocsparseL28csrmvn_lrb_short_rows_kernelIliddddEEvbT_PT0_S3_jNS_24const_host_device_scalarIT4_EEPKS1_PKS2_PKT1_PKT2_S6_PT3_21rocsparse_index_base_b.num_agpr, 0
	.set _ZN9rocsparseL28csrmvn_lrb_short_rows_kernelIliddddEEvbT_PT0_S3_jNS_24const_host_device_scalarIT4_EEPKS1_PKS2_PKT1_PKT2_S6_PT3_21rocsparse_index_base_b.numbered_sgpr, 22
	.set _ZN9rocsparseL28csrmvn_lrb_short_rows_kernelIliddddEEvbT_PT0_S3_jNS_24const_host_device_scalarIT4_EEPKS1_PKS2_PKT1_PKT2_S6_PT3_21rocsparse_index_base_b.num_named_barrier, 0
	.set _ZN9rocsparseL28csrmvn_lrb_short_rows_kernelIliddddEEvbT_PT0_S3_jNS_24const_host_device_scalarIT4_EEPKS1_PKS2_PKT1_PKT2_S6_PT3_21rocsparse_index_base_b.private_seg_size, 0
	.set _ZN9rocsparseL28csrmvn_lrb_short_rows_kernelIliddddEEvbT_PT0_S3_jNS_24const_host_device_scalarIT4_EEPKS1_PKS2_PKT1_PKT2_S6_PT3_21rocsparse_index_base_b.uses_vcc, 1
	.set _ZN9rocsparseL28csrmvn_lrb_short_rows_kernelIliddddEEvbT_PT0_S3_jNS_24const_host_device_scalarIT4_EEPKS1_PKS2_PKT1_PKT2_S6_PT3_21rocsparse_index_base_b.uses_flat_scratch, 0
	.set _ZN9rocsparseL28csrmvn_lrb_short_rows_kernelIliddddEEvbT_PT0_S3_jNS_24const_host_device_scalarIT4_EEPKS1_PKS2_PKT1_PKT2_S6_PT3_21rocsparse_index_base_b.has_dyn_sized_stack, 0
	.set _ZN9rocsparseL28csrmvn_lrb_short_rows_kernelIliddddEEvbT_PT0_S3_jNS_24const_host_device_scalarIT4_EEPKS1_PKS2_PKT1_PKT2_S6_PT3_21rocsparse_index_base_b.has_recursion, 0
	.set _ZN9rocsparseL28csrmvn_lrb_short_rows_kernelIliddddEEvbT_PT0_S3_jNS_24const_host_device_scalarIT4_EEPKS1_PKS2_PKT1_PKT2_S6_PT3_21rocsparse_index_base_b.has_indirect_call, 0
	.section	.AMDGPU.csdata,"",@progbits
; Kernel info:
; codeLenInByte = 788
; TotalNumSgprs: 24
; NumVgprs: 12
; ScratchSize: 0
; MemoryBound: 0
; FloatMode: 240
; IeeeMode: 1
; LDSByteSize: 0 bytes/workgroup (compile time only)
; SGPRBlocks: 0
; VGPRBlocks: 0
; NumSGPRsForWavesPerEU: 24
; NumVGPRsForWavesPerEU: 12
; NamedBarCnt: 0
; Occupancy: 16
; WaveLimiterHint : 1
; COMPUTE_PGM_RSRC2:SCRATCH_EN: 0
; COMPUTE_PGM_RSRC2:USER_SGPR: 2
; COMPUTE_PGM_RSRC2:TRAP_HANDLER: 0
; COMPUTE_PGM_RSRC2:TGID_X_EN: 1
; COMPUTE_PGM_RSRC2:TGID_Y_EN: 0
; COMPUTE_PGM_RSRC2:TGID_Z_EN: 0
; COMPUTE_PGM_RSRC2:TIDIG_COMP_CNT: 0
	.section	.text._ZN9rocsparseL30csrmvn_lrb_short_rows_2_kernelIliddddEEvbT_PT0_S3_jNS_24const_host_device_scalarIT4_EEPKS1_PKS2_PKT1_PKT2_S6_PT3_21rocsparse_index_base_b,"axG",@progbits,_ZN9rocsparseL30csrmvn_lrb_short_rows_2_kernelIliddddEEvbT_PT0_S3_jNS_24const_host_device_scalarIT4_EEPKS1_PKS2_PKT1_PKT2_S6_PT3_21rocsparse_index_base_b,comdat
	.globl	_ZN9rocsparseL30csrmvn_lrb_short_rows_2_kernelIliddddEEvbT_PT0_S3_jNS_24const_host_device_scalarIT4_EEPKS1_PKS2_PKT1_PKT2_S6_PT3_21rocsparse_index_base_b ; -- Begin function _ZN9rocsparseL30csrmvn_lrb_short_rows_2_kernelIliddddEEvbT_PT0_S3_jNS_24const_host_device_scalarIT4_EEPKS1_PKS2_PKT1_PKT2_S6_PT3_21rocsparse_index_base_b
	.p2align	8
	.type	_ZN9rocsparseL30csrmvn_lrb_short_rows_2_kernelIliddddEEvbT_PT0_S3_jNS_24const_host_device_scalarIT4_EEPKS1_PKS2_PKT1_PKT2_S6_PT3_21rocsparse_index_base_b,@function
_ZN9rocsparseL30csrmvn_lrb_short_rows_2_kernelIliddddEEvbT_PT0_S3_jNS_24const_host_device_scalarIT4_EEPKS1_PKS2_PKT1_PKT2_S6_PT3_21rocsparse_index_base_b: ; @_ZN9rocsparseL30csrmvn_lrb_short_rows_2_kernelIliddddEEvbT_PT0_S3_jNS_24const_host_device_scalarIT4_EEPKS1_PKS2_PKT1_PKT2_S6_PT3_21rocsparse_index_base_b
; %bb.0:
	s_clause 0x2
	s_load_b64 s[16:17], s[0:1], 0x60
	s_load_b64 s[4:5], s[0:1], 0x28
	;; [unrolled: 1-line block ×3, first 2 shown]
	s_wait_kmcnt 0x0
	s_bitcmp1_b32 s17, 0
	v_mov_b64_e32 v[8:9], s[4:5]
	s_cselect_b32 s6, -1, 0
	s_delay_alu instid0(SALU_CYCLE_1)
	s_and_b32 vcc_lo, exec_lo, s6
	s_xor_b32 s6, s6, -1
	s_cbranch_vccnz .LBB33_2
; %bb.1:
	v_mov_b32_e32 v1, 0
	flat_load_b64 v[8:9], v1, s[4:5]
.LBB33_2:
	v_mov_b64_e32 v[6:7], s[2:3]
	s_and_not1_b32 vcc_lo, exec_lo, s6
	s_cbranch_vccnz .LBB33_4
; %bb.3:
	s_wait_xcnt 0x0
	v_mov_b32_e32 v1, 0
	flat_load_b64 v[6:7], v1, s[2:3]
.LBB33_4:
	s_wait_loadcnt_dscnt 0x0
	v_cmp_neq_f64_e32 vcc_lo, 0, v[8:9]
	s_delay_alu instid0(VALU_DEP_2) | instskip(SKIP_1) | instid1(SALU_CYCLE_1)
	v_cmp_neq_f64_e64 s2, 1.0, v[6:7]
	s_or_b32 s2, vcc_lo, s2
	s_and_saveexec_b32 s3, s2
	s_cbranch_execz .LBB33_30
; %bb.5:
	s_clause 0x2
	s_load_b32 s18, s[0:1], 0x20
	s_load_b128 s[12:15], s[0:1], 0x10
	s_load_b256 s[4:11], s[0:1], 0x30
	s_mov_b32 s17, 0
	s_wait_kmcnt 0x0
	v_dual_mov_b32 v11, 0 :: v_dual_lshrrev_b32 v1, s18, v0
	s_add_co_i32 s2, s18, 1
	s_clause 0x1
	s_load_b32 s19, s[14:15], s18 offset:0x0 scale_offset
	s_load_b32 s3, s[14:15], s2 offset:0x0 scale_offset
	s_wait_xcnt 0x0
	s_bfe_u32 s2, ttmp6, 0x4000c
	s_and_b32 s14, ttmp6, 15
	s_add_co_i32 s2, s2, 1
	s_getreg_b32 s15, hwreg(HW_REG_IB_STS2, 6, 4)
	s_mul_i32 s2, ttmp9, s2
	v_bfe_u32 v10, v0, 0, s18
	s_add_co_i32 s2, s14, s2
	s_lshr_b32 s14, 0x400, s18
	s_wait_kmcnt 0x0
	s_sub_co_i32 s3, s3, s19
	s_cmp_eq_u32 s15, 0
	s_cselect_b32 s2, ttmp9, s2
	s_delay_alu instid0(SALU_CYCLE_1) | instskip(NEXT) | instid1(SALU_CYCLE_1)
	s_mul_i32 s15, s14, s2
	v_add_nc_u32_e32 v1, s15, v1
	s_add_co_i32 s2, s15, s14
	s_delay_alu instid0(SALU_CYCLE_1) | instskip(SKIP_1) | instid1(VALU_DEP_1)
	s_min_u32 s20, s3, s2
	s_mov_b32 s2, exec_lo
	v_cmpx_gt_u32_e64 s20, v1
	s_cbranch_execz .LBB33_9
; %bb.6:
	v_add_nc_u32_e32 v1, s19, v1
	global_load_b32 v2, v1, s[12:13] scale_offset
	s_wait_loadcnt 0x0
	v_ashrrev_i32_e32 v3, 31, v2
	s_delay_alu instid0(VALU_DEP_1) | instskip(SKIP_3) | instid1(VALU_DEP_1)
	v_lshl_add_u64 v[2:3], v[2:3], 3, s[4:5]
	global_load_b128 v[2:5], v[2:3], off
	s_wait_loadcnt 0x0
	v_sub_nc_u64_e32 v[4:5], v[4:5], v[2:3]
	v_cmp_gt_i64_e32 vcc_lo, v[4:5], v[10:11]
	v_mov_b64_e32 v[4:5], 0
	s_and_saveexec_b32 s3, vcc_lo
	s_cbranch_execz .LBB33_8
; %bb.7:
	v_sub_nc_u64_e64 v[2:3], v[2:3], s[16:17]
	s_delay_alu instid0(VALU_DEP_1) | instskip(NEXT) | instid1(VALU_DEP_1)
	v_add_nc_u64_e32 v[2:3], v[2:3], v[10:11]
	v_lshl_add_u64 v[4:5], v[2:3], 2, s[6:7]
	v_lshl_add_u64 v[2:3], v[2:3], 3, s[8:9]
	global_load_b32 v1, v[4:5], off
	global_load_b64 v[2:3], v[2:3], off
	s_wait_loadcnt 0x1
	v_subrev_nc_u32_e32 v1, s16, v1
	s_wait_loadcnt 0x0
	v_mul_f64_e32 v[2:3], v[8:9], v[2:3]
	global_load_b64 v[4:5], v1, s[10:11] scale_offset
	s_wait_loadcnt 0x0
	v_mul_f64_e32 v[4:5], v[2:3], v[4:5]
.LBB33_8:
	s_or_b32 exec_lo, exec_lo, s3
	v_lshlrev_b32_e32 v1, 3, v0
	ds_store_b64 v1, v[4:5]
.LBB33_9:
	s_or_b32 exec_lo, exec_lo, s2
	s_load_b64 s[2:3], s[0:1], 0x58
	v_or_b32_e32 v1, 0x100, v0
	s_wait_xcnt 0x0
	s_mov_b32 s0, exec_lo
	s_delay_alu instid0(VALU_DEP_1) | instskip(NEXT) | instid1(VALU_DEP_1)
	v_lshrrev_b32_e32 v1, s18, v1
	v_add_nc_u32_e32 v1, s15, v1
	s_delay_alu instid0(VALU_DEP_1)
	v_cmpx_gt_u32_e64 s20, v1
	s_cbranch_execz .LBB33_13
; %bb.10:
	v_add_nc_u32_e32 v1, s19, v1
	global_load_b32 v2, v1, s[12:13] scale_offset
	s_wait_loadcnt 0x0
	v_ashrrev_i32_e32 v3, 31, v2
	s_delay_alu instid0(VALU_DEP_1) | instskip(SKIP_3) | instid1(VALU_DEP_1)
	v_lshl_add_u64 v[2:3], v[2:3], 3, s[4:5]
	global_load_b128 v[2:5], v[2:3], off
	s_wait_loadcnt 0x0
	v_sub_nc_u64_e32 v[4:5], v[4:5], v[2:3]
	v_cmp_gt_i64_e32 vcc_lo, v[4:5], v[10:11]
	v_mov_b64_e32 v[4:5], 0
	s_and_saveexec_b32 s1, vcc_lo
	s_cbranch_execz .LBB33_12
; %bb.11:
	v_sub_nc_u64_e64 v[2:3], v[2:3], s[16:17]
	s_delay_alu instid0(VALU_DEP_1) | instskip(NEXT) | instid1(VALU_DEP_1)
	v_add_nc_u64_e32 v[2:3], v[2:3], v[10:11]
	v_lshl_add_u64 v[4:5], v[2:3], 2, s[6:7]
	v_lshl_add_u64 v[2:3], v[2:3], 3, s[8:9]
	global_load_b32 v1, v[4:5], off
	global_load_b64 v[2:3], v[2:3], off
	s_wait_loadcnt 0x1
	v_subrev_nc_u32_e32 v1, s16, v1
	s_wait_loadcnt 0x0
	v_mul_f64_e32 v[2:3], v[8:9], v[2:3]
	global_load_b64 v[4:5], v1, s[10:11] scale_offset
	s_wait_loadcnt 0x0
	v_mul_f64_e32 v[4:5], v[2:3], v[4:5]
.LBB33_12:
	s_or_b32 exec_lo, exec_lo, s1
	v_lshlrev_b32_e32 v1, 3, v0
	ds_store_b64 v1, v[4:5] offset:2048
.LBB33_13:
	s_or_b32 exec_lo, exec_lo, s0
	v_or_b32_e32 v1, 0x200, v0
	s_mov_b32 s0, exec_lo
	s_delay_alu instid0(VALU_DEP_1) | instskip(NEXT) | instid1(VALU_DEP_1)
	v_lshrrev_b32_e32 v1, s18, v1
	v_add_nc_u32_e32 v1, s15, v1
	s_delay_alu instid0(VALU_DEP_1)
	v_cmpx_gt_u32_e64 s20, v1
	s_cbranch_execz .LBB33_17
; %bb.14:
	v_add_nc_u32_e32 v1, s19, v1
	global_load_b32 v2, v1, s[12:13] scale_offset
	s_wait_loadcnt 0x0
	v_ashrrev_i32_e32 v3, 31, v2
	s_delay_alu instid0(VALU_DEP_1) | instskip(SKIP_3) | instid1(VALU_DEP_1)
	v_lshl_add_u64 v[2:3], v[2:3], 3, s[4:5]
	global_load_b128 v[2:5], v[2:3], off
	s_wait_loadcnt 0x0
	v_sub_nc_u64_e32 v[4:5], v[4:5], v[2:3]
	v_cmp_gt_i64_e32 vcc_lo, v[4:5], v[10:11]
	v_mov_b64_e32 v[4:5], 0
	s_and_saveexec_b32 s1, vcc_lo
	s_cbranch_execz .LBB33_16
; %bb.15:
	v_sub_nc_u64_e64 v[2:3], v[2:3], s[16:17]
	s_delay_alu instid0(VALU_DEP_1) | instskip(NEXT) | instid1(VALU_DEP_1)
	v_add_nc_u64_e32 v[2:3], v[2:3], v[10:11]
	v_lshl_add_u64 v[4:5], v[2:3], 2, s[6:7]
	v_lshl_add_u64 v[2:3], v[2:3], 3, s[8:9]
	global_load_b32 v1, v[4:5], off
	global_load_b64 v[2:3], v[2:3], off
	s_wait_loadcnt 0x1
	v_subrev_nc_u32_e32 v1, s16, v1
	s_wait_loadcnt 0x0
	v_mul_f64_e32 v[2:3], v[8:9], v[2:3]
	global_load_b64 v[4:5], v1, s[10:11] scale_offset
	s_wait_loadcnt 0x0
	v_mul_f64_e32 v[4:5], v[2:3], v[4:5]
.LBB33_16:
	s_or_b32 exec_lo, exec_lo, s1
	v_lshlrev_b32_e32 v1, 3, v0
	ds_store_b64 v1, v[4:5] offset:4096
.LBB33_17:
	s_or_b32 exec_lo, exec_lo, s0
	v_or_b32_e32 v1, 0x300, v0
	s_mov_b32 s0, exec_lo
	s_delay_alu instid0(VALU_DEP_1) | instskip(NEXT) | instid1(VALU_DEP_1)
	v_lshrrev_b32_e32 v1, s18, v1
	v_add_nc_u32_e32 v1, s15, v1
	s_delay_alu instid0(VALU_DEP_1)
	v_cmpx_gt_u32_e64 s20, v1
	s_cbranch_execz .LBB33_21
; %bb.18:
	v_add_nc_u32_e32 v1, s19, v1
	global_load_b32 v2, v1, s[12:13] scale_offset
	s_wait_loadcnt 0x0
	v_ashrrev_i32_e32 v3, 31, v2
	s_delay_alu instid0(VALU_DEP_1) | instskip(SKIP_3) | instid1(VALU_DEP_1)
	v_lshl_add_u64 v[2:3], v[2:3], 3, s[4:5]
	global_load_b128 v[2:5], v[2:3], off
	s_wait_loadcnt 0x0
	v_sub_nc_u64_e32 v[4:5], v[4:5], v[2:3]
	v_cmp_gt_i64_e32 vcc_lo, v[4:5], v[10:11]
	v_mov_b64_e32 v[4:5], 0
	s_and_saveexec_b32 s1, vcc_lo
	s_cbranch_execz .LBB33_20
; %bb.19:
	v_sub_nc_u64_e64 v[2:3], v[2:3], s[16:17]
	s_delay_alu instid0(VALU_DEP_1) | instskip(NEXT) | instid1(VALU_DEP_1)
	v_add_nc_u64_e32 v[2:3], v[2:3], v[10:11]
	v_lshl_add_u64 v[4:5], v[2:3], 2, s[6:7]
	v_lshl_add_u64 v[2:3], v[2:3], 3, s[8:9]
	global_load_b32 v1, v[4:5], off
	global_load_b64 v[2:3], v[2:3], off
	s_wait_loadcnt 0x1
	v_subrev_nc_u32_e32 v1, s16, v1
	s_wait_loadcnt 0x0
	v_mul_f64_e32 v[2:3], v[8:9], v[2:3]
	global_load_b64 v[4:5], v1, s[10:11] scale_offset
	s_wait_loadcnt 0x0
	v_mul_f64_e32 v[4:5], v[2:3], v[4:5]
.LBB33_20:
	s_or_b32 exec_lo, exec_lo, s1
	v_lshlrev_b32_e32 v1, 3, v0
	ds_store_b64 v1, v[4:5] offset:6144
.LBB33_21:
	s_or_b32 exec_lo, exec_lo, s0
	s_cmp_lt_u32 s18, 11
	s_wait_dscnt 0x0
	s_barrier_signal -1
	s_barrier_wait -1
	s_cbranch_scc0 .LBB33_30
; %bb.22:
	s_sub_co_i32 s1, s20, s15
	s_add_co_i32 s19, s19, s15
	s_mov_b32 s4, 0
	v_cmp_neq_f64_e32 vcc_lo, 0, v[6:7]
	s_branch .LBB33_25
.LBB33_23:                              ;   in Loop: Header=BB33_25 Depth=1
	s_wait_xcnt 0x0
	s_or_b32 exec_lo, exec_lo, s0
	global_store_b64 v[4:5], v[2:3], off
.LBB33_24:                              ;   in Loop: Header=BB33_25 Depth=1
	s_wait_xcnt 0x0
	s_or_b32 exec_lo, exec_lo, s5
	s_addk_co_i32 s4, 0x100
	s_delay_alu instid0(SALU_CYCLE_1)
	s_cmp_lt_u32 s4, s14
	s_cbranch_scc0 .LBB33_30
.LBB33_25:                              ; =>This Loop Header: Depth=1
                                        ;     Child Loop BB33_27 Depth 2
	v_add_nc_u32_e32 v1, s4, v0
	s_mov_b32 s5, exec_lo
	s_delay_alu instid0(VALU_DEP_1)
	v_cmpx_gt_u32_e64 s1, v1
	s_cbranch_execz .LBB33_24
; %bb.26:                               ;   in Loop: Header=BB33_25 Depth=1
	v_dual_add_nc_u32 v2, s19, v1 :: v_dual_lshlrev_b32 v1, s18, v1
	s_mov_b32 s0, 1
	global_load_b32 v4, v2, s[12:13] scale_offset
	s_wait_xcnt 0x0
	v_mov_b64_e32 v[2:3], 0
	v_lshlrev_b32_e32 v1, 3, v1
.LBB33_27:                              ;   Parent Loop BB33_25 Depth=1
                                        ; =>  This Inner Loop Header: Depth=2
	ds_load_b64 v[8:9], v1
	v_add_nc_u32_e32 v1, 8, v1
	s_lshr_b32 s6, s0, s18
	s_add_co_i32 s0, s0, 1
	s_cmp_lg_u32 s6, 0
	s_wait_dscnt 0x0
	v_add_f64_e32 v[2:3], v[2:3], v[8:9]
	s_cbranch_scc0 .LBB33_27
; %bb.28:                               ;   in Loop: Header=BB33_25 Depth=1
	s_wait_loadcnt 0x0
	v_ashrrev_i32_e32 v5, 31, v4
	s_wait_kmcnt 0x0
	s_delay_alu instid0(VALU_DEP_1)
	v_lshl_add_u64 v[4:5], v[4:5], 3, s[2:3]
	s_and_saveexec_b32 s0, vcc_lo
	s_cbranch_execz .LBB33_23
; %bb.29:                               ;   in Loop: Header=BB33_25 Depth=1
	global_load_b64 v[8:9], v[4:5], off
	s_wait_loadcnt 0x0
	v_fmac_f64_e32 v[2:3], v[6:7], v[8:9]
	s_branch .LBB33_23
.LBB33_30:
	s_endpgm
	.section	.rodata,"a",@progbits
	.p2align	6, 0x0
	.amdhsa_kernel _ZN9rocsparseL30csrmvn_lrb_short_rows_2_kernelIliddddEEvbT_PT0_S3_jNS_24const_host_device_scalarIT4_EEPKS1_PKS2_PKT1_PKT2_S6_PT3_21rocsparse_index_base_b
		.amdhsa_group_segment_fixed_size 8192
		.amdhsa_private_segment_fixed_size 0
		.amdhsa_kernarg_size 104
		.amdhsa_user_sgpr_count 2
		.amdhsa_user_sgpr_dispatch_ptr 0
		.amdhsa_user_sgpr_queue_ptr 0
		.amdhsa_user_sgpr_kernarg_segment_ptr 1
		.amdhsa_user_sgpr_dispatch_id 0
		.amdhsa_user_sgpr_kernarg_preload_length 0
		.amdhsa_user_sgpr_kernarg_preload_offset 0
		.amdhsa_user_sgpr_private_segment_size 0
		.amdhsa_wavefront_size32 1
		.amdhsa_uses_dynamic_stack 0
		.amdhsa_enable_private_segment 0
		.amdhsa_system_sgpr_workgroup_id_x 1
		.amdhsa_system_sgpr_workgroup_id_y 0
		.amdhsa_system_sgpr_workgroup_id_z 0
		.amdhsa_system_sgpr_workgroup_info 0
		.amdhsa_system_vgpr_workitem_id 0
		.amdhsa_next_free_vgpr 12
		.amdhsa_next_free_sgpr 21
		.amdhsa_named_barrier_count 0
		.amdhsa_reserve_vcc 1
		.amdhsa_float_round_mode_32 0
		.amdhsa_float_round_mode_16_64 0
		.amdhsa_float_denorm_mode_32 3
		.amdhsa_float_denorm_mode_16_64 3
		.amdhsa_fp16_overflow 0
		.amdhsa_memory_ordered 1
		.amdhsa_forward_progress 1
		.amdhsa_inst_pref_size 12
		.amdhsa_round_robin_scheduling 0
		.amdhsa_exception_fp_ieee_invalid_op 0
		.amdhsa_exception_fp_denorm_src 0
		.amdhsa_exception_fp_ieee_div_zero 0
		.amdhsa_exception_fp_ieee_overflow 0
		.amdhsa_exception_fp_ieee_underflow 0
		.amdhsa_exception_fp_ieee_inexact 0
		.amdhsa_exception_int_div_zero 0
	.end_amdhsa_kernel
	.section	.text._ZN9rocsparseL30csrmvn_lrb_short_rows_2_kernelIliddddEEvbT_PT0_S3_jNS_24const_host_device_scalarIT4_EEPKS1_PKS2_PKT1_PKT2_S6_PT3_21rocsparse_index_base_b,"axG",@progbits,_ZN9rocsparseL30csrmvn_lrb_short_rows_2_kernelIliddddEEvbT_PT0_S3_jNS_24const_host_device_scalarIT4_EEPKS1_PKS2_PKT1_PKT2_S6_PT3_21rocsparse_index_base_b,comdat
.Lfunc_end33:
	.size	_ZN9rocsparseL30csrmvn_lrb_short_rows_2_kernelIliddddEEvbT_PT0_S3_jNS_24const_host_device_scalarIT4_EEPKS1_PKS2_PKT1_PKT2_S6_PT3_21rocsparse_index_base_b, .Lfunc_end33-_ZN9rocsparseL30csrmvn_lrb_short_rows_2_kernelIliddddEEvbT_PT0_S3_jNS_24const_host_device_scalarIT4_EEPKS1_PKS2_PKT1_PKT2_S6_PT3_21rocsparse_index_base_b
                                        ; -- End function
	.set _ZN9rocsparseL30csrmvn_lrb_short_rows_2_kernelIliddddEEvbT_PT0_S3_jNS_24const_host_device_scalarIT4_EEPKS1_PKS2_PKT1_PKT2_S6_PT3_21rocsparse_index_base_b.num_vgpr, 12
	.set _ZN9rocsparseL30csrmvn_lrb_short_rows_2_kernelIliddddEEvbT_PT0_S3_jNS_24const_host_device_scalarIT4_EEPKS1_PKS2_PKT1_PKT2_S6_PT3_21rocsparse_index_base_b.num_agpr, 0
	.set _ZN9rocsparseL30csrmvn_lrb_short_rows_2_kernelIliddddEEvbT_PT0_S3_jNS_24const_host_device_scalarIT4_EEPKS1_PKS2_PKT1_PKT2_S6_PT3_21rocsparse_index_base_b.numbered_sgpr, 21
	.set _ZN9rocsparseL30csrmvn_lrb_short_rows_2_kernelIliddddEEvbT_PT0_S3_jNS_24const_host_device_scalarIT4_EEPKS1_PKS2_PKT1_PKT2_S6_PT3_21rocsparse_index_base_b.num_named_barrier, 0
	.set _ZN9rocsparseL30csrmvn_lrb_short_rows_2_kernelIliddddEEvbT_PT0_S3_jNS_24const_host_device_scalarIT4_EEPKS1_PKS2_PKT1_PKT2_S6_PT3_21rocsparse_index_base_b.private_seg_size, 0
	.set _ZN9rocsparseL30csrmvn_lrb_short_rows_2_kernelIliddddEEvbT_PT0_S3_jNS_24const_host_device_scalarIT4_EEPKS1_PKS2_PKT1_PKT2_S6_PT3_21rocsparse_index_base_b.uses_vcc, 1
	.set _ZN9rocsparseL30csrmvn_lrb_short_rows_2_kernelIliddddEEvbT_PT0_S3_jNS_24const_host_device_scalarIT4_EEPKS1_PKS2_PKT1_PKT2_S6_PT3_21rocsparse_index_base_b.uses_flat_scratch, 0
	.set _ZN9rocsparseL30csrmvn_lrb_short_rows_2_kernelIliddddEEvbT_PT0_S3_jNS_24const_host_device_scalarIT4_EEPKS1_PKS2_PKT1_PKT2_S6_PT3_21rocsparse_index_base_b.has_dyn_sized_stack, 0
	.set _ZN9rocsparseL30csrmvn_lrb_short_rows_2_kernelIliddddEEvbT_PT0_S3_jNS_24const_host_device_scalarIT4_EEPKS1_PKS2_PKT1_PKT2_S6_PT3_21rocsparse_index_base_b.has_recursion, 0
	.set _ZN9rocsparseL30csrmvn_lrb_short_rows_2_kernelIliddddEEvbT_PT0_S3_jNS_24const_host_device_scalarIT4_EEPKS1_PKS2_PKT1_PKT2_S6_PT3_21rocsparse_index_base_b.has_indirect_call, 0
	.section	.AMDGPU.csdata,"",@progbits
; Kernel info:
; codeLenInByte = 1428
; TotalNumSgprs: 23
; NumVgprs: 12
; ScratchSize: 0
; MemoryBound: 0
; FloatMode: 240
; IeeeMode: 1
; LDSByteSize: 8192 bytes/workgroup (compile time only)
; SGPRBlocks: 0
; VGPRBlocks: 0
; NumSGPRsForWavesPerEU: 23
; NumVGPRsForWavesPerEU: 12
; NamedBarCnt: 0
; Occupancy: 16
; WaveLimiterHint : 1
; COMPUTE_PGM_RSRC2:SCRATCH_EN: 0
; COMPUTE_PGM_RSRC2:USER_SGPR: 2
; COMPUTE_PGM_RSRC2:TRAP_HANDLER: 0
; COMPUTE_PGM_RSRC2:TGID_X_EN: 1
; COMPUTE_PGM_RSRC2:TGID_Y_EN: 0
; COMPUTE_PGM_RSRC2:TGID_Z_EN: 0
; COMPUTE_PGM_RSRC2:TIDIG_COMP_CNT: 0
	.section	.text._ZN9rocsparseL41csrmvn_lrb_medium_rows_warp_reduce_kernelILj256ELj32EliddddEEvbT1_lPT2_S3_jNS_24const_host_device_scalarIT6_EEPKS1_PKS2_PKT3_PKT4_S6_PT5_21rocsparse_index_base_b,"axG",@progbits,_ZN9rocsparseL41csrmvn_lrb_medium_rows_warp_reduce_kernelILj256ELj32EliddddEEvbT1_lPT2_S3_jNS_24const_host_device_scalarIT6_EEPKS1_PKS2_PKT3_PKT4_S6_PT5_21rocsparse_index_base_b,comdat
	.globl	_ZN9rocsparseL41csrmvn_lrb_medium_rows_warp_reduce_kernelILj256ELj32EliddddEEvbT1_lPT2_S3_jNS_24const_host_device_scalarIT6_EEPKS1_PKS2_PKT3_PKT4_S6_PT5_21rocsparse_index_base_b ; -- Begin function _ZN9rocsparseL41csrmvn_lrb_medium_rows_warp_reduce_kernelILj256ELj32EliddddEEvbT1_lPT2_S3_jNS_24const_host_device_scalarIT6_EEPKS1_PKS2_PKT3_PKT4_S6_PT5_21rocsparse_index_base_b
	.p2align	8
	.type	_ZN9rocsparseL41csrmvn_lrb_medium_rows_warp_reduce_kernelILj256ELj32EliddddEEvbT1_lPT2_S3_jNS_24const_host_device_scalarIT6_EEPKS1_PKS2_PKT3_PKT4_S6_PT5_21rocsparse_index_base_b,@function
_ZN9rocsparseL41csrmvn_lrb_medium_rows_warp_reduce_kernelILj256ELj32EliddddEEvbT1_lPT2_S3_jNS_24const_host_device_scalarIT6_EEPKS1_PKS2_PKT3_PKT4_S6_PT5_21rocsparse_index_base_b: ; @_ZN9rocsparseL41csrmvn_lrb_medium_rows_warp_reduce_kernelILj256ELj32EliddddEEvbT1_lPT2_S3_jNS_24const_host_device_scalarIT6_EEPKS1_PKS2_PKT3_PKT4_S6_PT5_21rocsparse_index_base_b
; %bb.0:
	s_clause 0x2
	s_load_b64 s[4:5], s[0:1], 0x68
	s_load_b64 s[6:7], s[0:1], 0x30
	;; [unrolled: 1-line block ×3, first 2 shown]
	s_wait_kmcnt 0x0
	s_bitcmp1_b32 s5, 0
	v_mov_b64_e32 v[4:5], s[6:7]
	s_cselect_b32 s5, -1, 0
	s_delay_alu instid0(SALU_CYCLE_1)
	s_and_b32 vcc_lo, exec_lo, s5
	s_xor_b32 s5, s5, -1
	s_cbranch_vccnz .LBB34_2
; %bb.1:
	v_mov_b32_e32 v1, 0
	flat_load_b64 v[4:5], v1, s[6:7]
.LBB34_2:
	v_mov_b64_e32 v[2:3], s[2:3]
	s_and_not1_b32 vcc_lo, exec_lo, s5
	s_cbranch_vccnz .LBB34_4
; %bb.3:
	s_wait_xcnt 0x0
	v_mov_b32_e32 v1, 0
	flat_load_b64 v[2:3], v1, s[2:3]
.LBB34_4:
	s_wait_loadcnt_dscnt 0x0
	v_cmp_neq_f64_e32 vcc_lo, 0, v[4:5]
	s_delay_alu instid0(VALU_DEP_2) | instskip(SKIP_1) | instid1(SALU_CYCLE_1)
	v_cmp_neq_f64_e64 s2, 1.0, v[2:3]
	s_or_b32 s2, vcc_lo, s2
	s_and_saveexec_b32 s3, s2
	s_cbranch_execz .LBB34_14
; %bb.5:
	s_bfe_u32 s5, ttmp6, 0x4000c
	s_load_b64 s[2:3], s[0:1], 0x10
	s_add_co_i32 s5, s5, 1
	s_and_b32 s6, ttmp6, 15
	s_mul_i32 s5, ttmp9, s5
	s_getreg_b32 s7, hwreg(HW_REG_IB_STS2, 6, 4)
	v_lshrrev_b32_e32 v1, 5, v0
	s_add_co_i32 s6, s6, s5
	s_cmp_eq_u32 s7, 0
	s_cselect_b32 s5, ttmp9, s6
	s_delay_alu instid0(VALU_DEP_1) | instid1(SALU_CYCLE_1)
	v_lshl_or_b32 v6, s5, 3, v1
	s_mov_b32 s5, 0
	s_delay_alu instid0(VALU_DEP_1) | instskip(SKIP_1) | instid1(VALU_DEP_1)
	v_ashrrev_i32_e32 v7, 31, v6
	s_wait_kmcnt 0x0
	v_cmp_gt_i64_e32 vcc_lo, s[2:3], v[6:7]
	s_and_b32 exec_lo, exec_lo, vcc_lo
	s_cbranch_execz .LBB34_14
; %bb.6:
	s_clause 0x1
	s_load_b128 s[8:11], s[0:1], 0x18
	s_load_b32 s2, s[0:1], 0x28
	v_and_b32_e32 v0, 31, v0
	s_wait_kmcnt 0x0
	s_load_b32 s2, s[10:11], s2 offset:0x0 scale_offset
	s_wait_kmcnt 0x0
	v_add_nc_u32_e32 v1, s2, v6
	s_load_b64 s[2:3], s[0:1], 0x38
	global_load_b32 v6, v1, s[8:9] scale_offset
	s_wait_xcnt 0x0
	v_mov_b32_e32 v1, 0
	s_delay_alu instid0(VALU_DEP_1) | instskip(SKIP_3) | instid1(VALU_DEP_1)
	v_sub_nc_u64_e64 v[12:13], v[0:1], s[4:5]
	s_wait_loadcnt 0x0
	v_ashrrev_i32_e32 v7, 31, v6
	s_wait_kmcnt 0x0
	v_lshl_add_u64 v[8:9], v[6:7], 3, s[2:3]
	global_load_b128 v[8:11], v[8:9], off
	s_wait_loadcnt 0x0
	v_sub_nc_u64_e64 v[10:11], v[10:11], s[4:5]
	v_add_nc_u64_e32 v[12:13], v[8:9], v[12:13]
	v_mov_b64_e32 v[8:9], 0
	s_mov_b32 s5, exec_lo
	s_delay_alu instid0(VALU_DEP_2)
	v_cmpx_lt_i64_e64 v[12:13], v[10:11]
	s_cbranch_execz .LBB34_10
; %bb.7:
	s_clause 0x1
	s_load_b128 s[8:11], s[0:1], 0x40
	s_load_b64 s[2:3], s[0:1], 0x50
	v_mov_b64_e32 v[8:9], 0
	s_mov_b32 s6, 0
	s_wait_kmcnt 0x0
	v_lshl_add_u64 v[14:15], v[12:13], 3, s[10:11]
	v_lshl_add_u64 v[16:17], v[12:13], 2, s[8:9]
.LBB34_8:                               ; =>This Inner Loop Header: Depth=1
	global_load_b32 v1, v[16:17], off
	global_load_b64 v[18:19], v[14:15], off
	v_add_nc_u64_e32 v[12:13], 32, v[12:13]
	s_wait_xcnt 0x0
	v_add_nc_u64_e32 v[14:15], 0x100, v[14:15]
	v_add_nc_u64_e32 v[16:17], 0x80, v[16:17]
	s_delay_alu instid0(VALU_DEP_3)
	v_cmp_ge_i64_e32 vcc_lo, v[12:13], v[10:11]
	s_or_b32 s6, vcc_lo, s6
	s_wait_loadcnt 0x1
	v_subrev_nc_u32_e32 v1, s4, v1
	s_wait_loadcnt 0x0
	v_mul_f64_e32 v[18:19], v[4:5], v[18:19]
	global_load_b64 v[20:21], v1, s[2:3] scale_offset
	s_wait_loadcnt 0x0
	v_fmac_f64_e32 v[8:9], v[18:19], v[20:21]
	s_and_not1_b32 exec_lo, exec_lo, s6
	s_cbranch_execnz .LBB34_8
; %bb.9:
	s_or_b32 exec_lo, exec_lo, s6
.LBB34_10:
	s_delay_alu instid0(SALU_CYCLE_1) | instskip(SKIP_2) | instid1(VALU_DEP_1)
	s_or_b32 exec_lo, exec_lo, s5
	v_mbcnt_lo_u32_b32 v1, -1, 0
	s_load_b64 s[0:1], s[0:1], 0x60
	v_xor_b32_e32 v4, 16, v1
	s_delay_alu instid0(VALU_DEP_1) | instskip(SKIP_1) | instid1(VALU_DEP_1)
	v_cmp_gt_i32_e32 vcc_lo, 32, v4
	v_cndmask_b32_e32 v4, v1, v4, vcc_lo
	v_lshlrev_b32_e32 v5, 2, v4
	ds_bpermute_b32 v4, v5, v8
	ds_bpermute_b32 v5, v5, v9
	s_wait_dscnt 0x0
	v_add_f64_e32 v[4:5], v[8:9], v[4:5]
	v_xor_b32_e32 v8, 8, v1
	s_delay_alu instid0(VALU_DEP_1) | instskip(SKIP_1) | instid1(VALU_DEP_1)
	v_cmp_gt_i32_e32 vcc_lo, 32, v8
	v_cndmask_b32_e32 v8, v1, v8, vcc_lo
	v_lshlrev_b32_e32 v9, 2, v8
	ds_bpermute_b32 v8, v9, v4
	ds_bpermute_b32 v9, v9, v5
	s_wait_dscnt 0x0
	v_add_f64_e32 v[4:5], v[4:5], v[8:9]
	;; [unrolled: 9-line block ×4, first 2 shown]
	v_xor_b32_e32 v8, 1, v1
	s_delay_alu instid0(VALU_DEP_1) | instskip(SKIP_2) | instid1(VALU_DEP_2)
	v_cmp_gt_i32_e32 vcc_lo, 32, v8
	v_cndmask_b32_e32 v1, v1, v8, vcc_lo
	v_cmp_eq_u32_e32 vcc_lo, 31, v0
	v_lshlrev_b32_e32 v1, 2, v1
	ds_bpermute_b32 v8, v1, v4
	ds_bpermute_b32 v9, v1, v5
	s_and_b32 exec_lo, exec_lo, vcc_lo
	s_cbranch_execz .LBB34_14
; %bb.11:
	s_wait_dscnt 0x0
	v_add_f64_e32 v[0:1], v[4:5], v[8:9]
	s_wait_kmcnt 0x0
	v_lshl_add_u64 v[4:5], v[6:7], 3, s[0:1]
	s_mov_b32 s0, exec_lo
	v_cmpx_neq_f64_e32 0, v[2:3]
	s_cbranch_execz .LBB34_13
; %bb.12:
	global_load_b64 v[6:7], v[4:5], off
	s_wait_loadcnt 0x0
	v_fmac_f64_e32 v[0:1], v[2:3], v[6:7]
.LBB34_13:
	s_or_b32 exec_lo, exec_lo, s0
	global_store_b64 v[4:5], v[0:1], off
.LBB34_14:
	s_endpgm
	.section	.rodata,"a",@progbits
	.p2align	6, 0x0
	.amdhsa_kernel _ZN9rocsparseL41csrmvn_lrb_medium_rows_warp_reduce_kernelILj256ELj32EliddddEEvbT1_lPT2_S3_jNS_24const_host_device_scalarIT6_EEPKS1_PKS2_PKT3_PKT4_S6_PT5_21rocsparse_index_base_b
		.amdhsa_group_segment_fixed_size 0
		.amdhsa_private_segment_fixed_size 0
		.amdhsa_kernarg_size 112
		.amdhsa_user_sgpr_count 2
		.amdhsa_user_sgpr_dispatch_ptr 0
		.amdhsa_user_sgpr_queue_ptr 0
		.amdhsa_user_sgpr_kernarg_segment_ptr 1
		.amdhsa_user_sgpr_dispatch_id 0
		.amdhsa_user_sgpr_kernarg_preload_length 0
		.amdhsa_user_sgpr_kernarg_preload_offset 0
		.amdhsa_user_sgpr_private_segment_size 0
		.amdhsa_wavefront_size32 1
		.amdhsa_uses_dynamic_stack 0
		.amdhsa_enable_private_segment 0
		.amdhsa_system_sgpr_workgroup_id_x 1
		.amdhsa_system_sgpr_workgroup_id_y 0
		.amdhsa_system_sgpr_workgroup_id_z 0
		.amdhsa_system_sgpr_workgroup_info 0
		.amdhsa_system_vgpr_workitem_id 0
		.amdhsa_next_free_vgpr 22
		.amdhsa_next_free_sgpr 12
		.amdhsa_named_barrier_count 0
		.amdhsa_reserve_vcc 1
		.amdhsa_float_round_mode_32 0
		.amdhsa_float_round_mode_16_64 0
		.amdhsa_float_denorm_mode_32 3
		.amdhsa_float_denorm_mode_16_64 3
		.amdhsa_fp16_overflow 0
		.amdhsa_memory_ordered 1
		.amdhsa_forward_progress 1
		.amdhsa_inst_pref_size 7
		.amdhsa_round_robin_scheduling 0
		.amdhsa_exception_fp_ieee_invalid_op 0
		.amdhsa_exception_fp_denorm_src 0
		.amdhsa_exception_fp_ieee_div_zero 0
		.amdhsa_exception_fp_ieee_overflow 0
		.amdhsa_exception_fp_ieee_underflow 0
		.amdhsa_exception_fp_ieee_inexact 0
		.amdhsa_exception_int_div_zero 0
	.end_amdhsa_kernel
	.section	.text._ZN9rocsparseL41csrmvn_lrb_medium_rows_warp_reduce_kernelILj256ELj32EliddddEEvbT1_lPT2_S3_jNS_24const_host_device_scalarIT6_EEPKS1_PKS2_PKT3_PKT4_S6_PT5_21rocsparse_index_base_b,"axG",@progbits,_ZN9rocsparseL41csrmvn_lrb_medium_rows_warp_reduce_kernelILj256ELj32EliddddEEvbT1_lPT2_S3_jNS_24const_host_device_scalarIT6_EEPKS1_PKS2_PKT3_PKT4_S6_PT5_21rocsparse_index_base_b,comdat
.Lfunc_end34:
	.size	_ZN9rocsparseL41csrmvn_lrb_medium_rows_warp_reduce_kernelILj256ELj32EliddddEEvbT1_lPT2_S3_jNS_24const_host_device_scalarIT6_EEPKS1_PKS2_PKT3_PKT4_S6_PT5_21rocsparse_index_base_b, .Lfunc_end34-_ZN9rocsparseL41csrmvn_lrb_medium_rows_warp_reduce_kernelILj256ELj32EliddddEEvbT1_lPT2_S3_jNS_24const_host_device_scalarIT6_EEPKS1_PKS2_PKT3_PKT4_S6_PT5_21rocsparse_index_base_b
                                        ; -- End function
	.set _ZN9rocsparseL41csrmvn_lrb_medium_rows_warp_reduce_kernelILj256ELj32EliddddEEvbT1_lPT2_S3_jNS_24const_host_device_scalarIT6_EEPKS1_PKS2_PKT3_PKT4_S6_PT5_21rocsparse_index_base_b.num_vgpr, 22
	.set _ZN9rocsparseL41csrmvn_lrb_medium_rows_warp_reduce_kernelILj256ELj32EliddddEEvbT1_lPT2_S3_jNS_24const_host_device_scalarIT6_EEPKS1_PKS2_PKT3_PKT4_S6_PT5_21rocsparse_index_base_b.num_agpr, 0
	.set _ZN9rocsparseL41csrmvn_lrb_medium_rows_warp_reduce_kernelILj256ELj32EliddddEEvbT1_lPT2_S3_jNS_24const_host_device_scalarIT6_EEPKS1_PKS2_PKT3_PKT4_S6_PT5_21rocsparse_index_base_b.numbered_sgpr, 12
	.set _ZN9rocsparseL41csrmvn_lrb_medium_rows_warp_reduce_kernelILj256ELj32EliddddEEvbT1_lPT2_S3_jNS_24const_host_device_scalarIT6_EEPKS1_PKS2_PKT3_PKT4_S6_PT5_21rocsparse_index_base_b.num_named_barrier, 0
	.set _ZN9rocsparseL41csrmvn_lrb_medium_rows_warp_reduce_kernelILj256ELj32EliddddEEvbT1_lPT2_S3_jNS_24const_host_device_scalarIT6_EEPKS1_PKS2_PKT3_PKT4_S6_PT5_21rocsparse_index_base_b.private_seg_size, 0
	.set _ZN9rocsparseL41csrmvn_lrb_medium_rows_warp_reduce_kernelILj256ELj32EliddddEEvbT1_lPT2_S3_jNS_24const_host_device_scalarIT6_EEPKS1_PKS2_PKT3_PKT4_S6_PT5_21rocsparse_index_base_b.uses_vcc, 1
	.set _ZN9rocsparseL41csrmvn_lrb_medium_rows_warp_reduce_kernelILj256ELj32EliddddEEvbT1_lPT2_S3_jNS_24const_host_device_scalarIT6_EEPKS1_PKS2_PKT3_PKT4_S6_PT5_21rocsparse_index_base_b.uses_flat_scratch, 0
	.set _ZN9rocsparseL41csrmvn_lrb_medium_rows_warp_reduce_kernelILj256ELj32EliddddEEvbT1_lPT2_S3_jNS_24const_host_device_scalarIT6_EEPKS1_PKS2_PKT3_PKT4_S6_PT5_21rocsparse_index_base_b.has_dyn_sized_stack, 0
	.set _ZN9rocsparseL41csrmvn_lrb_medium_rows_warp_reduce_kernelILj256ELj32EliddddEEvbT1_lPT2_S3_jNS_24const_host_device_scalarIT6_EEPKS1_PKS2_PKT3_PKT4_S6_PT5_21rocsparse_index_base_b.has_recursion, 0
	.set _ZN9rocsparseL41csrmvn_lrb_medium_rows_warp_reduce_kernelILj256ELj32EliddddEEvbT1_lPT2_S3_jNS_24const_host_device_scalarIT6_EEPKS1_PKS2_PKT3_PKT4_S6_PT5_21rocsparse_index_base_b.has_indirect_call, 0
	.section	.AMDGPU.csdata,"",@progbits
; Kernel info:
; codeLenInByte = 860
; TotalNumSgprs: 14
; NumVgprs: 22
; ScratchSize: 0
; MemoryBound: 0
; FloatMode: 240
; IeeeMode: 1
; LDSByteSize: 0 bytes/workgroup (compile time only)
; SGPRBlocks: 0
; VGPRBlocks: 1
; NumSGPRsForWavesPerEU: 14
; NumVGPRsForWavesPerEU: 22
; NamedBarCnt: 0
; Occupancy: 16
; WaveLimiterHint : 1
; COMPUTE_PGM_RSRC2:SCRATCH_EN: 0
; COMPUTE_PGM_RSRC2:USER_SGPR: 2
; COMPUTE_PGM_RSRC2:TRAP_HANDLER: 0
; COMPUTE_PGM_RSRC2:TGID_X_EN: 1
; COMPUTE_PGM_RSRC2:TGID_Y_EN: 0
; COMPUTE_PGM_RSRC2:TGID_Z_EN: 0
; COMPUTE_PGM_RSRC2:TIDIG_COMP_CNT: 0
	.section	.text._ZN9rocsparseL41csrmvn_lrb_medium_rows_warp_reduce_kernelILj256ELj64EliddddEEvbT1_lPT2_S3_jNS_24const_host_device_scalarIT6_EEPKS1_PKS2_PKT3_PKT4_S6_PT5_21rocsparse_index_base_b,"axG",@progbits,_ZN9rocsparseL41csrmvn_lrb_medium_rows_warp_reduce_kernelILj256ELj64EliddddEEvbT1_lPT2_S3_jNS_24const_host_device_scalarIT6_EEPKS1_PKS2_PKT3_PKT4_S6_PT5_21rocsparse_index_base_b,comdat
	.globl	_ZN9rocsparseL41csrmvn_lrb_medium_rows_warp_reduce_kernelILj256ELj64EliddddEEvbT1_lPT2_S3_jNS_24const_host_device_scalarIT6_EEPKS1_PKS2_PKT3_PKT4_S6_PT5_21rocsparse_index_base_b ; -- Begin function _ZN9rocsparseL41csrmvn_lrb_medium_rows_warp_reduce_kernelILj256ELj64EliddddEEvbT1_lPT2_S3_jNS_24const_host_device_scalarIT6_EEPKS1_PKS2_PKT3_PKT4_S6_PT5_21rocsparse_index_base_b
	.p2align	8
	.type	_ZN9rocsparseL41csrmvn_lrb_medium_rows_warp_reduce_kernelILj256ELj64EliddddEEvbT1_lPT2_S3_jNS_24const_host_device_scalarIT6_EEPKS1_PKS2_PKT3_PKT4_S6_PT5_21rocsparse_index_base_b,@function
_ZN9rocsparseL41csrmvn_lrb_medium_rows_warp_reduce_kernelILj256ELj64EliddddEEvbT1_lPT2_S3_jNS_24const_host_device_scalarIT6_EEPKS1_PKS2_PKT3_PKT4_S6_PT5_21rocsparse_index_base_b: ; @_ZN9rocsparseL41csrmvn_lrb_medium_rows_warp_reduce_kernelILj256ELj64EliddddEEvbT1_lPT2_S3_jNS_24const_host_device_scalarIT6_EEPKS1_PKS2_PKT3_PKT4_S6_PT5_21rocsparse_index_base_b
; %bb.0:
	s_clause 0x2
	s_load_b64 s[4:5], s[0:1], 0x68
	s_load_b64 s[6:7], s[0:1], 0x30
	;; [unrolled: 1-line block ×3, first 2 shown]
	s_wait_kmcnt 0x0
	s_bitcmp1_b32 s5, 0
	v_mov_b64_e32 v[6:7], s[6:7]
	s_cselect_b32 s5, -1, 0
	s_delay_alu instid0(SALU_CYCLE_1)
	s_and_b32 vcc_lo, exec_lo, s5
	s_xor_b32 s5, s5, -1
	s_cbranch_vccnz .LBB35_2
; %bb.1:
	v_mov_b32_e32 v1, 0
	flat_load_b64 v[6:7], v1, s[6:7]
.LBB35_2:
	v_mov_b64_e32 v[2:3], s[2:3]
	s_and_not1_b32 vcc_lo, exec_lo, s5
	s_cbranch_vccnz .LBB35_4
; %bb.3:
	s_wait_xcnt 0x0
	v_mov_b32_e32 v1, 0
	flat_load_b64 v[2:3], v1, s[2:3]
.LBB35_4:
	s_wait_loadcnt_dscnt 0x0
	v_cmp_neq_f64_e32 vcc_lo, 0, v[6:7]
	s_delay_alu instid0(VALU_DEP_2) | instskip(SKIP_1) | instid1(SALU_CYCLE_1)
	v_cmp_neq_f64_e64 s2, 1.0, v[2:3]
	s_or_b32 s2, vcc_lo, s2
	s_and_saveexec_b32 s3, s2
	s_cbranch_execz .LBB35_14
; %bb.5:
	s_bfe_u32 s5, ttmp6, 0x4000c
	s_load_b64 s[2:3], s[0:1], 0x10
	s_add_co_i32 s5, s5, 1
	s_and_b32 s6, ttmp6, 15
	s_mul_i32 s5, ttmp9, s5
	s_getreg_b32 s7, hwreg(HW_REG_IB_STS2, 6, 4)
	v_lshrrev_b32_e32 v1, 6, v0
	s_add_co_i32 s6, s6, s5
	s_cmp_eq_u32 s7, 0
	s_cselect_b32 s5, ttmp9, s6
	s_delay_alu instid0(VALU_DEP_1) | instid1(SALU_CYCLE_1)
	v_lshl_or_b32 v4, s5, 2, v1
	s_mov_b32 s5, 0
	s_delay_alu instid0(VALU_DEP_1) | instskip(SKIP_1) | instid1(VALU_DEP_1)
	v_ashrrev_i32_e32 v5, 31, v4
	s_wait_kmcnt 0x0
	v_cmp_gt_i64_e32 vcc_lo, s[2:3], v[4:5]
	s_and_b32 exec_lo, exec_lo, vcc_lo
	s_cbranch_execz .LBB35_14
; %bb.6:
	s_clause 0x1
	s_load_b128 s[8:11], s[0:1], 0x18
	s_load_b32 s2, s[0:1], 0x28
	v_and_b32_e32 v0, 63, v0
	s_wait_kmcnt 0x0
	s_load_b32 s2, s[10:11], s2 offset:0x0 scale_offset
	s_wait_kmcnt 0x0
	v_add_nc_u32_e32 v1, s2, v4
	s_load_b64 s[2:3], s[0:1], 0x38
	global_load_b32 v4, v1, s[8:9] scale_offset
	s_wait_xcnt 0x0
	v_mov_b32_e32 v1, 0
	s_delay_alu instid0(VALU_DEP_1) | instskip(SKIP_3) | instid1(VALU_DEP_1)
	v_sub_nc_u64_e64 v[12:13], v[0:1], s[4:5]
	s_wait_loadcnt 0x0
	v_ashrrev_i32_e32 v5, 31, v4
	s_wait_kmcnt 0x0
	v_lshl_add_u64 v[8:9], v[4:5], 3, s[2:3]
	global_load_b128 v[8:11], v[8:9], off
	s_wait_loadcnt 0x0
	v_sub_nc_u64_e64 v[10:11], v[10:11], s[4:5]
	v_add_nc_u64_e32 v[12:13], v[8:9], v[12:13]
	v_mov_b64_e32 v[8:9], 0
	s_mov_b32 s5, exec_lo
	s_delay_alu instid0(VALU_DEP_2)
	v_cmpx_lt_i64_e64 v[12:13], v[10:11]
	s_cbranch_execz .LBB35_10
; %bb.7:
	s_clause 0x1
	s_load_b128 s[8:11], s[0:1], 0x40
	s_load_b64 s[2:3], s[0:1], 0x50
	v_mov_b64_e32 v[8:9], 0
	s_mov_b32 s6, 0
	s_wait_kmcnt 0x0
	v_lshl_add_u64 v[14:15], v[12:13], 3, s[10:11]
	v_lshl_add_u64 v[16:17], v[12:13], 2, s[8:9]
.LBB35_8:                               ; =>This Inner Loop Header: Depth=1
	global_load_b32 v1, v[16:17], off
	global_load_b64 v[18:19], v[14:15], off
	v_add_nc_u64_e32 v[12:13], 64, v[12:13]
	s_wait_xcnt 0x0
	v_add_nc_u64_e32 v[14:15], 0x200, v[14:15]
	v_add_nc_u64_e32 v[16:17], 0x100, v[16:17]
	s_delay_alu instid0(VALU_DEP_3)
	v_cmp_ge_i64_e32 vcc_lo, v[12:13], v[10:11]
	s_or_b32 s6, vcc_lo, s6
	s_wait_loadcnt 0x1
	v_subrev_nc_u32_e32 v1, s4, v1
	s_wait_loadcnt 0x0
	v_mul_f64_e32 v[18:19], v[6:7], v[18:19]
	global_load_b64 v[20:21], v1, s[2:3] scale_offset
	s_wait_loadcnt 0x0
	v_fmac_f64_e32 v[8:9], v[18:19], v[20:21]
	s_and_not1_b32 exec_lo, exec_lo, s6
	s_cbranch_execnz .LBB35_8
; %bb.9:
	s_or_b32 exec_lo, exec_lo, s6
.LBB35_10:
	s_delay_alu instid0(SALU_CYCLE_1) | instskip(SKIP_2) | instid1(VALU_DEP_1)
	s_or_b32 exec_lo, exec_lo, s5
	v_mbcnt_lo_u32_b32 v1, -1, 0
	s_load_b64 s[0:1], s[0:1], 0x60
	v_or_b32_e32 v6, 32, v1
	s_delay_alu instid0(VALU_DEP_1) | instskip(SKIP_1) | instid1(VALU_DEP_1)
	v_cmp_gt_i32_e32 vcc_lo, 32, v6
	v_cndmask_b32_e32 v6, v1, v6, vcc_lo
	v_lshlrev_b32_e32 v7, 2, v6
	ds_bpermute_b32 v6, v7, v8
	ds_bpermute_b32 v7, v7, v9
	s_wait_dscnt 0x0
	v_dual_add_f64 v[6:7], v[8:9], v[6:7] :: v_dual_bitop2_b32 v8, 16, v1 bitop3:0x14
	s_delay_alu instid0(VALU_DEP_1) | instskip(SKIP_1) | instid1(VALU_DEP_1)
	v_cmp_gt_i32_e32 vcc_lo, 32, v8
	v_cndmask_b32_e32 v8, v1, v8, vcc_lo
	v_lshlrev_b32_e32 v9, 2, v8
	ds_bpermute_b32 v8, v9, v6
	ds_bpermute_b32 v9, v9, v7
	s_wait_dscnt 0x0
	v_add_f64_e32 v[6:7], v[6:7], v[8:9]
	v_xor_b32_e32 v8, 8, v1
	s_delay_alu instid0(VALU_DEP_1) | instskip(SKIP_1) | instid1(VALU_DEP_1)
	v_cmp_gt_i32_e32 vcc_lo, 32, v8
	v_cndmask_b32_e32 v8, v1, v8, vcc_lo
	v_lshlrev_b32_e32 v9, 2, v8
	ds_bpermute_b32 v8, v9, v6
	ds_bpermute_b32 v9, v9, v7
	s_wait_dscnt 0x0
	v_add_f64_e32 v[6:7], v[6:7], v[8:9]
	v_xor_b32_e32 v8, 4, v1
	;; [unrolled: 9-line block ×4, first 2 shown]
	s_delay_alu instid0(VALU_DEP_1) | instskip(SKIP_2) | instid1(VALU_DEP_2)
	v_cmp_gt_i32_e32 vcc_lo, 32, v8
	v_cndmask_b32_e32 v1, v1, v8, vcc_lo
	v_cmp_eq_u32_e32 vcc_lo, 63, v0
	v_lshlrev_b32_e32 v1, 2, v1
	ds_bpermute_b32 v8, v1, v6
	ds_bpermute_b32 v9, v1, v7
	s_and_b32 exec_lo, exec_lo, vcc_lo
	s_cbranch_execz .LBB35_14
; %bb.11:
	s_wait_dscnt 0x0
	v_add_f64_e32 v[0:1], v[6:7], v[8:9]
	s_wait_kmcnt 0x0
	v_lshl_add_u64 v[4:5], v[4:5], 3, s[0:1]
	s_mov_b32 s0, exec_lo
	v_cmpx_neq_f64_e32 0, v[2:3]
	s_cbranch_execz .LBB35_13
; %bb.12:
	global_load_b64 v[6:7], v[4:5], off
	s_wait_loadcnt 0x0
	v_fmac_f64_e32 v[0:1], v[2:3], v[6:7]
.LBB35_13:
	s_or_b32 exec_lo, exec_lo, s0
	global_store_b64 v[4:5], v[0:1], off
.LBB35_14:
	s_endpgm
	.section	.rodata,"a",@progbits
	.p2align	6, 0x0
	.amdhsa_kernel _ZN9rocsparseL41csrmvn_lrb_medium_rows_warp_reduce_kernelILj256ELj64EliddddEEvbT1_lPT2_S3_jNS_24const_host_device_scalarIT6_EEPKS1_PKS2_PKT3_PKT4_S6_PT5_21rocsparse_index_base_b
		.amdhsa_group_segment_fixed_size 0
		.amdhsa_private_segment_fixed_size 0
		.amdhsa_kernarg_size 112
		.amdhsa_user_sgpr_count 2
		.amdhsa_user_sgpr_dispatch_ptr 0
		.amdhsa_user_sgpr_queue_ptr 0
		.amdhsa_user_sgpr_kernarg_segment_ptr 1
		.amdhsa_user_sgpr_dispatch_id 0
		.amdhsa_user_sgpr_kernarg_preload_length 0
		.amdhsa_user_sgpr_kernarg_preload_offset 0
		.amdhsa_user_sgpr_private_segment_size 0
		.amdhsa_wavefront_size32 1
		.amdhsa_uses_dynamic_stack 0
		.amdhsa_enable_private_segment 0
		.amdhsa_system_sgpr_workgroup_id_x 1
		.amdhsa_system_sgpr_workgroup_id_y 0
		.amdhsa_system_sgpr_workgroup_id_z 0
		.amdhsa_system_sgpr_workgroup_info 0
		.amdhsa_system_vgpr_workitem_id 0
		.amdhsa_next_free_vgpr 22
		.amdhsa_next_free_sgpr 12
		.amdhsa_named_barrier_count 0
		.amdhsa_reserve_vcc 1
		.amdhsa_float_round_mode_32 0
		.amdhsa_float_round_mode_16_64 0
		.amdhsa_float_denorm_mode_32 3
		.amdhsa_float_denorm_mode_16_64 3
		.amdhsa_fp16_overflow 0
		.amdhsa_memory_ordered 1
		.amdhsa_forward_progress 1
		.amdhsa_inst_pref_size 8
		.amdhsa_round_robin_scheduling 0
		.amdhsa_exception_fp_ieee_invalid_op 0
		.amdhsa_exception_fp_denorm_src 0
		.amdhsa_exception_fp_ieee_div_zero 0
		.amdhsa_exception_fp_ieee_overflow 0
		.amdhsa_exception_fp_ieee_underflow 0
		.amdhsa_exception_fp_ieee_inexact 0
		.amdhsa_exception_int_div_zero 0
	.end_amdhsa_kernel
	.section	.text._ZN9rocsparseL41csrmvn_lrb_medium_rows_warp_reduce_kernelILj256ELj64EliddddEEvbT1_lPT2_S3_jNS_24const_host_device_scalarIT6_EEPKS1_PKS2_PKT3_PKT4_S6_PT5_21rocsparse_index_base_b,"axG",@progbits,_ZN9rocsparseL41csrmvn_lrb_medium_rows_warp_reduce_kernelILj256ELj64EliddddEEvbT1_lPT2_S3_jNS_24const_host_device_scalarIT6_EEPKS1_PKS2_PKT3_PKT4_S6_PT5_21rocsparse_index_base_b,comdat
.Lfunc_end35:
	.size	_ZN9rocsparseL41csrmvn_lrb_medium_rows_warp_reduce_kernelILj256ELj64EliddddEEvbT1_lPT2_S3_jNS_24const_host_device_scalarIT6_EEPKS1_PKS2_PKT3_PKT4_S6_PT5_21rocsparse_index_base_b, .Lfunc_end35-_ZN9rocsparseL41csrmvn_lrb_medium_rows_warp_reduce_kernelILj256ELj64EliddddEEvbT1_lPT2_S3_jNS_24const_host_device_scalarIT6_EEPKS1_PKS2_PKT3_PKT4_S6_PT5_21rocsparse_index_base_b
                                        ; -- End function
	.set _ZN9rocsparseL41csrmvn_lrb_medium_rows_warp_reduce_kernelILj256ELj64EliddddEEvbT1_lPT2_S3_jNS_24const_host_device_scalarIT6_EEPKS1_PKS2_PKT3_PKT4_S6_PT5_21rocsparse_index_base_b.num_vgpr, 22
	.set _ZN9rocsparseL41csrmvn_lrb_medium_rows_warp_reduce_kernelILj256ELj64EliddddEEvbT1_lPT2_S3_jNS_24const_host_device_scalarIT6_EEPKS1_PKS2_PKT3_PKT4_S6_PT5_21rocsparse_index_base_b.num_agpr, 0
	.set _ZN9rocsparseL41csrmvn_lrb_medium_rows_warp_reduce_kernelILj256ELj64EliddddEEvbT1_lPT2_S3_jNS_24const_host_device_scalarIT6_EEPKS1_PKS2_PKT3_PKT4_S6_PT5_21rocsparse_index_base_b.numbered_sgpr, 12
	.set _ZN9rocsparseL41csrmvn_lrb_medium_rows_warp_reduce_kernelILj256ELj64EliddddEEvbT1_lPT2_S3_jNS_24const_host_device_scalarIT6_EEPKS1_PKS2_PKT3_PKT4_S6_PT5_21rocsparse_index_base_b.num_named_barrier, 0
	.set _ZN9rocsparseL41csrmvn_lrb_medium_rows_warp_reduce_kernelILj256ELj64EliddddEEvbT1_lPT2_S3_jNS_24const_host_device_scalarIT6_EEPKS1_PKS2_PKT3_PKT4_S6_PT5_21rocsparse_index_base_b.private_seg_size, 0
	.set _ZN9rocsparseL41csrmvn_lrb_medium_rows_warp_reduce_kernelILj256ELj64EliddddEEvbT1_lPT2_S3_jNS_24const_host_device_scalarIT6_EEPKS1_PKS2_PKT3_PKT4_S6_PT5_21rocsparse_index_base_b.uses_vcc, 1
	.set _ZN9rocsparseL41csrmvn_lrb_medium_rows_warp_reduce_kernelILj256ELj64EliddddEEvbT1_lPT2_S3_jNS_24const_host_device_scalarIT6_EEPKS1_PKS2_PKT3_PKT4_S6_PT5_21rocsparse_index_base_b.uses_flat_scratch, 0
	.set _ZN9rocsparseL41csrmvn_lrb_medium_rows_warp_reduce_kernelILj256ELj64EliddddEEvbT1_lPT2_S3_jNS_24const_host_device_scalarIT6_EEPKS1_PKS2_PKT3_PKT4_S6_PT5_21rocsparse_index_base_b.has_dyn_sized_stack, 0
	.set _ZN9rocsparseL41csrmvn_lrb_medium_rows_warp_reduce_kernelILj256ELj64EliddddEEvbT1_lPT2_S3_jNS_24const_host_device_scalarIT6_EEPKS1_PKS2_PKT3_PKT4_S6_PT5_21rocsparse_index_base_b.has_recursion, 0
	.set _ZN9rocsparseL41csrmvn_lrb_medium_rows_warp_reduce_kernelILj256ELj64EliddddEEvbT1_lPT2_S3_jNS_24const_host_device_scalarIT6_EEPKS1_PKS2_PKT3_PKT4_S6_PT5_21rocsparse_index_base_b.has_indirect_call, 0
	.section	.AMDGPU.csdata,"",@progbits
; Kernel info:
; codeLenInByte = 908
; TotalNumSgprs: 14
; NumVgprs: 22
; ScratchSize: 0
; MemoryBound: 0
; FloatMode: 240
; IeeeMode: 1
; LDSByteSize: 0 bytes/workgroup (compile time only)
; SGPRBlocks: 0
; VGPRBlocks: 1
; NumSGPRsForWavesPerEU: 14
; NumVGPRsForWavesPerEU: 22
; NamedBarCnt: 0
; Occupancy: 16
; WaveLimiterHint : 1
; COMPUTE_PGM_RSRC2:SCRATCH_EN: 0
; COMPUTE_PGM_RSRC2:USER_SGPR: 2
; COMPUTE_PGM_RSRC2:TRAP_HANDLER: 0
; COMPUTE_PGM_RSRC2:TGID_X_EN: 1
; COMPUTE_PGM_RSRC2:TGID_Y_EN: 0
; COMPUTE_PGM_RSRC2:TGID_Z_EN: 0
; COMPUTE_PGM_RSRC2:TIDIG_COMP_CNT: 0
	.section	.text._ZN9rocsparseL29csrmvn_lrb_medium_rows_kernelILj256EliddddEEvbT0_PT1_S3_jNS_24const_host_device_scalarIT5_EEPKS1_PKS2_PKT2_PKT3_S6_PT4_21rocsparse_index_base_b,"axG",@progbits,_ZN9rocsparseL29csrmvn_lrb_medium_rows_kernelILj256EliddddEEvbT0_PT1_S3_jNS_24const_host_device_scalarIT5_EEPKS1_PKS2_PKT2_PKT3_S6_PT4_21rocsparse_index_base_b,comdat
	.globl	_ZN9rocsparseL29csrmvn_lrb_medium_rows_kernelILj256EliddddEEvbT0_PT1_S3_jNS_24const_host_device_scalarIT5_EEPKS1_PKS2_PKT2_PKT3_S6_PT4_21rocsparse_index_base_b ; -- Begin function _ZN9rocsparseL29csrmvn_lrb_medium_rows_kernelILj256EliddddEEvbT0_PT1_S3_jNS_24const_host_device_scalarIT5_EEPKS1_PKS2_PKT2_PKT3_S6_PT4_21rocsparse_index_base_b
	.p2align	8
	.type	_ZN9rocsparseL29csrmvn_lrb_medium_rows_kernelILj256EliddddEEvbT0_PT1_S3_jNS_24const_host_device_scalarIT5_EEPKS1_PKS2_PKT2_PKT3_S6_PT4_21rocsparse_index_base_b,@function
_ZN9rocsparseL29csrmvn_lrb_medium_rows_kernelILj256EliddddEEvbT0_PT1_S3_jNS_24const_host_device_scalarIT5_EEPKS1_PKS2_PKT2_PKT3_S6_PT4_21rocsparse_index_base_b: ; @_ZN9rocsparseL29csrmvn_lrb_medium_rows_kernelILj256EliddddEEvbT0_PT1_S3_jNS_24const_host_device_scalarIT5_EEPKS1_PKS2_PKT2_PKT3_S6_PT4_21rocsparse_index_base_b
; %bb.0:
	s_clause 0x2
	s_load_b64 s[4:5], s[0:1], 0x60
	s_load_b64 s[6:7], s[0:1], 0x28
	;; [unrolled: 1-line block ×3, first 2 shown]
	s_wait_kmcnt 0x0
	s_bitcmp1_b32 s5, 0
	v_mov_b64_e32 v[4:5], s[6:7]
	s_cselect_b32 s5, -1, 0
	s_delay_alu instid0(SALU_CYCLE_1)
	s_and_b32 vcc_lo, exec_lo, s5
	s_xor_b32 s5, s5, -1
	s_cbranch_vccnz .LBB36_2
; %bb.1:
	v_mov_b32_e32 v1, 0
	flat_load_b64 v[4:5], v1, s[6:7]
.LBB36_2:
	v_mov_b64_e32 v[2:3], s[2:3]
	s_and_not1_b32 vcc_lo, exec_lo, s5
	s_cbranch_vccnz .LBB36_4
; %bb.3:
	s_wait_xcnt 0x0
	v_mov_b32_e32 v1, 0
	flat_load_b64 v[2:3], v1, s[2:3]
.LBB36_4:
	s_wait_loadcnt_dscnt 0x0
	v_cmp_neq_f64_e32 vcc_lo, 0, v[4:5]
	s_delay_alu instid0(VALU_DEP_2) | instskip(SKIP_1) | instid1(SALU_CYCLE_1)
	v_cmp_neq_f64_e64 s2, 1.0, v[2:3]
	s_or_b32 s2, vcc_lo, s2
	s_and_saveexec_b32 s3, s2
	s_cbranch_execz .LBB36_29
; %bb.5:
	s_clause 0x1
	s_load_b128 s[8:11], s[0:1], 0x10
	s_load_b32 s2, s[0:1], 0x20
	s_bfe_u32 s3, ttmp6, 0x4000c
	s_and_b32 s5, ttmp6, 15
	s_add_co_i32 s3, s3, 1
	s_getreg_b32 s6, hwreg(HW_REG_IB_STS2, 6, 4)
	s_mul_i32 s3, ttmp9, s3
	v_mov_b32_e32 v1, 0
	s_add_co_i32 s5, s5, s3
	s_cmp_eq_u32 s6, 0
	s_cselect_b32 s3, ttmp9, s5
	s_mov_b32 s5, 0
	s_delay_alu instid0(SALU_CYCLE_1) | instskip(SKIP_4) | instid1(SALU_CYCLE_1)
	v_sub_nc_u64_e64 v[6:7], v[0:1], s[4:5]
	s_wait_kmcnt 0x0
	s_load_b32 s2, s[10:11], s2 offset:0x0 scale_offset
	s_wait_kmcnt 0x0
	s_add_co_i32 s2, s2, s3
	s_ashr_i32 s3, s2, 31
	s_delay_alu instid0(SALU_CYCLE_1) | instskip(NEXT) | instid1(SALU_CYCLE_1)
	s_lshl_b64 s[2:3], s[2:3], 2
	s_add_nc_u64 s[2:3], s[8:9], s[2:3]
	s_load_b32 s6, s[2:3], 0x0
	s_load_b64 s[8:9], s[0:1], 0x30
	s_wait_kmcnt 0x0
	s_ashr_i32 s7, s6, 31
	s_delay_alu instid0(SALU_CYCLE_1) | instskip(NEXT) | instid1(SALU_CYCLE_1)
	s_lshl_b64 s[2:3], s[6:7], 3
	s_add_nc_u64 s[6:7], s[8:9], s[2:3]
	s_load_b128 s[8:11], s[6:7], 0x0
	s_wait_kmcnt 0x0
	v_add_nc_u64_e32 v[8:9], s[8:9], v[6:7]
	v_mov_b64_e32 v[6:7], 0
	s_sub_nc_u64 s[6:7], s[10:11], s[4:5]
	s_mov_b32 s10, exec_lo
	s_delay_alu instid0(VALU_DEP_2)
	v_cmpx_gt_i64_e64 s[6:7], v[8:9]
	s_cbranch_execz .LBB36_9
; %bb.6:
	s_clause 0x1
	s_load_b128 s[12:15], s[0:1], 0x38
	s_load_b64 s[8:9], s[0:1], 0x48
	v_mov_b64_e32 v[6:7], 0
	s_wait_kmcnt 0x0
	v_lshl_add_u64 v[10:11], v[8:9], 3, s[14:15]
	v_lshl_add_u64 v[12:13], v[8:9], 2, s[12:13]
.LBB36_7:                               ; =>This Inner Loop Header: Depth=1
	global_load_b32 v1, v[12:13], off
	global_load_b64 v[14:15], v[10:11], off
	v_add_nc_u64_e32 v[8:9], 0x100, v[8:9]
	s_wait_xcnt 0x0
	v_add_nc_u64_e32 v[10:11], 0x800, v[10:11]
	v_add_nc_u64_e32 v[12:13], 0x400, v[12:13]
	s_delay_alu instid0(VALU_DEP_3)
	v_cmp_le_i64_e32 vcc_lo, s[6:7], v[8:9]
	s_or_b32 s5, vcc_lo, s5
	s_wait_loadcnt 0x1
	v_subrev_nc_u32_e32 v1, s4, v1
	s_wait_loadcnt 0x0
	v_mul_f64_e32 v[14:15], v[4:5], v[14:15]
	global_load_b64 v[16:17], v1, s[8:9] scale_offset
	s_wait_loadcnt 0x0
	v_fmac_f64_e32 v[6:7], v[14:15], v[16:17]
	s_and_not1_b32 exec_lo, exec_lo, s5
	s_cbranch_execnz .LBB36_7
; %bb.8:
	s_or_b32 exec_lo, exec_lo, s5
.LBB36_9:
	s_delay_alu instid0(SALU_CYCLE_1)
	s_or_b32 exec_lo, exec_lo, s10
	s_load_b64 s[0:1], s[0:1], 0x58
	v_lshlrev_b32_e32 v1, 3, v0
	s_mov_b32 s4, exec_lo
	ds_store_b64 v1, v[6:7]
	s_wait_dscnt 0x0
	s_barrier_signal -1
	s_barrier_wait -1
	v_cmpx_gt_u32_e32 0x80, v0
	s_cbranch_execz .LBB36_11
; %bb.10:
	ds_load_2addr_stride64_b64 v[4:7], v1 offset1:2
	s_wait_dscnt 0x0
	v_add_f64_e32 v[4:5], v[4:5], v[6:7]
	ds_store_b64 v1, v[4:5]
.LBB36_11:
	s_or_b32 exec_lo, exec_lo, s4
	s_delay_alu instid0(SALU_CYCLE_1)
	s_mov_b32 s4, exec_lo
	s_wait_dscnt 0x0
	s_barrier_signal -1
	s_barrier_wait -1
	v_cmpx_gt_u32_e32 64, v0
	s_cbranch_execz .LBB36_13
; %bb.12:
	ds_load_2addr_stride64_b64 v[4:7], v1 offset1:1
	s_wait_dscnt 0x0
	v_add_f64_e32 v[4:5], v[4:5], v[6:7]
	ds_store_b64 v1, v[4:5]
.LBB36_13:
	s_or_b32 exec_lo, exec_lo, s4
	s_delay_alu instid0(SALU_CYCLE_1)
	s_mov_b32 s4, exec_lo
	s_wait_dscnt 0x0
	s_barrier_signal -1
	s_barrier_wait -1
	v_cmpx_gt_u32_e32 32, v0
	s_cbranch_execz .LBB36_15
; %bb.14:
	ds_load_2addr_b64 v[4:7], v1 offset1:32
	s_wait_dscnt 0x0
	v_add_f64_e32 v[4:5], v[4:5], v[6:7]
	ds_store_b64 v1, v[4:5]
.LBB36_15:
	s_or_b32 exec_lo, exec_lo, s4
	s_delay_alu instid0(SALU_CYCLE_1)
	s_mov_b32 s4, exec_lo
	s_wait_dscnt 0x0
	s_barrier_signal -1
	s_barrier_wait -1
	v_cmpx_gt_u32_e32 16, v0
	s_cbranch_execz .LBB36_17
; %bb.16:
	ds_load_2addr_b64 v[4:7], v1 offset1:16
	s_wait_dscnt 0x0
	v_add_f64_e32 v[4:5], v[4:5], v[6:7]
	ds_store_b64 v1, v[4:5]
.LBB36_17:
	;; [unrolled: 14-line block ×5, first 2 shown]
	s_or_b32 exec_lo, exec_lo, s4
	v_cmp_eq_u32_e32 vcc_lo, 0, v0
	s_wait_dscnt 0x0
	s_barrier_signal -1
	s_barrier_wait -1
	s_and_saveexec_b32 s4, vcc_lo
	s_cbranch_execz .LBB36_25
; %bb.24:
	v_mov_b32_e32 v8, 0
	ds_load_b128 v[4:7], v8
	s_wait_dscnt 0x0
	v_add_f64_e32 v[0:1], v[4:5], v[6:7]
	ds_store_b64 v8, v[0:1]
.LBB36_25:
	s_or_b32 exec_lo, exec_lo, s4
	s_wait_dscnt 0x0
	s_barrier_signal -1
	s_barrier_wait -1
	s_and_b32 exec_lo, exec_lo, vcc_lo
	s_cbranch_execz .LBB36_29
; %bb.26:
	v_mov_b32_e32 v4, 0
	s_mov_b32 s4, exec_lo
	ds_load_b64 v[0:1], v4
	v_cmpx_neq_f64_e32 0, v[2:3]
	s_cbranch_execz .LBB36_28
; %bb.27:
	s_wait_kmcnt 0x0
	s_add_nc_u64 s[6:7], s[0:1], s[2:3]
	s_load_b64 s[6:7], s[6:7], 0x0
	s_wait_dscnt 0x0
	s_wait_kmcnt 0x0
	v_fmac_f64_e32 v[0:1], s[6:7], v[2:3]
.LBB36_28:
	s_or_b32 exec_lo, exec_lo, s4
	s_wait_kmcnt 0x0
	s_add_nc_u64 s[0:1], s[0:1], s[2:3]
	s_wait_dscnt 0x0
	global_store_b64 v4, v[0:1], s[0:1]
.LBB36_29:
	s_endpgm
	.section	.rodata,"a",@progbits
	.p2align	6, 0x0
	.amdhsa_kernel _ZN9rocsparseL29csrmvn_lrb_medium_rows_kernelILj256EliddddEEvbT0_PT1_S3_jNS_24const_host_device_scalarIT5_EEPKS1_PKS2_PKT2_PKT3_S6_PT4_21rocsparse_index_base_b
		.amdhsa_group_segment_fixed_size 2048
		.amdhsa_private_segment_fixed_size 0
		.amdhsa_kernarg_size 104
		.amdhsa_user_sgpr_count 2
		.amdhsa_user_sgpr_dispatch_ptr 0
		.amdhsa_user_sgpr_queue_ptr 0
		.amdhsa_user_sgpr_kernarg_segment_ptr 1
		.amdhsa_user_sgpr_dispatch_id 0
		.amdhsa_user_sgpr_kernarg_preload_length 0
		.amdhsa_user_sgpr_kernarg_preload_offset 0
		.amdhsa_user_sgpr_private_segment_size 0
		.amdhsa_wavefront_size32 1
		.amdhsa_uses_dynamic_stack 0
		.amdhsa_enable_private_segment 0
		.amdhsa_system_sgpr_workgroup_id_x 1
		.amdhsa_system_sgpr_workgroup_id_y 0
		.amdhsa_system_sgpr_workgroup_id_z 0
		.amdhsa_system_sgpr_workgroup_info 0
		.amdhsa_system_vgpr_workitem_id 0
		.amdhsa_next_free_vgpr 18
		.amdhsa_next_free_sgpr 16
		.amdhsa_named_barrier_count 0
		.amdhsa_reserve_vcc 1
		.amdhsa_float_round_mode_32 0
		.amdhsa_float_round_mode_16_64 0
		.amdhsa_float_denorm_mode_32 3
		.amdhsa_float_denorm_mode_16_64 3
		.amdhsa_fp16_overflow 0
		.amdhsa_memory_ordered 1
		.amdhsa_forward_progress 1
		.amdhsa_inst_pref_size 9
		.amdhsa_round_robin_scheduling 0
		.amdhsa_exception_fp_ieee_invalid_op 0
		.amdhsa_exception_fp_denorm_src 0
		.amdhsa_exception_fp_ieee_div_zero 0
		.amdhsa_exception_fp_ieee_overflow 0
		.amdhsa_exception_fp_ieee_underflow 0
		.amdhsa_exception_fp_ieee_inexact 0
		.amdhsa_exception_int_div_zero 0
	.end_amdhsa_kernel
	.section	.text._ZN9rocsparseL29csrmvn_lrb_medium_rows_kernelILj256EliddddEEvbT0_PT1_S3_jNS_24const_host_device_scalarIT5_EEPKS1_PKS2_PKT2_PKT3_S6_PT4_21rocsparse_index_base_b,"axG",@progbits,_ZN9rocsparseL29csrmvn_lrb_medium_rows_kernelILj256EliddddEEvbT0_PT1_S3_jNS_24const_host_device_scalarIT5_EEPKS1_PKS2_PKT2_PKT3_S6_PT4_21rocsparse_index_base_b,comdat
.Lfunc_end36:
	.size	_ZN9rocsparseL29csrmvn_lrb_medium_rows_kernelILj256EliddddEEvbT0_PT1_S3_jNS_24const_host_device_scalarIT5_EEPKS1_PKS2_PKT2_PKT3_S6_PT4_21rocsparse_index_base_b, .Lfunc_end36-_ZN9rocsparseL29csrmvn_lrb_medium_rows_kernelILj256EliddddEEvbT0_PT1_S3_jNS_24const_host_device_scalarIT5_EEPKS1_PKS2_PKT2_PKT3_S6_PT4_21rocsparse_index_base_b
                                        ; -- End function
	.set _ZN9rocsparseL29csrmvn_lrb_medium_rows_kernelILj256EliddddEEvbT0_PT1_S3_jNS_24const_host_device_scalarIT5_EEPKS1_PKS2_PKT2_PKT3_S6_PT4_21rocsparse_index_base_b.num_vgpr, 18
	.set _ZN9rocsparseL29csrmvn_lrb_medium_rows_kernelILj256EliddddEEvbT0_PT1_S3_jNS_24const_host_device_scalarIT5_EEPKS1_PKS2_PKT2_PKT3_S6_PT4_21rocsparse_index_base_b.num_agpr, 0
	.set _ZN9rocsparseL29csrmvn_lrb_medium_rows_kernelILj256EliddddEEvbT0_PT1_S3_jNS_24const_host_device_scalarIT5_EEPKS1_PKS2_PKT2_PKT3_S6_PT4_21rocsparse_index_base_b.numbered_sgpr, 16
	.set _ZN9rocsparseL29csrmvn_lrb_medium_rows_kernelILj256EliddddEEvbT0_PT1_S3_jNS_24const_host_device_scalarIT5_EEPKS1_PKS2_PKT2_PKT3_S6_PT4_21rocsparse_index_base_b.num_named_barrier, 0
	.set _ZN9rocsparseL29csrmvn_lrb_medium_rows_kernelILj256EliddddEEvbT0_PT1_S3_jNS_24const_host_device_scalarIT5_EEPKS1_PKS2_PKT2_PKT3_S6_PT4_21rocsparse_index_base_b.private_seg_size, 0
	.set _ZN9rocsparseL29csrmvn_lrb_medium_rows_kernelILj256EliddddEEvbT0_PT1_S3_jNS_24const_host_device_scalarIT5_EEPKS1_PKS2_PKT2_PKT3_S6_PT4_21rocsparse_index_base_b.uses_vcc, 1
	.set _ZN9rocsparseL29csrmvn_lrb_medium_rows_kernelILj256EliddddEEvbT0_PT1_S3_jNS_24const_host_device_scalarIT5_EEPKS1_PKS2_PKT2_PKT3_S6_PT4_21rocsparse_index_base_b.uses_flat_scratch, 0
	.set _ZN9rocsparseL29csrmvn_lrb_medium_rows_kernelILj256EliddddEEvbT0_PT1_S3_jNS_24const_host_device_scalarIT5_EEPKS1_PKS2_PKT2_PKT3_S6_PT4_21rocsparse_index_base_b.has_dyn_sized_stack, 0
	.set _ZN9rocsparseL29csrmvn_lrb_medium_rows_kernelILj256EliddddEEvbT0_PT1_S3_jNS_24const_host_device_scalarIT5_EEPKS1_PKS2_PKT2_PKT3_S6_PT4_21rocsparse_index_base_b.has_recursion, 0
	.set _ZN9rocsparseL29csrmvn_lrb_medium_rows_kernelILj256EliddddEEvbT0_PT1_S3_jNS_24const_host_device_scalarIT5_EEPKS1_PKS2_PKT2_PKT3_S6_PT4_21rocsparse_index_base_b.has_indirect_call, 0
	.section	.AMDGPU.csdata,"",@progbits
; Kernel info:
; codeLenInByte = 1068
; TotalNumSgprs: 18
; NumVgprs: 18
; ScratchSize: 0
; MemoryBound: 0
; FloatMode: 240
; IeeeMode: 1
; LDSByteSize: 2048 bytes/workgroup (compile time only)
; SGPRBlocks: 0
; VGPRBlocks: 1
; NumSGPRsForWavesPerEU: 18
; NumVGPRsForWavesPerEU: 18
; NamedBarCnt: 0
; Occupancy: 16
; WaveLimiterHint : 1
; COMPUTE_PGM_RSRC2:SCRATCH_EN: 0
; COMPUTE_PGM_RSRC2:USER_SGPR: 2
; COMPUTE_PGM_RSRC2:TRAP_HANDLER: 0
; COMPUTE_PGM_RSRC2:TGID_X_EN: 1
; COMPUTE_PGM_RSRC2:TGID_Y_EN: 0
; COMPUTE_PGM_RSRC2:TGID_Z_EN: 0
; COMPUTE_PGM_RSRC2:TIDIG_COMP_CNT: 0
	.section	.text._ZN9rocsparseL27csrmvn_lrb_long_rows_kernelIliddddEEvbT_PjPT0_S4_jNS_24const_host_device_scalarIT4_EEPKS1_PKS3_PKT1_PKT2_S7_PT3_21rocsparse_index_base_b,"axG",@progbits,_ZN9rocsparseL27csrmvn_lrb_long_rows_kernelIliddddEEvbT_PjPT0_S4_jNS_24const_host_device_scalarIT4_EEPKS1_PKS3_PKT1_PKT2_S7_PT3_21rocsparse_index_base_b,comdat
	.globl	_ZN9rocsparseL27csrmvn_lrb_long_rows_kernelIliddddEEvbT_PjPT0_S4_jNS_24const_host_device_scalarIT4_EEPKS1_PKS3_PKT1_PKT2_S7_PT3_21rocsparse_index_base_b ; -- Begin function _ZN9rocsparseL27csrmvn_lrb_long_rows_kernelIliddddEEvbT_PjPT0_S4_jNS_24const_host_device_scalarIT4_EEPKS1_PKS3_PKT1_PKT2_S7_PT3_21rocsparse_index_base_b
	.p2align	8
	.type	_ZN9rocsparseL27csrmvn_lrb_long_rows_kernelIliddddEEvbT_PjPT0_S4_jNS_24const_host_device_scalarIT4_EEPKS1_PKS3_PKT1_PKT2_S7_PT3_21rocsparse_index_base_b,@function
_ZN9rocsparseL27csrmvn_lrb_long_rows_kernelIliddddEEvbT_PjPT0_S4_jNS_24const_host_device_scalarIT4_EEPKS1_PKS3_PKT1_PKT2_S7_PT3_21rocsparse_index_base_b: ; @_ZN9rocsparseL27csrmvn_lrb_long_rows_kernelIliddddEEvbT_PjPT0_S4_jNS_24const_host_device_scalarIT4_EEPKS1_PKS3_PKT1_PKT2_S7_PT3_21rocsparse_index_base_b
; %bb.0:
	s_clause 0x2
	s_load_b64 s[16:17], s[0:1], 0x68
	s_load_b64 s[4:5], s[0:1], 0x30
	;; [unrolled: 1-line block ×3, first 2 shown]
	s_wait_kmcnt 0x0
	s_bitcmp1_b32 s17, 0
	v_mov_b64_e32 v[2:3], s[4:5]
	s_cselect_b32 s6, -1, 0
	s_delay_alu instid0(SALU_CYCLE_1)
	s_and_b32 vcc_lo, exec_lo, s6
	s_xor_b32 s6, s6, -1
	s_cbranch_vccnz .LBB37_2
; %bb.1:
	v_mov_b32_e32 v1, 0
	flat_load_b64 v[2:3], v1, s[4:5]
.LBB37_2:
	v_mov_b64_e32 v[4:5], s[2:3]
	s_and_not1_b32 vcc_lo, exec_lo, s6
	s_cbranch_vccnz .LBB37_4
; %bb.3:
	s_wait_xcnt 0x0
	v_mov_b32_e32 v1, 0
	flat_load_b64 v[4:5], v1, s[2:3]
.LBB37_4:
	s_wait_loadcnt_dscnt 0x0
	v_cmp_neq_f64_e32 vcc_lo, 0, v[2:3]
	s_delay_alu instid0(VALU_DEP_2) | instskip(SKIP_1) | instid1(SALU_CYCLE_1)
	v_cmp_neq_f64_e64 s2, 1.0, v[4:5]
	s_or_b32 s2, vcc_lo, s2
	s_and_saveexec_b32 s3, s2
	s_cbranch_execz .LBB37_38
; %bb.5:
	s_load_b96 s[4:6], s[0:1], 0x20
	s_bfe_u32 s8, ttmp6, 0x4000c
	s_and_b32 s7, ttmp6, 15
	s_add_co_i32 s8, s8, 1
	s_getreg_b32 s9, hwreg(HW_REG_IB_STS2, 6, 4)
	s_mul_i32 s8, ttmp9, s8
	v_mov_b64_e32 v[6:7], 0
	s_add_co_i32 s7, s7, s8
	s_wait_kmcnt 0x0
	s_lshl_b32 s2, -1, s6
	s_load_b32 s8, s[4:5], s6 offset:0x0 scale_offset
	s_not_b32 s2, s2
	s_delay_alu instid0(SALU_CYCLE_1) | instskip(NEXT) | instid1(SALU_CYCLE_1)
	s_mul_hi_u32 s2, s2, 0x2aaaaaab
	s_lshr_b32 s2, s2, 7
	s_delay_alu instid0(SALU_CYCLE_1) | instskip(SKIP_2) | instid1(SALU_CYCLE_3)
	s_add_co_i32 s17, s2, 1
	s_not_b32 s2, s2
	s_cvt_f32_u32 s3, s17
	v_rcp_iflag_f32_e32 v1, s3
	v_nop
	s_delay_alu instid0(TRANS32_DEP_1) | instskip(SKIP_1) | instid1(SALU_CYCLE_3)
	v_readfirstlane_b32 s3, v1
	s_mul_f32 s3, s3, 0x4f7ffffe
	s_cvt_u32_f32 s3, s3
	s_delay_alu instid0(SALU_CYCLE_3) | instskip(NEXT) | instid1(SALU_CYCLE_1)
	s_mul_i32 s2, s2, s3
	s_mul_hi_u32 s2, s3, s2
	s_delay_alu instid0(SALU_CYCLE_1)
	s_add_co_i32 s3, s3, s2
	s_cmp_eq_u32 s9, 0
	s_cselect_b32 s18, ttmp9, s7
	s_wait_xcnt 0x0
	s_load_b128 s[4:7], s[0:1], 0x10
	s_mul_hi_u32 s2, s18, s3
	s_delay_alu instid0(SALU_CYCLE_1) | instskip(SKIP_2) | instid1(SALU_CYCLE_1)
	s_mul_i32 s3, s2, s17
	s_add_co_i32 s9, s2, 1
	s_sub_co_i32 s3, s18, s3
	s_sub_co_i32 s10, s3, s17
	s_cmp_ge_u32 s3, s17
	s_cselect_b32 s2, s9, s2
	s_cselect_b32 s3, s10, s3
	s_add_co_i32 s9, s2, 1
	s_cmp_ge_u32 s3, s17
	s_cselect_b32 s20, s9, s2
	s_ashr_i32 s19, s18, 31
	s_wait_kmcnt 0x0
	s_add_co_i32 s2, s20, s8
	s_delay_alu instid0(SALU_CYCLE_1) | instskip(NEXT) | instid1(SALU_CYCLE_1)
	s_ashr_i32 s3, s2, 31
	s_lshl_b64 s[2:3], s[2:3], 2
	s_delay_alu instid0(SALU_CYCLE_1)
	s_add_nc_u64 s[6:7], s[6:7], s[2:3]
	s_load_b32 s8, s[6:7], 0x0
	s_clause 0x1
	s_load_b64 s[10:11], s[0:1], 0x38
	s_load_b64 s[2:3], s[0:1], 0x60
	s_wait_kmcnt 0x0
	s_ashr_i32 s9, s8, 31
	s_delay_alu instid0(SALU_CYCLE_1)
	s_lshl_b64 s[6:7], s[8:9], 3
	s_lshl_b64 s[8:9], s[18:19], 2
	s_add_nc_u64 s[14:15], s[10:11], s[6:7]
	s_add_nc_u64 s[12:13], s[4:5], s[8:9]
	s_load_b128 s[8:11], s[14:15], 0x0
	s_load_b32 s22, s[12:13], 0x0
	s_wait_xcnt 0x0
	s_mul_i32 s14, s20, s17
	s_mov_b32 s19, 0
	s_sub_co_i32 s15, s18, s14
	s_mov_b32 s17, exec_lo
	v_or_b32_e32 v1, s15, v0
	s_delay_alu instid0(VALU_DEP_1)
	v_cmpx_eq_u32_e32 0, v1
	s_cbranch_execz .LBB37_9
; %bb.6:
	v_add_f64_e32 v[4:5], -1.0, v[4:5]
	s_add_nc_u64 s[20:21], s[2:3], s[6:7]
	s_mov_b32 s18, exec_lo
	s_load_b64 s[20:21], s[20:21], 0x0
	v_mbcnt_lo_u32_b32 v1, s18, 0
	s_mov_b32 s23, exec_lo
	global_wb scope:SCOPE_DEV
	s_wait_storecnt 0x0
	global_inv scope:SCOPE_DEV
	v_cmpx_eq_u32_e32 0, v1
	s_cbranch_execz .LBB37_8
; %bb.7:
	s_bcnt1_i32_b32 s18, s18
	s_delay_alu instid0(SALU_CYCLE_1) | instskip(NEXT) | instid1(SALU_CYCLE_1)
	s_and_b32 s18, s18, 1
	v_dual_mov_b32 v1, s14 :: v_dual_mov_b32 v6, s18
	s_wait_xcnt 0x0
	global_atomic_xor_b32 v1, v6, s[4:5] scale_offset scope:SCOPE_DEV
.LBB37_8:
	s_wait_xcnt 0x0
	s_or_b32 exec_lo, exec_lo, s23
	s_wait_kmcnt 0x0
	v_mul_f64_e32 v[6:7], s[20:21], v[4:5]
.LBB37_9:
	s_or_b32 exec_lo, exec_lo, s17
	s_mul_i32 s18, s15, 3
	s_mov_b32 s17, s19
	s_lshl_b64 s[18:19], s[18:19], 8
	s_wait_kmcnt 0x0
	s_sub_nc_u64 s[8:9], s[8:9], s[16:17]
	s_sub_nc_u64 s[10:11], s[10:11], s[16:17]
	s_add_nc_u64 s[8:9], s[8:9], s[18:19]
	v_mov_b32_e32 v1, 0
	s_add_nc_u64 s[18:19], s[8:9], 0x300
	s_delay_alu instid0(SALU_CYCLE_1) | instskip(SKIP_1) | instid1(VALU_DEP_2)
	v_min_i64 v[4:5], s[18:19], s[10:11]
	s_mov_b32 s10, exec_lo
	v_add_nc_u64_e32 v[8:9], s[8:9], v[0:1]
	s_delay_alu instid0(VALU_DEP_1)
	v_cmpx_lt_i64_e64 v[8:9], v[4:5]
	s_cbranch_execz .LBB37_13
; %bb.10:
	s_clause 0x1
	s_load_b128 s[24:27], s[0:1], 0x40
	s_load_b64 s[8:9], s[0:1], 0x50
	s_wait_xcnt 0x0
	s_mov_b32 s0, 0
	s_wait_kmcnt 0x0
	v_lshl_add_u64 v[10:11], v[8:9], 3, s[26:27]
	v_lshl_add_u64 v[12:13], v[8:9], 2, s[24:25]
.LBB37_11:                              ; =>This Inner Loop Header: Depth=1
	global_load_b32 v1, v[12:13], off
	global_load_b64 v[14:15], v[10:11], off
	v_add_nc_u64_e32 v[8:9], 0x100, v[8:9]
	s_wait_xcnt 0x0
	v_add_nc_u64_e32 v[10:11], 0x800, v[10:11]
	v_add_nc_u64_e32 v[12:13], 0x400, v[12:13]
	s_delay_alu instid0(VALU_DEP_3)
	v_cmp_ge_i64_e32 vcc_lo, v[8:9], v[4:5]
	s_or_b32 s0, vcc_lo, s0
	s_wait_loadcnt 0x1
	v_subrev_nc_u32_e32 v1, s16, v1
	s_wait_loadcnt 0x0
	v_mul_f64_e32 v[14:15], v[2:3], v[14:15]
	global_load_b64 v[16:17], v1, s[8:9] scale_offset
	s_wait_loadcnt 0x0
	v_fmac_f64_e32 v[6:7], v[14:15], v[16:17]
	s_wait_xcnt 0x0
	s_and_not1_b32 exec_lo, exec_lo, s0
	s_cbranch_execnz .LBB37_11
; %bb.12:
	s_or_b32 exec_lo, exec_lo, s0
.LBB37_13:
	s_delay_alu instid0(SALU_CYCLE_1)
	s_or_b32 exec_lo, exec_lo, s10
	v_lshlrev_b32_e32 v1, 3, v0
	s_mov_b32 s0, exec_lo
	ds_store_b64 v1, v[6:7]
	s_wait_storecnt 0x0
	s_wait_loadcnt_dscnt 0x0
	s_barrier_signal -1
	s_barrier_wait -1
	v_cmpx_gt_u32_e32 0x80, v0
	s_cbranch_execz .LBB37_15
; %bb.14:
	ds_load_2addr_stride64_b64 v[2:5], v1 offset1:2
	s_wait_dscnt 0x0
	v_add_f64_e32 v[2:3], v[2:3], v[4:5]
	ds_store_b64 v1, v[2:3]
.LBB37_15:
	s_or_b32 exec_lo, exec_lo, s0
	s_delay_alu instid0(SALU_CYCLE_1)
	s_mov_b32 s0, exec_lo
	s_wait_dscnt 0x0
	s_barrier_signal -1
	s_barrier_wait -1
	v_cmpx_gt_u32_e32 64, v0
	s_cbranch_execz .LBB37_17
; %bb.16:
	ds_load_2addr_stride64_b64 v[2:5], v1 offset1:1
	s_wait_dscnt 0x0
	v_add_f64_e32 v[2:3], v[2:3], v[4:5]
	ds_store_b64 v1, v[2:3]
.LBB37_17:
	s_or_b32 exec_lo, exec_lo, s0
	s_delay_alu instid0(SALU_CYCLE_1)
	s_mov_b32 s0, exec_lo
	s_wait_dscnt 0x0
	s_barrier_signal -1
	s_barrier_wait -1
	v_cmpx_gt_u32_e32 32, v0
	s_cbranch_execz .LBB37_19
; %bb.18:
	ds_load_2addr_b64 v[2:5], v1 offset1:32
	s_wait_dscnt 0x0
	v_add_f64_e32 v[2:3], v[2:3], v[4:5]
	ds_store_b64 v1, v[2:3]
.LBB37_19:
	s_or_b32 exec_lo, exec_lo, s0
	s_delay_alu instid0(SALU_CYCLE_1)
	s_mov_b32 s0, exec_lo
	s_wait_dscnt 0x0
	s_barrier_signal -1
	s_barrier_wait -1
	v_cmpx_gt_u32_e32 16, v0
	s_cbranch_execz .LBB37_21
; %bb.20:
	ds_load_2addr_b64 v[2:5], v1 offset1:16
	s_wait_dscnt 0x0
	v_add_f64_e32 v[2:3], v[2:3], v[4:5]
	ds_store_b64 v1, v[2:3]
.LBB37_21:
	;; [unrolled: 14-line block ×5, first 2 shown]
	s_or_b32 exec_lo, exec_lo, s0
	v_cmp_eq_u32_e32 vcc_lo, 0, v0
	s_wait_dscnt 0x0
	s_barrier_signal -1
	s_barrier_wait -1
	s_and_saveexec_b32 s0, vcc_lo
	s_cbranch_execz .LBB37_29
; %bb.28:
	v_mov_b32_e32 v4, 0
	ds_load_b128 v[0:3], v4
	s_wait_dscnt 0x0
	v_add_f64_e32 v[0:1], v[0:1], v[2:3]
	ds_store_b64 v4, v[0:1]
.LBB37_29:
	s_or_b32 exec_lo, exec_lo, s0
	s_wait_dscnt 0x0
	s_barrier_signal -1
	s_barrier_wait -1
	s_and_b32 exec_lo, exec_lo, vcc_lo
	s_cbranch_execz .LBB37_38
; %bb.30:
	s_cmp_eq_u32 s15, 0
	s_cbranch_scc1 .LBB37_36
; %bb.31:
	s_ashr_i32 s15, s14, 31
	v_mov_b32_e32 v0, 0
	s_lshl_b64 s[0:1], s[14:15], 2
	s_delay_alu instid0(SALU_CYCLE_1)
	s_add_nc_u64 s[0:1], s[4:5], s[0:1]
	s_branch .LBB37_33
.LBB37_32:                              ;   in Loop: Header=BB37_33 Depth=1
	s_wait_xcnt 0x0
	s_or_b32 exec_lo, exec_lo, s4
	s_wait_loadcnt 0x0
	v_readfirstlane_b32 s4, v1
	s_cmp_eq_u32 s4, s22
	s_cbranch_scc0 .LBB37_35
.LBB37_33:                              ; =>This Inner Loop Header: Depth=1
	v_mbcnt_lo_u32_b32 v1, exec_lo, 0
	s_delay_alu instid0(VALU_DEP_1)
	v_cmp_eq_u32_e32 vcc_lo, 0, v1
                                        ; implicit-def: $vgpr1
	s_and_saveexec_b32 s4, vcc_lo
	s_cbranch_execz .LBB37_32
; %bb.34:                               ;   in Loop: Header=BB37_33 Depth=1
	global_load_b32 v1, v0, s[0:1] scope:SCOPE_DEV
	s_branch .LBB37_32
.LBB37_35:
	v_mov_b32_e32 v0, 0
	global_load_u16 v1, v0, s[12:13]
	s_wait_loadcnt 0x0
	v_xor_b32_e32 v1, 1, v1
	global_store_b16 v0, v1, s[12:13]
.LBB37_36:
	s_mov_b32 s0, exec_lo
	s_wait_xcnt 0x0
	v_mbcnt_lo_u32_b32 v0, s0, 0
	s_delay_alu instid0(VALU_DEP_1) | instskip(SKIP_1) | instid1(SALU_CYCLE_1)
	v_cmp_eq_u32_e32 vcc_lo, 0, v0
	s_and_b32 s1, exec_lo, vcc_lo
	s_mov_b32 exec_lo, s1
	s_cbranch_execz .LBB37_38
; %bb.37:
	s_bcnt1_i32_b32 s0, s0
	s_delay_alu instid0(SALU_CYCLE_1)
	v_cvt_f64_u32_e32 v[0:1], s0
	v_mov_b32_e32 v4, 0
	s_add_nc_u64 s[0:1], s[2:3], s[6:7]
	ds_load_b64 v[2:3], v4
	s_wait_dscnt 0x0
	v_mul_f64_e32 v[0:1], v[2:3], v[0:1]
	global_atomic_add_f64 v4, v[0:1], s[0:1] scope:SCOPE_DEV
.LBB37_38:
	s_endpgm
	.section	.rodata,"a",@progbits
	.p2align	6, 0x0
	.amdhsa_kernel _ZN9rocsparseL27csrmvn_lrb_long_rows_kernelIliddddEEvbT_PjPT0_S4_jNS_24const_host_device_scalarIT4_EEPKS1_PKS3_PKT1_PKT2_S7_PT3_21rocsparse_index_base_b
		.amdhsa_group_segment_fixed_size 2048
		.amdhsa_private_segment_fixed_size 0
		.amdhsa_kernarg_size 112
		.amdhsa_user_sgpr_count 2
		.amdhsa_user_sgpr_dispatch_ptr 0
		.amdhsa_user_sgpr_queue_ptr 0
		.amdhsa_user_sgpr_kernarg_segment_ptr 1
		.amdhsa_user_sgpr_dispatch_id 0
		.amdhsa_user_sgpr_kernarg_preload_length 0
		.amdhsa_user_sgpr_kernarg_preload_offset 0
		.amdhsa_user_sgpr_private_segment_size 0
		.amdhsa_wavefront_size32 1
		.amdhsa_uses_dynamic_stack 0
		.amdhsa_enable_private_segment 0
		.amdhsa_system_sgpr_workgroup_id_x 1
		.amdhsa_system_sgpr_workgroup_id_y 0
		.amdhsa_system_sgpr_workgroup_id_z 0
		.amdhsa_system_sgpr_workgroup_info 0
		.amdhsa_system_vgpr_workitem_id 0
		.amdhsa_next_free_vgpr 18
		.amdhsa_next_free_sgpr 28
		.amdhsa_named_barrier_count 0
		.amdhsa_reserve_vcc 1
		.amdhsa_float_round_mode_32 0
		.amdhsa_float_round_mode_16_64 0
		.amdhsa_float_denorm_mode_32 3
		.amdhsa_float_denorm_mode_16_64 3
		.amdhsa_fp16_overflow 0
		.amdhsa_memory_ordered 1
		.amdhsa_forward_progress 1
		.amdhsa_inst_pref_size 13
		.amdhsa_round_robin_scheduling 0
		.amdhsa_exception_fp_ieee_invalid_op 0
		.amdhsa_exception_fp_denorm_src 0
		.amdhsa_exception_fp_ieee_div_zero 0
		.amdhsa_exception_fp_ieee_overflow 0
		.amdhsa_exception_fp_ieee_underflow 0
		.amdhsa_exception_fp_ieee_inexact 0
		.amdhsa_exception_int_div_zero 0
	.end_amdhsa_kernel
	.section	.text._ZN9rocsparseL27csrmvn_lrb_long_rows_kernelIliddddEEvbT_PjPT0_S4_jNS_24const_host_device_scalarIT4_EEPKS1_PKS3_PKT1_PKT2_S7_PT3_21rocsparse_index_base_b,"axG",@progbits,_ZN9rocsparseL27csrmvn_lrb_long_rows_kernelIliddddEEvbT_PjPT0_S4_jNS_24const_host_device_scalarIT4_EEPKS1_PKS3_PKT1_PKT2_S7_PT3_21rocsparse_index_base_b,comdat
.Lfunc_end37:
	.size	_ZN9rocsparseL27csrmvn_lrb_long_rows_kernelIliddddEEvbT_PjPT0_S4_jNS_24const_host_device_scalarIT4_EEPKS1_PKS3_PKT1_PKT2_S7_PT3_21rocsparse_index_base_b, .Lfunc_end37-_ZN9rocsparseL27csrmvn_lrb_long_rows_kernelIliddddEEvbT_PjPT0_S4_jNS_24const_host_device_scalarIT4_EEPKS1_PKS3_PKT1_PKT2_S7_PT3_21rocsparse_index_base_b
                                        ; -- End function
	.set _ZN9rocsparseL27csrmvn_lrb_long_rows_kernelIliddddEEvbT_PjPT0_S4_jNS_24const_host_device_scalarIT4_EEPKS1_PKS3_PKT1_PKT2_S7_PT3_21rocsparse_index_base_b.num_vgpr, 18
	.set _ZN9rocsparseL27csrmvn_lrb_long_rows_kernelIliddddEEvbT_PjPT0_S4_jNS_24const_host_device_scalarIT4_EEPKS1_PKS3_PKT1_PKT2_S7_PT3_21rocsparse_index_base_b.num_agpr, 0
	.set _ZN9rocsparseL27csrmvn_lrb_long_rows_kernelIliddddEEvbT_PjPT0_S4_jNS_24const_host_device_scalarIT4_EEPKS1_PKS3_PKT1_PKT2_S7_PT3_21rocsparse_index_base_b.numbered_sgpr, 28
	.set _ZN9rocsparseL27csrmvn_lrb_long_rows_kernelIliddddEEvbT_PjPT0_S4_jNS_24const_host_device_scalarIT4_EEPKS1_PKS3_PKT1_PKT2_S7_PT3_21rocsparse_index_base_b.num_named_barrier, 0
	.set _ZN9rocsparseL27csrmvn_lrb_long_rows_kernelIliddddEEvbT_PjPT0_S4_jNS_24const_host_device_scalarIT4_EEPKS1_PKS3_PKT1_PKT2_S7_PT3_21rocsparse_index_base_b.private_seg_size, 0
	.set _ZN9rocsparseL27csrmvn_lrb_long_rows_kernelIliddddEEvbT_PjPT0_S4_jNS_24const_host_device_scalarIT4_EEPKS1_PKS3_PKT1_PKT2_S7_PT3_21rocsparse_index_base_b.uses_vcc, 1
	.set _ZN9rocsparseL27csrmvn_lrb_long_rows_kernelIliddddEEvbT_PjPT0_S4_jNS_24const_host_device_scalarIT4_EEPKS1_PKS3_PKT1_PKT2_S7_PT3_21rocsparse_index_base_b.uses_flat_scratch, 0
	.set _ZN9rocsparseL27csrmvn_lrb_long_rows_kernelIliddddEEvbT_PjPT0_S4_jNS_24const_host_device_scalarIT4_EEPKS1_PKS3_PKT1_PKT2_S7_PT3_21rocsparse_index_base_b.has_dyn_sized_stack, 0
	.set _ZN9rocsparseL27csrmvn_lrb_long_rows_kernelIliddddEEvbT_PjPT0_S4_jNS_24const_host_device_scalarIT4_EEPKS1_PKS3_PKT1_PKT2_S7_PT3_21rocsparse_index_base_b.has_recursion, 0
	.set _ZN9rocsparseL27csrmvn_lrb_long_rows_kernelIliddddEEvbT_PjPT0_S4_jNS_24const_host_device_scalarIT4_EEPKS1_PKS3_PKT1_PKT2_S7_PT3_21rocsparse_index_base_b.has_indirect_call, 0
	.section	.AMDGPU.csdata,"",@progbits
; Kernel info:
; codeLenInByte = 1564
; TotalNumSgprs: 30
; NumVgprs: 18
; ScratchSize: 0
; MemoryBound: 0
; FloatMode: 240
; IeeeMode: 1
; LDSByteSize: 2048 bytes/workgroup (compile time only)
; SGPRBlocks: 0
; VGPRBlocks: 1
; NumSGPRsForWavesPerEU: 30
; NumVGPRsForWavesPerEU: 18
; NamedBarCnt: 0
; Occupancy: 16
; WaveLimiterHint : 1
; COMPUTE_PGM_RSRC2:SCRATCH_EN: 0
; COMPUTE_PGM_RSRC2:USER_SGPR: 2
; COMPUTE_PGM_RSRC2:TRAP_HANDLER: 0
; COMPUTE_PGM_RSRC2:TGID_X_EN: 1
; COMPUTE_PGM_RSRC2:TGID_Y_EN: 0
; COMPUTE_PGM_RSRC2:TGID_Z_EN: 0
; COMPUTE_PGM_RSRC2:TIDIG_COMP_CNT: 0
	.section	.text._ZN9rocsparseL28csrmvn_lrb_short_rows_kernelIllddddEEvbT_PT0_S3_jNS_24const_host_device_scalarIT4_EEPKS1_PKS2_PKT1_PKT2_S6_PT3_21rocsparse_index_base_b,"axG",@progbits,_ZN9rocsparseL28csrmvn_lrb_short_rows_kernelIllddddEEvbT_PT0_S3_jNS_24const_host_device_scalarIT4_EEPKS1_PKS2_PKT1_PKT2_S6_PT3_21rocsparse_index_base_b,comdat
	.globl	_ZN9rocsparseL28csrmvn_lrb_short_rows_kernelIllddddEEvbT_PT0_S3_jNS_24const_host_device_scalarIT4_EEPKS1_PKS2_PKT1_PKT2_S6_PT3_21rocsparse_index_base_b ; -- Begin function _ZN9rocsparseL28csrmvn_lrb_short_rows_kernelIllddddEEvbT_PT0_S3_jNS_24const_host_device_scalarIT4_EEPKS1_PKS2_PKT1_PKT2_S6_PT3_21rocsparse_index_base_b
	.p2align	8
	.type	_ZN9rocsparseL28csrmvn_lrb_short_rows_kernelIllddddEEvbT_PT0_S3_jNS_24const_host_device_scalarIT4_EEPKS1_PKS2_PKT1_PKT2_S6_PT3_21rocsparse_index_base_b,@function
_ZN9rocsparseL28csrmvn_lrb_short_rows_kernelIllddddEEvbT_PT0_S3_jNS_24const_host_device_scalarIT4_EEPKS1_PKS2_PKT1_PKT2_S6_PT3_21rocsparse_index_base_b: ; @_ZN9rocsparseL28csrmvn_lrb_short_rows_kernelIllddddEEvbT_PT0_S3_jNS_24const_host_device_scalarIT4_EEPKS1_PKS2_PKT1_PKT2_S6_PT3_21rocsparse_index_base_b
; %bb.0:
	s_clause 0x2
	s_load_b64 s[16:17], s[0:1], 0x60
	s_load_b64 s[4:5], s[0:1], 0x28
	;; [unrolled: 1-line block ×3, first 2 shown]
	s_wait_kmcnt 0x0
	s_bitcmp1_b32 s17, 0
	v_mov_b64_e32 v[8:9], s[4:5]
	s_cselect_b32 s6, -1, 0
	s_delay_alu instid0(SALU_CYCLE_1)
	s_and_b32 vcc_lo, exec_lo, s6
	s_xor_b32 s6, s6, -1
	s_cbranch_vccnz .LBB38_2
; %bb.1:
	v_mov_b32_e32 v1, 0
	flat_load_b64 v[8:9], v1, s[4:5]
.LBB38_2:
	v_mov_b64_e32 v[6:7], s[2:3]
	s_and_not1_b32 vcc_lo, exec_lo, s6
	s_cbranch_vccnz .LBB38_4
; %bb.3:
	s_wait_xcnt 0x0
	v_mov_b32_e32 v1, 0
	flat_load_b64 v[6:7], v1, s[2:3]
.LBB38_4:
	s_wait_loadcnt_dscnt 0x0
	v_cmp_neq_f64_e32 vcc_lo, 0, v[8:9]
	s_delay_alu instid0(VALU_DEP_2) | instskip(SKIP_1) | instid1(SALU_CYCLE_1)
	v_cmp_neq_f64_e64 s2, 1.0, v[6:7]
	s_or_b32 s2, vcc_lo, s2
	s_and_saveexec_b32 s3, s2
	s_cbranch_execz .LBB38_18
; %bb.5:
	s_clause 0x1
	s_load_b32 s20, s[0:1], 0x20
	s_load_b128 s[12:15], s[0:1], 0x10
	s_mov_b32 s17, 0
	s_getreg_b32 s7, hwreg(HW_REG_IB_STS2, 6, 4)
	s_mov_b32 s3, s17
	s_wait_kmcnt 0x0
	s_add_co_i32 s2, s20, 1
	s_delay_alu instid0(SALU_CYCLE_1) | instskip(NEXT) | instid1(SALU_CYCLE_1)
	s_lshl_b64 s[2:3], s[2:3], 3
	s_add_nc_u64 s[4:5], s[14:15], s[2:3]
	s_clause 0x1
	s_load_b64 s[2:3], s[14:15], s20 offset:0x0 scale_offset
	s_load_b32 s6, s[4:5], 0x0
	s_wait_xcnt 0x0
	s_bfe_u32 s4, ttmp6, 0x4000c
	s_and_b32 s5, ttmp6, 15
	s_add_co_i32 s4, s4, 1
	s_delay_alu instid0(SALU_CYCLE_1) | instskip(NEXT) | instid1(SALU_CYCLE_1)
	s_mul_i32 s4, ttmp9, s4
	s_add_co_i32 s5, s5, s4
	s_wait_kmcnt 0x0
	s_sub_co_i32 s6, s6, s2
	s_cmp_eq_u32 s7, 0
	s_cselect_b32 s4, ttmp9, s5
	s_delay_alu instid0(SALU_CYCLE_1) | instskip(NEXT) | instid1(SALU_CYCLE_1)
	s_lshl_b32 s14, s4, 8
	s_add_co_i32 s4, s14, 0x100
	s_delay_alu instid0(SALU_CYCLE_1)
	s_min_u32 s15, s6, s4
	s_cmp_gt_u32 s20, 23
	s_cbranch_scc1 .LBB38_12
; %bb.6:
	s_load_b256 s[4:11], s[0:1], 0x30
	v_bfe_u32 v10, v0, 0, s20
	v_mov_b32_e32 v11, 0
	v_lshl_add_u32 v1, v0, 3, 0
	s_lshl_b64 s[18:19], s[2:3], 3
	s_lshl_b32 s21, 0x100, s20
	s_add_nc_u64 s[18:19], s[12:13], s[18:19]
	s_mov_b32 s22, s17
	s_branch .LBB38_9
.LBB38_7:                               ;   in Loop: Header=BB38_9 Depth=1
	s_or_b32 exec_lo, exec_lo, s24
	ds_store_b64 v1, v[4:5]
.LBB38_8:                               ;   in Loop: Header=BB38_9 Depth=1
	s_or_b32 exec_lo, exec_lo, s23
	v_add_nc_u32_e32 v1, 0x800, v1
	s_addk_co_i32 s22, 0x100
	s_delay_alu instid0(SALU_CYCLE_1)
	s_cmp_ge_u32 s22, s21
	s_cbranch_scc1 .LBB38_12
.LBB38_9:                               ; =>This Inner Loop Header: Depth=1
	v_add_nc_u32_e32 v2, s22, v0
	s_mov_b32 s23, exec_lo
	s_delay_alu instid0(VALU_DEP_1) | instskip(NEXT) | instid1(VALU_DEP_1)
	v_lshrrev_b32_e32 v2, s20, v2
	v_add_nc_u32_e32 v2, s14, v2
	s_delay_alu instid0(VALU_DEP_1)
	v_cmpx_gt_u32_e64 s15, v2
	s_cbranch_execz .LBB38_8
; %bb.10:                               ;   in Loop: Header=BB38_9 Depth=1
	global_load_b64 v[2:3], v2, s[18:19] scale_offset
	s_wait_loadcnt 0x0
	s_wait_kmcnt 0x0
	s_wait_xcnt 0x0
	v_lshl_add_u64 v[2:3], v[2:3], 3, s[4:5]
	global_load_b128 v[2:5], v[2:3], off
	s_wait_loadcnt 0x0
	v_sub_nc_u64_e32 v[4:5], v[4:5], v[2:3]
	s_delay_alu instid0(VALU_DEP_1)
	v_cmp_gt_i64_e32 vcc_lo, v[4:5], v[10:11]
	v_mov_b64_e32 v[4:5], 0
	s_wait_xcnt 0x0
	s_and_saveexec_b32 s24, vcc_lo
	s_cbranch_execz .LBB38_7
; %bb.11:                               ;   in Loop: Header=BB38_9 Depth=1
	v_sub_nc_u64_e64 v[2:3], v[2:3], s[16:17]
	s_delay_alu instid0(VALU_DEP_1) | instskip(NEXT) | instid1(VALU_DEP_1)
	v_add_nc_u64_e32 v[2:3], v[2:3], v[10:11]
	v_lshlrev_b64_e32 v[2:3], 3, v[2:3]
	s_delay_alu instid0(VALU_DEP_1)
	v_add_nc_u64_e32 v[4:5], s[6:7], v[2:3]
	v_add_nc_u64_e32 v[2:3], s[8:9], v[2:3]
	global_load_b64 v[4:5], v[4:5], off
	global_load_b64 v[2:3], v[2:3], off
	s_wait_loadcnt 0x1
	s_wait_xcnt 0x1
	v_sub_nc_u64_e64 v[4:5], v[4:5], s[16:17]
	s_wait_loadcnt 0x0
	s_wait_xcnt 0x0
	v_mul_f64_e32 v[2:3], v[8:9], v[2:3]
	s_delay_alu instid0(VALU_DEP_2)
	v_lshl_add_u64 v[4:5], v[4:5], 3, s[10:11]
	global_load_b64 v[4:5], v[4:5], off
	s_wait_loadcnt 0x0
	s_wait_xcnt 0x0
	v_mul_f64_e32 v[4:5], v[2:3], v[4:5]
	s_branch .LBB38_7
.LBB38_12:
	s_wait_kmcnt 0x0
	s_sub_co_i32 s4, s15, s14
	s_wait_dscnt 0x0
	v_cmp_gt_u32_e32 vcc_lo, s4, v0
	s_barrier_signal -1
	s_barrier_wait -1
	s_and_b32 exec_lo, exec_lo, vcc_lo
	s_cbranch_execz .LBB38_18
; %bb.13:
	s_lshl_b64 s[2:3], s[2:3], 3
	s_mov_b32 s15, 0
	s_add_nc_u64 s[2:3], s[12:13], s[2:3]
	s_lshl_b64 s[4:5], s[14:15], 3
	s_load_b64 s[0:1], s[0:1], 0x58
	s_add_nc_u64 s[2:3], s[2:3], s[4:5]
	v_lshlrev_b32_e32 v4, s20, v0
	global_load_b64 v[2:3], v0, s[2:3] scale_offset
	s_wait_xcnt 0x0
	v_mov_b64_e32 v[0:1], 0
	s_mov_b32 s2, 1
	v_lshl_add_u32 v4, v4, 3, 0
.LBB38_14:                              ; =>This Inner Loop Header: Depth=1
	ds_load_b64 v[8:9], v4
	v_add_nc_u32_e32 v4, 8, v4
	s_lshr_b32 s3, s2, s20
	s_add_co_i32 s2, s2, 1
	s_cmp_lg_u32 s3, 0
	s_wait_dscnt 0x0
	v_add_f64_e32 v[0:1], v[0:1], v[8:9]
	s_cbranch_scc0 .LBB38_14
; %bb.15:
	s_wait_loadcnt 0x0
	s_wait_kmcnt 0x0
	v_lshl_add_u64 v[2:3], v[2:3], 3, s[0:1]
	s_mov_b32 s0, exec_lo
	v_cmpx_neq_f64_e32 0, v[6:7]
	s_cbranch_execz .LBB38_17
; %bb.16:
	global_load_b64 v[4:5], v[2:3], off
	s_wait_loadcnt 0x0
	v_fmac_f64_e32 v[0:1], v[6:7], v[4:5]
.LBB38_17:
	s_or_b32 exec_lo, exec_lo, s0
	global_store_b64 v[2:3], v[0:1], off
.LBB38_18:
	s_endpgm
	.section	.rodata,"a",@progbits
	.p2align	6, 0x0
	.amdhsa_kernel _ZN9rocsparseL28csrmvn_lrb_short_rows_kernelIllddddEEvbT_PT0_S3_jNS_24const_host_device_scalarIT4_EEPKS1_PKS2_PKT1_PKT2_S6_PT3_21rocsparse_index_base_b
		.amdhsa_group_segment_fixed_size 0
		.amdhsa_private_segment_fixed_size 0
		.amdhsa_kernarg_size 104
		.amdhsa_user_sgpr_count 2
		.amdhsa_user_sgpr_dispatch_ptr 0
		.amdhsa_user_sgpr_queue_ptr 0
		.amdhsa_user_sgpr_kernarg_segment_ptr 1
		.amdhsa_user_sgpr_dispatch_id 0
		.amdhsa_user_sgpr_kernarg_preload_length 0
		.amdhsa_user_sgpr_kernarg_preload_offset 0
		.amdhsa_user_sgpr_private_segment_size 0
		.amdhsa_wavefront_size32 1
		.amdhsa_uses_dynamic_stack 0
		.amdhsa_enable_private_segment 0
		.amdhsa_system_sgpr_workgroup_id_x 1
		.amdhsa_system_sgpr_workgroup_id_y 0
		.amdhsa_system_sgpr_workgroup_id_z 0
		.amdhsa_system_sgpr_workgroup_info 0
		.amdhsa_system_vgpr_workitem_id 0
		.amdhsa_next_free_vgpr 12
		.amdhsa_next_free_sgpr 25
		.amdhsa_named_barrier_count 0
		.amdhsa_reserve_vcc 1
		.amdhsa_float_round_mode_32 0
		.amdhsa_float_round_mode_16_64 0
		.amdhsa_float_denorm_mode_32 3
		.amdhsa_float_denorm_mode_16_64 3
		.amdhsa_fp16_overflow 0
		.amdhsa_memory_ordered 1
		.amdhsa_forward_progress 1
		.amdhsa_inst_pref_size 7
		.amdhsa_round_robin_scheduling 0
		.amdhsa_exception_fp_ieee_invalid_op 0
		.amdhsa_exception_fp_denorm_src 0
		.amdhsa_exception_fp_ieee_div_zero 0
		.amdhsa_exception_fp_ieee_overflow 0
		.amdhsa_exception_fp_ieee_underflow 0
		.amdhsa_exception_fp_ieee_inexact 0
		.amdhsa_exception_int_div_zero 0
	.end_amdhsa_kernel
	.section	.text._ZN9rocsparseL28csrmvn_lrb_short_rows_kernelIllddddEEvbT_PT0_S3_jNS_24const_host_device_scalarIT4_EEPKS1_PKS2_PKT1_PKT2_S6_PT3_21rocsparse_index_base_b,"axG",@progbits,_ZN9rocsparseL28csrmvn_lrb_short_rows_kernelIllddddEEvbT_PT0_S3_jNS_24const_host_device_scalarIT4_EEPKS1_PKS2_PKT1_PKT2_S6_PT3_21rocsparse_index_base_b,comdat
.Lfunc_end38:
	.size	_ZN9rocsparseL28csrmvn_lrb_short_rows_kernelIllddddEEvbT_PT0_S3_jNS_24const_host_device_scalarIT4_EEPKS1_PKS2_PKT1_PKT2_S6_PT3_21rocsparse_index_base_b, .Lfunc_end38-_ZN9rocsparseL28csrmvn_lrb_short_rows_kernelIllddddEEvbT_PT0_S3_jNS_24const_host_device_scalarIT4_EEPKS1_PKS2_PKT1_PKT2_S6_PT3_21rocsparse_index_base_b
                                        ; -- End function
	.set _ZN9rocsparseL28csrmvn_lrb_short_rows_kernelIllddddEEvbT_PT0_S3_jNS_24const_host_device_scalarIT4_EEPKS1_PKS2_PKT1_PKT2_S6_PT3_21rocsparse_index_base_b.num_vgpr, 12
	.set _ZN9rocsparseL28csrmvn_lrb_short_rows_kernelIllddddEEvbT_PT0_S3_jNS_24const_host_device_scalarIT4_EEPKS1_PKS2_PKT1_PKT2_S6_PT3_21rocsparse_index_base_b.num_agpr, 0
	.set _ZN9rocsparseL28csrmvn_lrb_short_rows_kernelIllddddEEvbT_PT0_S3_jNS_24const_host_device_scalarIT4_EEPKS1_PKS2_PKT1_PKT2_S6_PT3_21rocsparse_index_base_b.numbered_sgpr, 25
	.set _ZN9rocsparseL28csrmvn_lrb_short_rows_kernelIllddddEEvbT_PT0_S3_jNS_24const_host_device_scalarIT4_EEPKS1_PKS2_PKT1_PKT2_S6_PT3_21rocsparse_index_base_b.num_named_barrier, 0
	.set _ZN9rocsparseL28csrmvn_lrb_short_rows_kernelIllddddEEvbT_PT0_S3_jNS_24const_host_device_scalarIT4_EEPKS1_PKS2_PKT1_PKT2_S6_PT3_21rocsparse_index_base_b.private_seg_size, 0
	.set _ZN9rocsparseL28csrmvn_lrb_short_rows_kernelIllddddEEvbT_PT0_S3_jNS_24const_host_device_scalarIT4_EEPKS1_PKS2_PKT1_PKT2_S6_PT3_21rocsparse_index_base_b.uses_vcc, 1
	.set _ZN9rocsparseL28csrmvn_lrb_short_rows_kernelIllddddEEvbT_PT0_S3_jNS_24const_host_device_scalarIT4_EEPKS1_PKS2_PKT1_PKT2_S6_PT3_21rocsparse_index_base_b.uses_flat_scratch, 0
	.set _ZN9rocsparseL28csrmvn_lrb_short_rows_kernelIllddddEEvbT_PT0_S3_jNS_24const_host_device_scalarIT4_EEPKS1_PKS2_PKT1_PKT2_S6_PT3_21rocsparse_index_base_b.has_dyn_sized_stack, 0
	.set _ZN9rocsparseL28csrmvn_lrb_short_rows_kernelIllddddEEvbT_PT0_S3_jNS_24const_host_device_scalarIT4_EEPKS1_PKS2_PKT1_PKT2_S6_PT3_21rocsparse_index_base_b.has_recursion, 0
	.set _ZN9rocsparseL28csrmvn_lrb_short_rows_kernelIllddddEEvbT_PT0_S3_jNS_24const_host_device_scalarIT4_EEPKS1_PKS2_PKT1_PKT2_S6_PT3_21rocsparse_index_base_b.has_indirect_call, 0
	.section	.AMDGPU.csdata,"",@progbits
; Kernel info:
; codeLenInByte = 820
; TotalNumSgprs: 27
; NumVgprs: 12
; ScratchSize: 0
; MemoryBound: 0
; FloatMode: 240
; IeeeMode: 1
; LDSByteSize: 0 bytes/workgroup (compile time only)
; SGPRBlocks: 0
; VGPRBlocks: 0
; NumSGPRsForWavesPerEU: 27
; NumVGPRsForWavesPerEU: 12
; NamedBarCnt: 0
; Occupancy: 16
; WaveLimiterHint : 1
; COMPUTE_PGM_RSRC2:SCRATCH_EN: 0
; COMPUTE_PGM_RSRC2:USER_SGPR: 2
; COMPUTE_PGM_RSRC2:TRAP_HANDLER: 0
; COMPUTE_PGM_RSRC2:TGID_X_EN: 1
; COMPUTE_PGM_RSRC2:TGID_Y_EN: 0
; COMPUTE_PGM_RSRC2:TGID_Z_EN: 0
; COMPUTE_PGM_RSRC2:TIDIG_COMP_CNT: 0
	.section	.text._ZN9rocsparseL30csrmvn_lrb_short_rows_2_kernelIllddddEEvbT_PT0_S3_jNS_24const_host_device_scalarIT4_EEPKS1_PKS2_PKT1_PKT2_S6_PT3_21rocsparse_index_base_b,"axG",@progbits,_ZN9rocsparseL30csrmvn_lrb_short_rows_2_kernelIllddddEEvbT_PT0_S3_jNS_24const_host_device_scalarIT4_EEPKS1_PKS2_PKT1_PKT2_S6_PT3_21rocsparse_index_base_b,comdat
	.globl	_ZN9rocsparseL30csrmvn_lrb_short_rows_2_kernelIllddddEEvbT_PT0_S3_jNS_24const_host_device_scalarIT4_EEPKS1_PKS2_PKT1_PKT2_S6_PT3_21rocsparse_index_base_b ; -- Begin function _ZN9rocsparseL30csrmvn_lrb_short_rows_2_kernelIllddddEEvbT_PT0_S3_jNS_24const_host_device_scalarIT4_EEPKS1_PKS2_PKT1_PKT2_S6_PT3_21rocsparse_index_base_b
	.p2align	8
	.type	_ZN9rocsparseL30csrmvn_lrb_short_rows_2_kernelIllddddEEvbT_PT0_S3_jNS_24const_host_device_scalarIT4_EEPKS1_PKS2_PKT1_PKT2_S6_PT3_21rocsparse_index_base_b,@function
_ZN9rocsparseL30csrmvn_lrb_short_rows_2_kernelIllddddEEvbT_PT0_S3_jNS_24const_host_device_scalarIT4_EEPKS1_PKS2_PKT1_PKT2_S6_PT3_21rocsparse_index_base_b: ; @_ZN9rocsparseL30csrmvn_lrb_short_rows_2_kernelIllddddEEvbT_PT0_S3_jNS_24const_host_device_scalarIT4_EEPKS1_PKS2_PKT1_PKT2_S6_PT3_21rocsparse_index_base_b
; %bb.0:
	s_clause 0x2
	s_load_b64 s[12:13], s[0:1], 0x60
	s_load_b64 s[4:5], s[0:1], 0x28
	;; [unrolled: 1-line block ×3, first 2 shown]
	s_wait_kmcnt 0x0
	s_bitcmp1_b32 s13, 0
	v_mov_b64_e32 v[8:9], s[4:5]
	s_cselect_b32 s6, -1, 0
	s_delay_alu instid0(SALU_CYCLE_1)
	s_and_b32 vcc_lo, exec_lo, s6
	s_xor_b32 s6, s6, -1
	s_cbranch_vccnz .LBB39_2
; %bb.1:
	v_mov_b32_e32 v1, 0
	flat_load_b64 v[8:9], v1, s[4:5]
.LBB39_2:
	v_mov_b64_e32 v[6:7], s[2:3]
	s_and_not1_b32 vcc_lo, exec_lo, s6
	s_cbranch_vccnz .LBB39_4
; %bb.3:
	s_wait_xcnt 0x0
	v_mov_b32_e32 v1, 0
	flat_load_b64 v[6:7], v1, s[2:3]
.LBB39_4:
	s_wait_loadcnt_dscnt 0x0
	v_cmp_neq_f64_e32 vcc_lo, 0, v[8:9]
	s_delay_alu instid0(VALU_DEP_2) | instskip(SKIP_1) | instid1(SALU_CYCLE_1)
	v_cmp_neq_f64_e64 s2, 1.0, v[6:7]
	s_or_b32 s2, vcc_lo, s2
	s_and_saveexec_b32 s3, s2
	s_cbranch_execz .LBB39_30
; %bb.5:
	s_clause 0x1
	s_load_b32 s18, s[0:1], 0x20
	s_load_b128 s[24:27], s[0:1], 0x10
	s_mov_b32 s3, 0
	s_bfe_u32 s13, ttmp6, 0x4000c
	s_and_b32 s16, ttmp6, 15
	s_add_co_i32 s13, s13, 1
	s_getreg_b32 s17, hwreg(HW_REG_IB_STS2, 6, 4)
	s_mul_i32 s13, ttmp9, s13
	v_mov_b32_e32 v11, 0
	s_add_co_i32 s16, s16, s13
	s_wait_kmcnt 0x0
	s_add_co_i32 s2, s18, 1
	s_lshr_b32 s19, 0x400, s18
	s_lshl_b64 s[4:5], s[2:3], 3
	v_lshrrev_b32_e32 v1, s18, v0
	s_add_nc_u64 s[4:5], s[26:27], s[4:5]
	s_clause 0x1
	s_load_b64 s[14:15], s[26:27], s18 offset:0x0 scale_offset
	s_load_b32 s2, s[4:5], 0x0
	v_bfe_u32 v10, v0, 0, s18
	s_wait_xcnt 0x0
	s_load_b256 s[4:11], s[0:1], 0x30
	s_wait_kmcnt 0x0
	s_sub_co_i32 s13, s2, s14
	s_cmp_eq_u32 s17, 0
	s_cselect_b32 s2, ttmp9, s16
	s_lshl_b64 s[14:15], s[14:15], 3
	s_mul_i32 s2, s19, s2
	s_delay_alu instid0(SALU_CYCLE_1) | instskip(SKIP_1) | instid1(SALU_CYCLE_1)
	v_add_nc_u32_e32 v1, s2, v1
	s_add_co_i32 s16, s2, s19
	s_min_u32 s20, s13, s16
	s_add_nc_u64 s[16:17], s[24:25], s[14:15]
	s_mov_b32 s13, s3
	s_mov_b32 s3, exec_lo
	v_cmpx_gt_u32_e64 s20, v1
	s_cbranch_execz .LBB39_9
; %bb.6:
	global_load_b64 v[2:3], v1, s[16:17] scale_offset
	s_wait_loadcnt 0x0
	v_lshl_add_u64 v[2:3], v[2:3], 3, s[4:5]
	global_load_b128 v[2:5], v[2:3], off
	s_wait_loadcnt 0x0
	v_sub_nc_u64_e32 v[4:5], v[4:5], v[2:3]
	s_delay_alu instid0(VALU_DEP_1)
	v_cmp_gt_i64_e32 vcc_lo, v[4:5], v[10:11]
	v_mov_b64_e32 v[4:5], 0
	s_and_saveexec_b32 s14, vcc_lo
	s_cbranch_execz .LBB39_8
; %bb.7:
	v_sub_nc_u64_e64 v[2:3], v[2:3], s[12:13]
	s_delay_alu instid0(VALU_DEP_1) | instskip(NEXT) | instid1(VALU_DEP_1)
	v_add_nc_u64_e32 v[2:3], v[2:3], v[10:11]
	v_lshlrev_b64_e32 v[2:3], 3, v[2:3]
	s_delay_alu instid0(VALU_DEP_1)
	v_add_nc_u64_e32 v[4:5], s[6:7], v[2:3]
	v_add_nc_u64_e32 v[2:3], s[8:9], v[2:3]
	global_load_b64 v[4:5], v[4:5], off
	global_load_b64 v[2:3], v[2:3], off
	s_wait_loadcnt 0x1
	s_wait_xcnt 0x1
	v_sub_nc_u64_e64 v[4:5], v[4:5], s[12:13]
	s_wait_loadcnt 0x0
	v_mul_f64_e32 v[2:3], v[8:9], v[2:3]
	s_delay_alu instid0(VALU_DEP_2)
	v_lshl_add_u64 v[4:5], v[4:5], 3, s[10:11]
	global_load_b64 v[4:5], v[4:5], off
	s_wait_loadcnt 0x0
	v_mul_f64_e32 v[4:5], v[2:3], v[4:5]
.LBB39_8:
	s_or_b32 exec_lo, exec_lo, s14
	v_lshlrev_b32_e32 v1, 3, v0
	ds_store_b64 v1, v[4:5]
.LBB39_9:
	s_or_b32 exec_lo, exec_lo, s3
	s_load_b64 s[14:15], s[0:1], 0x58
	v_or_b32_e32 v1, 0x100, v0
	s_wait_xcnt 0x0
	s_mov_b32 s0, exec_lo
	s_delay_alu instid0(VALU_DEP_1) | instskip(NEXT) | instid1(VALU_DEP_1)
	v_lshrrev_b32_e32 v1, s18, v1
	v_add_nc_u32_e32 v1, s2, v1
	s_delay_alu instid0(VALU_DEP_1)
	v_cmpx_gt_u32_e64 s20, v1
	s_cbranch_execz .LBB39_13
; %bb.10:
	global_load_b64 v[2:3], v1, s[16:17] scale_offset
	s_wait_loadcnt 0x0
	v_lshl_add_u64 v[2:3], v[2:3], 3, s[4:5]
	global_load_b128 v[2:5], v[2:3], off
	s_wait_loadcnt 0x0
	v_sub_nc_u64_e32 v[4:5], v[4:5], v[2:3]
	s_delay_alu instid0(VALU_DEP_1)
	v_cmp_gt_i64_e32 vcc_lo, v[4:5], v[10:11]
	v_mov_b64_e32 v[4:5], 0
	s_and_saveexec_b32 s1, vcc_lo
	s_cbranch_execz .LBB39_12
; %bb.11:
	v_sub_nc_u64_e64 v[2:3], v[2:3], s[12:13]
	s_delay_alu instid0(VALU_DEP_1) | instskip(NEXT) | instid1(VALU_DEP_1)
	v_add_nc_u64_e32 v[2:3], v[2:3], v[10:11]
	v_lshlrev_b64_e32 v[2:3], 3, v[2:3]
	s_delay_alu instid0(VALU_DEP_1)
	v_add_nc_u64_e32 v[4:5], s[6:7], v[2:3]
	v_add_nc_u64_e32 v[2:3], s[8:9], v[2:3]
	global_load_b64 v[4:5], v[4:5], off
	global_load_b64 v[2:3], v[2:3], off
	s_wait_loadcnt 0x1
	s_wait_xcnt 0x1
	v_sub_nc_u64_e64 v[4:5], v[4:5], s[12:13]
	s_wait_loadcnt 0x0
	v_mul_f64_e32 v[2:3], v[8:9], v[2:3]
	s_delay_alu instid0(VALU_DEP_2)
	v_lshl_add_u64 v[4:5], v[4:5], 3, s[10:11]
	global_load_b64 v[4:5], v[4:5], off
	s_wait_loadcnt 0x0
	v_mul_f64_e32 v[4:5], v[2:3], v[4:5]
.LBB39_12:
	s_or_b32 exec_lo, exec_lo, s1
	v_lshlrev_b32_e32 v1, 3, v0
	ds_store_b64 v1, v[4:5] offset:2048
.LBB39_13:
	s_or_b32 exec_lo, exec_lo, s0
	v_or_b32_e32 v1, 0x200, v0
	s_mov_b32 s0, exec_lo
	s_delay_alu instid0(VALU_DEP_1) | instskip(NEXT) | instid1(VALU_DEP_1)
	v_lshrrev_b32_e32 v1, s18, v1
	v_add_nc_u32_e32 v1, s2, v1
	s_delay_alu instid0(VALU_DEP_1)
	v_cmpx_gt_u32_e64 s20, v1
	s_cbranch_execz .LBB39_17
; %bb.14:
	global_load_b64 v[2:3], v1, s[16:17] scale_offset
	s_wait_loadcnt 0x0
	v_lshl_add_u64 v[2:3], v[2:3], 3, s[4:5]
	global_load_b128 v[2:5], v[2:3], off
	s_wait_loadcnt 0x0
	v_sub_nc_u64_e32 v[4:5], v[4:5], v[2:3]
	s_delay_alu instid0(VALU_DEP_1)
	v_cmp_gt_i64_e32 vcc_lo, v[4:5], v[10:11]
	v_mov_b64_e32 v[4:5], 0
	s_and_saveexec_b32 s1, vcc_lo
	s_cbranch_execz .LBB39_16
; %bb.15:
	v_sub_nc_u64_e64 v[2:3], v[2:3], s[12:13]
	s_delay_alu instid0(VALU_DEP_1) | instskip(NEXT) | instid1(VALU_DEP_1)
	v_add_nc_u64_e32 v[2:3], v[2:3], v[10:11]
	v_lshlrev_b64_e32 v[2:3], 3, v[2:3]
	s_delay_alu instid0(VALU_DEP_1)
	v_add_nc_u64_e32 v[4:5], s[6:7], v[2:3]
	v_add_nc_u64_e32 v[2:3], s[8:9], v[2:3]
	global_load_b64 v[4:5], v[4:5], off
	global_load_b64 v[2:3], v[2:3], off
	s_wait_loadcnt 0x1
	s_wait_xcnt 0x1
	v_sub_nc_u64_e64 v[4:5], v[4:5], s[12:13]
	s_wait_loadcnt 0x0
	v_mul_f64_e32 v[2:3], v[8:9], v[2:3]
	s_delay_alu instid0(VALU_DEP_2)
	v_lshl_add_u64 v[4:5], v[4:5], 3, s[10:11]
	global_load_b64 v[4:5], v[4:5], off
	s_wait_loadcnt 0x0
	v_mul_f64_e32 v[4:5], v[2:3], v[4:5]
.LBB39_16:
	s_or_b32 exec_lo, exec_lo, s1
	v_lshlrev_b32_e32 v1, 3, v0
	ds_store_b64 v1, v[4:5] offset:4096
.LBB39_17:
	s_or_b32 exec_lo, exec_lo, s0
	v_or_b32_e32 v1, 0x300, v0
	s_mov_b32 s0, exec_lo
	s_delay_alu instid0(VALU_DEP_1) | instskip(NEXT) | instid1(VALU_DEP_1)
	v_lshrrev_b32_e32 v1, s18, v1
	v_add_nc_u32_e32 v1, s2, v1
	s_delay_alu instid0(VALU_DEP_1)
	v_cmpx_gt_u32_e64 s20, v1
	s_cbranch_execz .LBB39_21
; %bb.18:
	global_load_b64 v[2:3], v1, s[16:17] scale_offset
	s_wait_loadcnt 0x0
	v_lshl_add_u64 v[2:3], v[2:3], 3, s[4:5]
	global_load_b128 v[2:5], v[2:3], off
	s_wait_loadcnt 0x0
	v_sub_nc_u64_e32 v[4:5], v[4:5], v[2:3]
	s_delay_alu instid0(VALU_DEP_1)
	v_cmp_gt_i64_e32 vcc_lo, v[4:5], v[10:11]
	v_mov_b64_e32 v[4:5], 0
	s_and_saveexec_b32 s1, vcc_lo
	s_cbranch_execz .LBB39_20
; %bb.19:
	v_sub_nc_u64_e64 v[2:3], v[2:3], s[12:13]
	s_delay_alu instid0(VALU_DEP_1) | instskip(NEXT) | instid1(VALU_DEP_1)
	v_add_nc_u64_e32 v[2:3], v[2:3], v[10:11]
	v_lshlrev_b64_e32 v[2:3], 3, v[2:3]
	s_delay_alu instid0(VALU_DEP_1)
	v_add_nc_u64_e32 v[4:5], s[6:7], v[2:3]
	v_add_nc_u64_e32 v[2:3], s[8:9], v[2:3]
	global_load_b64 v[4:5], v[4:5], off
	global_load_b64 v[2:3], v[2:3], off
	s_wait_loadcnt 0x1
	s_wait_xcnt 0x1
	v_sub_nc_u64_e64 v[4:5], v[4:5], s[12:13]
	s_wait_loadcnt 0x0
	v_mul_f64_e32 v[2:3], v[8:9], v[2:3]
	s_delay_alu instid0(VALU_DEP_2)
	v_lshl_add_u64 v[4:5], v[4:5], 3, s[10:11]
	global_load_b64 v[4:5], v[4:5], off
	s_wait_loadcnt 0x0
	v_mul_f64_e32 v[4:5], v[2:3], v[4:5]
.LBB39_20:
	s_or_b32 exec_lo, exec_lo, s1
	v_lshlrev_b32_e32 v1, 3, v0
	ds_store_b64 v1, v[4:5] offset:6144
.LBB39_21:
	s_or_b32 exec_lo, exec_lo, s0
	s_cmp_lt_u32 s18, 11
	s_wait_dscnt 0x0
	s_barrier_signal -1
	s_barrier_wait -1
	s_cbranch_scc0 .LBB39_30
; %bb.22:
	s_mov_b32 s3, 0
	s_sub_co_i32 s1, s20, s2
	s_lshl_b64 s[4:5], s[2:3], 3
	v_cmp_neq_f64_e32 vcc_lo, 0, v[6:7]
	s_add_nc_u64 s[4:5], s[16:17], s[4:5]
	s_branch .LBB39_25
.LBB39_23:                              ;   in Loop: Header=BB39_25 Depth=1
	s_wait_xcnt 0x0
	s_or_b32 exec_lo, exec_lo, s0
	global_store_b64 v[4:5], v[2:3], off
.LBB39_24:                              ;   in Loop: Header=BB39_25 Depth=1
	s_wait_xcnt 0x0
	s_or_b32 exec_lo, exec_lo, s2
	s_addk_co_i32 s3, 0x100
	s_delay_alu instid0(SALU_CYCLE_1)
	s_cmp_lt_u32 s3, s19
	s_cbranch_scc0 .LBB39_30
.LBB39_25:                              ; =>This Loop Header: Depth=1
                                        ;     Child Loop BB39_27 Depth 2
	v_add_nc_u32_e32 v1, s3, v0
	s_mov_b32 s2, exec_lo
	s_delay_alu instid0(VALU_DEP_1)
	v_cmpx_gt_u32_e64 s1, v1
	s_cbranch_execz .LBB39_24
; %bb.26:                               ;   in Loop: Header=BB39_25 Depth=1
	global_load_b64 v[4:5], v1, s[4:5] scale_offset
	s_wait_xcnt 0x0
	v_lshlrev_b32_e32 v1, s18, v1
	v_mov_b64_e32 v[2:3], 0
	s_mov_b32 s0, 1
	s_delay_alu instid0(VALU_DEP_2)
	v_lshlrev_b32_e32 v1, 3, v1
.LBB39_27:                              ;   Parent Loop BB39_25 Depth=1
                                        ; =>  This Inner Loop Header: Depth=2
	ds_load_b64 v[8:9], v1
	v_add_nc_u32_e32 v1, 8, v1
	s_lshr_b32 s6, s0, s18
	s_add_co_i32 s0, s0, 1
	s_cmp_lg_u32 s6, 0
	s_wait_dscnt 0x0
	v_add_f64_e32 v[2:3], v[2:3], v[8:9]
	s_cbranch_scc0 .LBB39_27
; %bb.28:                               ;   in Loop: Header=BB39_25 Depth=1
	s_wait_loadcnt 0x0
	s_wait_kmcnt 0x0
	v_lshl_add_u64 v[4:5], v[4:5], 3, s[14:15]
	s_and_saveexec_b32 s0, vcc_lo
	s_cbranch_execz .LBB39_23
; %bb.29:                               ;   in Loop: Header=BB39_25 Depth=1
	global_load_b64 v[8:9], v[4:5], off
	s_wait_loadcnt 0x0
	v_fmac_f64_e32 v[2:3], v[6:7], v[8:9]
	s_branch .LBB39_23
.LBB39_30:
	s_endpgm
	.section	.rodata,"a",@progbits
	.p2align	6, 0x0
	.amdhsa_kernel _ZN9rocsparseL30csrmvn_lrb_short_rows_2_kernelIllddddEEvbT_PT0_S3_jNS_24const_host_device_scalarIT4_EEPKS1_PKS2_PKT1_PKT2_S6_PT3_21rocsparse_index_base_b
		.amdhsa_group_segment_fixed_size 8192
		.amdhsa_private_segment_fixed_size 0
		.amdhsa_kernarg_size 104
		.amdhsa_user_sgpr_count 2
		.amdhsa_user_sgpr_dispatch_ptr 0
		.amdhsa_user_sgpr_queue_ptr 0
		.amdhsa_user_sgpr_kernarg_segment_ptr 1
		.amdhsa_user_sgpr_dispatch_id 0
		.amdhsa_user_sgpr_kernarg_preload_length 0
		.amdhsa_user_sgpr_kernarg_preload_offset 0
		.amdhsa_user_sgpr_private_segment_size 0
		.amdhsa_wavefront_size32 1
		.amdhsa_uses_dynamic_stack 0
		.amdhsa_enable_private_segment 0
		.amdhsa_system_sgpr_workgroup_id_x 1
		.amdhsa_system_sgpr_workgroup_id_y 0
		.amdhsa_system_sgpr_workgroup_id_z 0
		.amdhsa_system_sgpr_workgroup_info 0
		.amdhsa_system_vgpr_workitem_id 0
		.amdhsa_next_free_vgpr 12
		.amdhsa_next_free_sgpr 28
		.amdhsa_named_barrier_count 0
		.amdhsa_reserve_vcc 1
		.amdhsa_float_round_mode_32 0
		.amdhsa_float_round_mode_16_64 0
		.amdhsa_float_denorm_mode_32 3
		.amdhsa_float_denorm_mode_16_64 3
		.amdhsa_fp16_overflow 0
		.amdhsa_memory_ordered 1
		.amdhsa_forward_progress 1
		.amdhsa_inst_pref_size 12
		.amdhsa_round_robin_scheduling 0
		.amdhsa_exception_fp_ieee_invalid_op 0
		.amdhsa_exception_fp_denorm_src 0
		.amdhsa_exception_fp_ieee_div_zero 0
		.amdhsa_exception_fp_ieee_overflow 0
		.amdhsa_exception_fp_ieee_underflow 0
		.amdhsa_exception_fp_ieee_inexact 0
		.amdhsa_exception_int_div_zero 0
	.end_amdhsa_kernel
	.section	.text._ZN9rocsparseL30csrmvn_lrb_short_rows_2_kernelIllddddEEvbT_PT0_S3_jNS_24const_host_device_scalarIT4_EEPKS1_PKS2_PKT1_PKT2_S6_PT3_21rocsparse_index_base_b,"axG",@progbits,_ZN9rocsparseL30csrmvn_lrb_short_rows_2_kernelIllddddEEvbT_PT0_S3_jNS_24const_host_device_scalarIT4_EEPKS1_PKS2_PKT1_PKT2_S6_PT3_21rocsparse_index_base_b,comdat
.Lfunc_end39:
	.size	_ZN9rocsparseL30csrmvn_lrb_short_rows_2_kernelIllddddEEvbT_PT0_S3_jNS_24const_host_device_scalarIT4_EEPKS1_PKS2_PKT1_PKT2_S6_PT3_21rocsparse_index_base_b, .Lfunc_end39-_ZN9rocsparseL30csrmvn_lrb_short_rows_2_kernelIllddddEEvbT_PT0_S3_jNS_24const_host_device_scalarIT4_EEPKS1_PKS2_PKT1_PKT2_S6_PT3_21rocsparse_index_base_b
                                        ; -- End function
	.set _ZN9rocsparseL30csrmvn_lrb_short_rows_2_kernelIllddddEEvbT_PT0_S3_jNS_24const_host_device_scalarIT4_EEPKS1_PKS2_PKT1_PKT2_S6_PT3_21rocsparse_index_base_b.num_vgpr, 12
	.set _ZN9rocsparseL30csrmvn_lrb_short_rows_2_kernelIllddddEEvbT_PT0_S3_jNS_24const_host_device_scalarIT4_EEPKS1_PKS2_PKT1_PKT2_S6_PT3_21rocsparse_index_base_b.num_agpr, 0
	.set _ZN9rocsparseL30csrmvn_lrb_short_rows_2_kernelIllddddEEvbT_PT0_S3_jNS_24const_host_device_scalarIT4_EEPKS1_PKS2_PKT1_PKT2_S6_PT3_21rocsparse_index_base_b.numbered_sgpr, 28
	.set _ZN9rocsparseL30csrmvn_lrb_short_rows_2_kernelIllddddEEvbT_PT0_S3_jNS_24const_host_device_scalarIT4_EEPKS1_PKS2_PKT1_PKT2_S6_PT3_21rocsparse_index_base_b.num_named_barrier, 0
	.set _ZN9rocsparseL30csrmvn_lrb_short_rows_2_kernelIllddddEEvbT_PT0_S3_jNS_24const_host_device_scalarIT4_EEPKS1_PKS2_PKT1_PKT2_S6_PT3_21rocsparse_index_base_b.private_seg_size, 0
	.set _ZN9rocsparseL30csrmvn_lrb_short_rows_2_kernelIllddddEEvbT_PT0_S3_jNS_24const_host_device_scalarIT4_EEPKS1_PKS2_PKT1_PKT2_S6_PT3_21rocsparse_index_base_b.uses_vcc, 1
	.set _ZN9rocsparseL30csrmvn_lrb_short_rows_2_kernelIllddddEEvbT_PT0_S3_jNS_24const_host_device_scalarIT4_EEPKS1_PKS2_PKT1_PKT2_S6_PT3_21rocsparse_index_base_b.uses_flat_scratch, 0
	.set _ZN9rocsparseL30csrmvn_lrb_short_rows_2_kernelIllddddEEvbT_PT0_S3_jNS_24const_host_device_scalarIT4_EEPKS1_PKS2_PKT1_PKT2_S6_PT3_21rocsparse_index_base_b.has_dyn_sized_stack, 0
	.set _ZN9rocsparseL30csrmvn_lrb_short_rows_2_kernelIllddddEEvbT_PT0_S3_jNS_24const_host_device_scalarIT4_EEPKS1_PKS2_PKT1_PKT2_S6_PT3_21rocsparse_index_base_b.has_recursion, 0
	.set _ZN9rocsparseL30csrmvn_lrb_short_rows_2_kernelIllddddEEvbT_PT0_S3_jNS_24const_host_device_scalarIT4_EEPKS1_PKS2_PKT1_PKT2_S6_PT3_21rocsparse_index_base_b.has_indirect_call, 0
	.section	.AMDGPU.csdata,"",@progbits
; Kernel info:
; codeLenInByte = 1480
; TotalNumSgprs: 30
; NumVgprs: 12
; ScratchSize: 0
; MemoryBound: 0
; FloatMode: 240
; IeeeMode: 1
; LDSByteSize: 8192 bytes/workgroup (compile time only)
; SGPRBlocks: 0
; VGPRBlocks: 0
; NumSGPRsForWavesPerEU: 30
; NumVGPRsForWavesPerEU: 12
; NamedBarCnt: 0
; Occupancy: 16
; WaveLimiterHint : 1
; COMPUTE_PGM_RSRC2:SCRATCH_EN: 0
; COMPUTE_PGM_RSRC2:USER_SGPR: 2
; COMPUTE_PGM_RSRC2:TRAP_HANDLER: 0
; COMPUTE_PGM_RSRC2:TGID_X_EN: 1
; COMPUTE_PGM_RSRC2:TGID_Y_EN: 0
; COMPUTE_PGM_RSRC2:TGID_Z_EN: 0
; COMPUTE_PGM_RSRC2:TIDIG_COMP_CNT: 0
	.section	.text._ZN9rocsparseL41csrmvn_lrb_medium_rows_warp_reduce_kernelILj256ELj32EllddddEEvbT1_lPT2_S3_jNS_24const_host_device_scalarIT6_EEPKS1_PKS2_PKT3_PKT4_S6_PT5_21rocsparse_index_base_b,"axG",@progbits,_ZN9rocsparseL41csrmvn_lrb_medium_rows_warp_reduce_kernelILj256ELj32EllddddEEvbT1_lPT2_S3_jNS_24const_host_device_scalarIT6_EEPKS1_PKS2_PKT3_PKT4_S6_PT5_21rocsparse_index_base_b,comdat
	.globl	_ZN9rocsparseL41csrmvn_lrb_medium_rows_warp_reduce_kernelILj256ELj32EllddddEEvbT1_lPT2_S3_jNS_24const_host_device_scalarIT6_EEPKS1_PKS2_PKT3_PKT4_S6_PT5_21rocsparse_index_base_b ; -- Begin function _ZN9rocsparseL41csrmvn_lrb_medium_rows_warp_reduce_kernelILj256ELj32EllddddEEvbT1_lPT2_S3_jNS_24const_host_device_scalarIT6_EEPKS1_PKS2_PKT3_PKT4_S6_PT5_21rocsparse_index_base_b
	.p2align	8
	.type	_ZN9rocsparseL41csrmvn_lrb_medium_rows_warp_reduce_kernelILj256ELj32EllddddEEvbT1_lPT2_S3_jNS_24const_host_device_scalarIT6_EEPKS1_PKS2_PKT3_PKT4_S6_PT5_21rocsparse_index_base_b,@function
_ZN9rocsparseL41csrmvn_lrb_medium_rows_warp_reduce_kernelILj256ELj32EllddddEEvbT1_lPT2_S3_jNS_24const_host_device_scalarIT6_EEPKS1_PKS2_PKT3_PKT4_S6_PT5_21rocsparse_index_base_b: ; @_ZN9rocsparseL41csrmvn_lrb_medium_rows_warp_reduce_kernelILj256ELj32EllddddEEvbT1_lPT2_S3_jNS_24const_host_device_scalarIT6_EEPKS1_PKS2_PKT3_PKT4_S6_PT5_21rocsparse_index_base_b
; %bb.0:
	s_clause 0x2
	s_load_b64 s[4:5], s[0:1], 0x68
	s_load_b64 s[6:7], s[0:1], 0x30
	;; [unrolled: 1-line block ×3, first 2 shown]
	s_wait_kmcnt 0x0
	s_bitcmp1_b32 s5, 0
	v_mov_b64_e32 v[4:5], s[6:7]
	s_cselect_b32 s5, -1, 0
	s_delay_alu instid0(SALU_CYCLE_1)
	s_and_b32 vcc_lo, exec_lo, s5
	s_xor_b32 s5, s5, -1
	s_cbranch_vccnz .LBB40_2
; %bb.1:
	v_mov_b32_e32 v1, 0
	flat_load_b64 v[4:5], v1, s[6:7]
.LBB40_2:
	v_mov_b64_e32 v[2:3], s[2:3]
	s_and_not1_b32 vcc_lo, exec_lo, s5
	s_cbranch_vccnz .LBB40_4
; %bb.3:
	s_wait_xcnt 0x0
	v_mov_b32_e32 v1, 0
	flat_load_b64 v[2:3], v1, s[2:3]
.LBB40_4:
	s_wait_loadcnt_dscnt 0x0
	v_cmp_neq_f64_e32 vcc_lo, 0, v[4:5]
	s_delay_alu instid0(VALU_DEP_2) | instskip(SKIP_1) | instid1(SALU_CYCLE_1)
	v_cmp_neq_f64_e64 s2, 1.0, v[2:3]
	s_or_b32 s2, vcc_lo, s2
	s_and_saveexec_b32 s3, s2
	s_cbranch_execz .LBB40_14
; %bb.5:
	s_bfe_u32 s5, ttmp6, 0x4000c
	s_load_b64 s[2:3], s[0:1], 0x10
	s_add_co_i32 s5, s5, 1
	s_and_b32 s6, ttmp6, 15
	s_mul_i32 s5, ttmp9, s5
	s_getreg_b32 s7, hwreg(HW_REG_IB_STS2, 6, 4)
	v_lshrrev_b32_e32 v1, 5, v0
	s_add_co_i32 s6, s6, s5
	s_cmp_eq_u32 s7, 0
	s_cselect_b32 s5, ttmp9, s6
	s_delay_alu instid0(VALU_DEP_1) | instid1(SALU_CYCLE_1)
	v_lshl_or_b32 v6, s5, 3, v1
	s_mov_b32 s5, 0
	s_delay_alu instid0(VALU_DEP_1) | instskip(SKIP_1) | instid1(VALU_DEP_1)
	v_ashrrev_i32_e32 v7, 31, v6
	s_wait_kmcnt 0x0
	v_cmp_gt_i64_e32 vcc_lo, s[2:3], v[6:7]
	s_and_b32 exec_lo, exec_lo, vcc_lo
	s_cbranch_execz .LBB40_14
; %bb.6:
	s_clause 0x1
	s_load_b128 s[8:11], s[0:1], 0x18
	s_load_b32 s2, s[0:1], 0x28
	v_dual_mov_b32 v1, 0 :: v_dual_bitop2_b32 v0, 31, v0 bitop3:0x40
	s_mov_b32 s6, exec_lo
	s_delay_alu instid0(VALU_DEP_1) | instskip(SKIP_4) | instid1(SALU_CYCLE_1)
	v_sub_nc_u64_e64 v[12:13], v[0:1], s[4:5]
	s_wait_kmcnt 0x0
	s_load_b64 s[2:3], s[10:11], s2 offset:0x0 scale_offset
	s_wait_kmcnt 0x0
	s_lshl_b64 s[2:3], s[2:3], 3
	s_add_nc_u64 s[2:3], s[8:9], s[2:3]
	s_delay_alu instid0(SALU_CYCLE_1)
	v_lshl_add_u64 v[6:7], v[6:7], 3, s[2:3]
	s_load_b64 s[2:3], s[0:1], 0x38
	global_load_b64 v[6:7], v[6:7], off
	s_wait_loadcnt 0x0
	s_wait_kmcnt 0x0
	v_lshl_add_u64 v[8:9], v[6:7], 3, s[2:3]
	global_load_b128 v[8:11], v[8:9], off
	s_wait_loadcnt 0x0
	v_sub_nc_u64_e64 v[10:11], v[10:11], s[4:5]
	v_add_nc_u64_e32 v[12:13], v[8:9], v[12:13]
	v_mov_b64_e32 v[8:9], 0
	s_delay_alu instid0(VALU_DEP_2)
	v_cmpx_lt_i64_e64 v[12:13], v[10:11]
	s_cbranch_execz .LBB40_10
; %bb.7:
	s_clause 0x1
	s_load_b128 s[8:11], s[0:1], 0x40
	s_load_b64 s[2:3], s[0:1], 0x50
	v_lshlrev_b64_e32 v[8:9], 3, v[12:13]
	s_mov_b32 s7, 0
	s_wait_kmcnt 0x0
	s_delay_alu instid0(VALU_DEP_1)
	v_add_nc_u64_e32 v[14:15], s[10:11], v[8:9]
	v_add_nc_u64_e32 v[16:17], s[8:9], v[8:9]
	v_mov_b64_e32 v[8:9], 0
.LBB40_8:                               ; =>This Inner Loop Header: Depth=1
	global_load_b64 v[18:19], v[16:17], off
	global_load_b64 v[20:21], v[14:15], off
	v_add_nc_u64_e32 v[12:13], 32, v[12:13]
	s_wait_xcnt 0x0
	v_add_nc_u64_e32 v[14:15], 0x100, v[14:15]
	v_add_nc_u64_e32 v[16:17], 0x100, v[16:17]
	s_delay_alu instid0(VALU_DEP_3)
	v_cmp_ge_i64_e32 vcc_lo, v[12:13], v[10:11]
	s_or_b32 s7, vcc_lo, s7
	s_wait_loadcnt 0x1
	v_sub_nc_u64_e64 v[18:19], v[18:19], s[4:5]
	s_wait_loadcnt 0x0
	v_mul_f64_e32 v[20:21], v[4:5], v[20:21]
	s_delay_alu instid0(VALU_DEP_2)
	v_lshl_add_u64 v[18:19], v[18:19], 3, s[2:3]
	global_load_b64 v[18:19], v[18:19], off
	s_wait_loadcnt 0x0
	v_fmac_f64_e32 v[8:9], v[20:21], v[18:19]
	s_and_not1_b32 exec_lo, exec_lo, s7
	s_cbranch_execnz .LBB40_8
; %bb.9:
	s_or_b32 exec_lo, exec_lo, s7
.LBB40_10:
	s_delay_alu instid0(SALU_CYCLE_1) | instskip(SKIP_2) | instid1(VALU_DEP_1)
	s_or_b32 exec_lo, exec_lo, s6
	v_mbcnt_lo_u32_b32 v1, -1, 0
	s_load_b64 s[0:1], s[0:1], 0x60
	v_xor_b32_e32 v4, 16, v1
	s_delay_alu instid0(VALU_DEP_1) | instskip(SKIP_1) | instid1(VALU_DEP_1)
	v_cmp_gt_i32_e32 vcc_lo, 32, v4
	v_cndmask_b32_e32 v4, v1, v4, vcc_lo
	v_lshlrev_b32_e32 v5, 2, v4
	ds_bpermute_b32 v4, v5, v8
	ds_bpermute_b32 v5, v5, v9
	s_wait_dscnt 0x0
	v_add_f64_e32 v[4:5], v[8:9], v[4:5]
	v_xor_b32_e32 v8, 8, v1
	s_delay_alu instid0(VALU_DEP_1) | instskip(SKIP_1) | instid1(VALU_DEP_1)
	v_cmp_gt_i32_e32 vcc_lo, 32, v8
	v_cndmask_b32_e32 v8, v1, v8, vcc_lo
	v_lshlrev_b32_e32 v9, 2, v8
	ds_bpermute_b32 v8, v9, v4
	ds_bpermute_b32 v9, v9, v5
	s_wait_dscnt 0x0
	v_add_f64_e32 v[4:5], v[4:5], v[8:9]
	;; [unrolled: 9-line block ×4, first 2 shown]
	v_xor_b32_e32 v8, 1, v1
	s_delay_alu instid0(VALU_DEP_1) | instskip(SKIP_2) | instid1(VALU_DEP_2)
	v_cmp_gt_i32_e32 vcc_lo, 32, v8
	v_cndmask_b32_e32 v1, v1, v8, vcc_lo
	v_cmp_eq_u32_e32 vcc_lo, 31, v0
	v_lshlrev_b32_e32 v1, 2, v1
	ds_bpermute_b32 v8, v1, v4
	ds_bpermute_b32 v9, v1, v5
	s_and_b32 exec_lo, exec_lo, vcc_lo
	s_cbranch_execz .LBB40_14
; %bb.11:
	s_wait_dscnt 0x0
	v_add_f64_e32 v[0:1], v[4:5], v[8:9]
	s_wait_kmcnt 0x0
	v_lshl_add_u64 v[4:5], v[6:7], 3, s[0:1]
	s_mov_b32 s0, exec_lo
	v_cmpx_neq_f64_e32 0, v[2:3]
	s_cbranch_execz .LBB40_13
; %bb.12:
	global_load_b64 v[6:7], v[4:5], off
	s_wait_loadcnt 0x0
	v_fmac_f64_e32 v[0:1], v[2:3], v[6:7]
.LBB40_13:
	s_or_b32 exec_lo, exec_lo, s0
	global_store_b64 v[4:5], v[0:1], off
.LBB40_14:
	s_endpgm
	.section	.rodata,"a",@progbits
	.p2align	6, 0x0
	.amdhsa_kernel _ZN9rocsparseL41csrmvn_lrb_medium_rows_warp_reduce_kernelILj256ELj32EllddddEEvbT1_lPT2_S3_jNS_24const_host_device_scalarIT6_EEPKS1_PKS2_PKT3_PKT4_S6_PT5_21rocsparse_index_base_b
		.amdhsa_group_segment_fixed_size 0
		.amdhsa_private_segment_fixed_size 0
		.amdhsa_kernarg_size 112
		.amdhsa_user_sgpr_count 2
		.amdhsa_user_sgpr_dispatch_ptr 0
		.amdhsa_user_sgpr_queue_ptr 0
		.amdhsa_user_sgpr_kernarg_segment_ptr 1
		.amdhsa_user_sgpr_dispatch_id 0
		.amdhsa_user_sgpr_kernarg_preload_length 0
		.amdhsa_user_sgpr_kernarg_preload_offset 0
		.amdhsa_user_sgpr_private_segment_size 0
		.amdhsa_wavefront_size32 1
		.amdhsa_uses_dynamic_stack 0
		.amdhsa_enable_private_segment 0
		.amdhsa_system_sgpr_workgroup_id_x 1
		.amdhsa_system_sgpr_workgroup_id_y 0
		.amdhsa_system_sgpr_workgroup_id_z 0
		.amdhsa_system_sgpr_workgroup_info 0
		.amdhsa_system_vgpr_workitem_id 0
		.amdhsa_next_free_vgpr 22
		.amdhsa_next_free_sgpr 12
		.amdhsa_named_barrier_count 0
		.amdhsa_reserve_vcc 1
		.amdhsa_float_round_mode_32 0
		.amdhsa_float_round_mode_16_64 0
		.amdhsa_float_denorm_mode_32 3
		.amdhsa_float_denorm_mode_16_64 3
		.amdhsa_fp16_overflow 0
		.amdhsa_memory_ordered 1
		.amdhsa_forward_progress 1
		.amdhsa_inst_pref_size 7
		.amdhsa_round_robin_scheduling 0
		.amdhsa_exception_fp_ieee_invalid_op 0
		.amdhsa_exception_fp_denorm_src 0
		.amdhsa_exception_fp_ieee_div_zero 0
		.amdhsa_exception_fp_ieee_overflow 0
		.amdhsa_exception_fp_ieee_underflow 0
		.amdhsa_exception_fp_ieee_inexact 0
		.amdhsa_exception_int_div_zero 0
	.end_amdhsa_kernel
	.section	.text._ZN9rocsparseL41csrmvn_lrb_medium_rows_warp_reduce_kernelILj256ELj32EllddddEEvbT1_lPT2_S3_jNS_24const_host_device_scalarIT6_EEPKS1_PKS2_PKT3_PKT4_S6_PT5_21rocsparse_index_base_b,"axG",@progbits,_ZN9rocsparseL41csrmvn_lrb_medium_rows_warp_reduce_kernelILj256ELj32EllddddEEvbT1_lPT2_S3_jNS_24const_host_device_scalarIT6_EEPKS1_PKS2_PKT3_PKT4_S6_PT5_21rocsparse_index_base_b,comdat
.Lfunc_end40:
	.size	_ZN9rocsparseL41csrmvn_lrb_medium_rows_warp_reduce_kernelILj256ELj32EllddddEEvbT1_lPT2_S3_jNS_24const_host_device_scalarIT6_EEPKS1_PKS2_PKT3_PKT4_S6_PT5_21rocsparse_index_base_b, .Lfunc_end40-_ZN9rocsparseL41csrmvn_lrb_medium_rows_warp_reduce_kernelILj256ELj32EllddddEEvbT1_lPT2_S3_jNS_24const_host_device_scalarIT6_EEPKS1_PKS2_PKT3_PKT4_S6_PT5_21rocsparse_index_base_b
                                        ; -- End function
	.set _ZN9rocsparseL41csrmvn_lrb_medium_rows_warp_reduce_kernelILj256ELj32EllddddEEvbT1_lPT2_S3_jNS_24const_host_device_scalarIT6_EEPKS1_PKS2_PKT3_PKT4_S6_PT5_21rocsparse_index_base_b.num_vgpr, 22
	.set _ZN9rocsparseL41csrmvn_lrb_medium_rows_warp_reduce_kernelILj256ELj32EllddddEEvbT1_lPT2_S3_jNS_24const_host_device_scalarIT6_EEPKS1_PKS2_PKT3_PKT4_S6_PT5_21rocsparse_index_base_b.num_agpr, 0
	.set _ZN9rocsparseL41csrmvn_lrb_medium_rows_warp_reduce_kernelILj256ELj32EllddddEEvbT1_lPT2_S3_jNS_24const_host_device_scalarIT6_EEPKS1_PKS2_PKT3_PKT4_S6_PT5_21rocsparse_index_base_b.numbered_sgpr, 12
	.set _ZN9rocsparseL41csrmvn_lrb_medium_rows_warp_reduce_kernelILj256ELj32EllddddEEvbT1_lPT2_S3_jNS_24const_host_device_scalarIT6_EEPKS1_PKS2_PKT3_PKT4_S6_PT5_21rocsparse_index_base_b.num_named_barrier, 0
	.set _ZN9rocsparseL41csrmvn_lrb_medium_rows_warp_reduce_kernelILj256ELj32EllddddEEvbT1_lPT2_S3_jNS_24const_host_device_scalarIT6_EEPKS1_PKS2_PKT3_PKT4_S6_PT5_21rocsparse_index_base_b.private_seg_size, 0
	.set _ZN9rocsparseL41csrmvn_lrb_medium_rows_warp_reduce_kernelILj256ELj32EllddddEEvbT1_lPT2_S3_jNS_24const_host_device_scalarIT6_EEPKS1_PKS2_PKT3_PKT4_S6_PT5_21rocsparse_index_base_b.uses_vcc, 1
	.set _ZN9rocsparseL41csrmvn_lrb_medium_rows_warp_reduce_kernelILj256ELj32EllddddEEvbT1_lPT2_S3_jNS_24const_host_device_scalarIT6_EEPKS1_PKS2_PKT3_PKT4_S6_PT5_21rocsparse_index_base_b.uses_flat_scratch, 0
	.set _ZN9rocsparseL41csrmvn_lrb_medium_rows_warp_reduce_kernelILj256ELj32EllddddEEvbT1_lPT2_S3_jNS_24const_host_device_scalarIT6_EEPKS1_PKS2_PKT3_PKT4_S6_PT5_21rocsparse_index_base_b.has_dyn_sized_stack, 0
	.set _ZN9rocsparseL41csrmvn_lrb_medium_rows_warp_reduce_kernelILj256ELj32EllddddEEvbT1_lPT2_S3_jNS_24const_host_device_scalarIT6_EEPKS1_PKS2_PKT3_PKT4_S6_PT5_21rocsparse_index_base_b.has_recursion, 0
	.set _ZN9rocsparseL41csrmvn_lrb_medium_rows_warp_reduce_kernelILj256ELj32EllddddEEvbT1_lPT2_S3_jNS_24const_host_device_scalarIT6_EEPKS1_PKS2_PKT3_PKT4_S6_PT5_21rocsparse_index_base_b.has_indirect_call, 0
	.section	.AMDGPU.csdata,"",@progbits
; Kernel info:
; codeLenInByte = 888
; TotalNumSgprs: 14
; NumVgprs: 22
; ScratchSize: 0
; MemoryBound: 0
; FloatMode: 240
; IeeeMode: 1
; LDSByteSize: 0 bytes/workgroup (compile time only)
; SGPRBlocks: 0
; VGPRBlocks: 1
; NumSGPRsForWavesPerEU: 14
; NumVGPRsForWavesPerEU: 22
; NamedBarCnt: 0
; Occupancy: 16
; WaveLimiterHint : 1
; COMPUTE_PGM_RSRC2:SCRATCH_EN: 0
; COMPUTE_PGM_RSRC2:USER_SGPR: 2
; COMPUTE_PGM_RSRC2:TRAP_HANDLER: 0
; COMPUTE_PGM_RSRC2:TGID_X_EN: 1
; COMPUTE_PGM_RSRC2:TGID_Y_EN: 0
; COMPUTE_PGM_RSRC2:TGID_Z_EN: 0
; COMPUTE_PGM_RSRC2:TIDIG_COMP_CNT: 0
	.section	.text._ZN9rocsparseL41csrmvn_lrb_medium_rows_warp_reduce_kernelILj256ELj64EllddddEEvbT1_lPT2_S3_jNS_24const_host_device_scalarIT6_EEPKS1_PKS2_PKT3_PKT4_S6_PT5_21rocsparse_index_base_b,"axG",@progbits,_ZN9rocsparseL41csrmvn_lrb_medium_rows_warp_reduce_kernelILj256ELj64EllddddEEvbT1_lPT2_S3_jNS_24const_host_device_scalarIT6_EEPKS1_PKS2_PKT3_PKT4_S6_PT5_21rocsparse_index_base_b,comdat
	.globl	_ZN9rocsparseL41csrmvn_lrb_medium_rows_warp_reduce_kernelILj256ELj64EllddddEEvbT1_lPT2_S3_jNS_24const_host_device_scalarIT6_EEPKS1_PKS2_PKT3_PKT4_S6_PT5_21rocsparse_index_base_b ; -- Begin function _ZN9rocsparseL41csrmvn_lrb_medium_rows_warp_reduce_kernelILj256ELj64EllddddEEvbT1_lPT2_S3_jNS_24const_host_device_scalarIT6_EEPKS1_PKS2_PKT3_PKT4_S6_PT5_21rocsparse_index_base_b
	.p2align	8
	.type	_ZN9rocsparseL41csrmvn_lrb_medium_rows_warp_reduce_kernelILj256ELj64EllddddEEvbT1_lPT2_S3_jNS_24const_host_device_scalarIT6_EEPKS1_PKS2_PKT3_PKT4_S6_PT5_21rocsparse_index_base_b,@function
_ZN9rocsparseL41csrmvn_lrb_medium_rows_warp_reduce_kernelILj256ELj64EllddddEEvbT1_lPT2_S3_jNS_24const_host_device_scalarIT6_EEPKS1_PKS2_PKT3_PKT4_S6_PT5_21rocsparse_index_base_b: ; @_ZN9rocsparseL41csrmvn_lrb_medium_rows_warp_reduce_kernelILj256ELj64EllddddEEvbT1_lPT2_S3_jNS_24const_host_device_scalarIT6_EEPKS1_PKS2_PKT3_PKT4_S6_PT5_21rocsparse_index_base_b
; %bb.0:
	s_clause 0x2
	s_load_b64 s[4:5], s[0:1], 0x68
	s_load_b64 s[6:7], s[0:1], 0x30
	;; [unrolled: 1-line block ×3, first 2 shown]
	s_wait_kmcnt 0x0
	s_bitcmp1_b32 s5, 0
	v_mov_b64_e32 v[6:7], s[6:7]
	s_cselect_b32 s5, -1, 0
	s_delay_alu instid0(SALU_CYCLE_1)
	s_and_b32 vcc_lo, exec_lo, s5
	s_xor_b32 s5, s5, -1
	s_cbranch_vccnz .LBB41_2
; %bb.1:
	v_mov_b32_e32 v1, 0
	flat_load_b64 v[6:7], v1, s[6:7]
.LBB41_2:
	v_mov_b64_e32 v[2:3], s[2:3]
	s_and_not1_b32 vcc_lo, exec_lo, s5
	s_cbranch_vccnz .LBB41_4
; %bb.3:
	s_wait_xcnt 0x0
	v_mov_b32_e32 v1, 0
	flat_load_b64 v[2:3], v1, s[2:3]
.LBB41_4:
	s_wait_loadcnt_dscnt 0x0
	v_cmp_neq_f64_e32 vcc_lo, 0, v[6:7]
	s_delay_alu instid0(VALU_DEP_2) | instskip(SKIP_1) | instid1(SALU_CYCLE_1)
	v_cmp_neq_f64_e64 s2, 1.0, v[2:3]
	s_or_b32 s2, vcc_lo, s2
	s_and_saveexec_b32 s3, s2
	s_cbranch_execz .LBB41_14
; %bb.5:
	s_bfe_u32 s5, ttmp6, 0x4000c
	s_load_b64 s[2:3], s[0:1], 0x10
	s_add_co_i32 s5, s5, 1
	s_and_b32 s6, ttmp6, 15
	s_mul_i32 s5, ttmp9, s5
	s_getreg_b32 s7, hwreg(HW_REG_IB_STS2, 6, 4)
	v_lshrrev_b32_e32 v1, 6, v0
	s_add_co_i32 s6, s6, s5
	s_cmp_eq_u32 s7, 0
	s_cselect_b32 s5, ttmp9, s6
	s_delay_alu instid0(VALU_DEP_1) | instid1(SALU_CYCLE_1)
	v_lshl_or_b32 v4, s5, 2, v1
	s_mov_b32 s5, 0
	s_delay_alu instid0(VALU_DEP_1) | instskip(SKIP_1) | instid1(VALU_DEP_1)
	v_ashrrev_i32_e32 v5, 31, v4
	s_wait_kmcnt 0x0
	v_cmp_gt_i64_e32 vcc_lo, s[2:3], v[4:5]
	s_and_b32 exec_lo, exec_lo, vcc_lo
	s_cbranch_execz .LBB41_14
; %bb.6:
	s_clause 0x1
	s_load_b128 s[8:11], s[0:1], 0x18
	s_load_b32 s2, s[0:1], 0x28
	v_dual_mov_b32 v1, 0 :: v_dual_bitop2_b32 v0, 63, v0 bitop3:0x40
	s_mov_b32 s6, exec_lo
	s_delay_alu instid0(VALU_DEP_1) | instskip(SKIP_4) | instid1(SALU_CYCLE_1)
	v_sub_nc_u64_e64 v[12:13], v[0:1], s[4:5]
	s_wait_kmcnt 0x0
	s_load_b64 s[2:3], s[10:11], s2 offset:0x0 scale_offset
	s_wait_kmcnt 0x0
	s_lshl_b64 s[2:3], s[2:3], 3
	s_add_nc_u64 s[2:3], s[8:9], s[2:3]
	s_delay_alu instid0(SALU_CYCLE_1)
	v_lshl_add_u64 v[4:5], v[4:5], 3, s[2:3]
	s_load_b64 s[2:3], s[0:1], 0x38
	global_load_b64 v[4:5], v[4:5], off
	s_wait_loadcnt 0x0
	s_wait_kmcnt 0x0
	v_lshl_add_u64 v[8:9], v[4:5], 3, s[2:3]
	global_load_b128 v[8:11], v[8:9], off
	s_wait_loadcnt 0x0
	v_sub_nc_u64_e64 v[10:11], v[10:11], s[4:5]
	v_add_nc_u64_e32 v[12:13], v[8:9], v[12:13]
	v_mov_b64_e32 v[8:9], 0
	s_delay_alu instid0(VALU_DEP_2)
	v_cmpx_lt_i64_e64 v[12:13], v[10:11]
	s_cbranch_execz .LBB41_10
; %bb.7:
	s_clause 0x1
	s_load_b128 s[8:11], s[0:1], 0x40
	s_load_b64 s[2:3], s[0:1], 0x50
	v_lshlrev_b64_e32 v[8:9], 3, v[12:13]
	s_mov_b32 s7, 0
	s_wait_kmcnt 0x0
	s_delay_alu instid0(VALU_DEP_1)
	v_add_nc_u64_e32 v[14:15], s[10:11], v[8:9]
	v_add_nc_u64_e32 v[16:17], s[8:9], v[8:9]
	v_mov_b64_e32 v[8:9], 0
.LBB41_8:                               ; =>This Inner Loop Header: Depth=1
	global_load_b64 v[18:19], v[16:17], off
	global_load_b64 v[20:21], v[14:15], off
	v_add_nc_u64_e32 v[12:13], 64, v[12:13]
	s_wait_xcnt 0x0
	v_add_nc_u64_e32 v[14:15], 0x200, v[14:15]
	v_add_nc_u64_e32 v[16:17], 0x200, v[16:17]
	s_delay_alu instid0(VALU_DEP_3)
	v_cmp_ge_i64_e32 vcc_lo, v[12:13], v[10:11]
	s_or_b32 s7, vcc_lo, s7
	s_wait_loadcnt 0x1
	v_sub_nc_u64_e64 v[18:19], v[18:19], s[4:5]
	s_wait_loadcnt 0x0
	v_mul_f64_e32 v[20:21], v[6:7], v[20:21]
	s_delay_alu instid0(VALU_DEP_2)
	v_lshl_add_u64 v[18:19], v[18:19], 3, s[2:3]
	global_load_b64 v[18:19], v[18:19], off
	s_wait_loadcnt 0x0
	v_fmac_f64_e32 v[8:9], v[20:21], v[18:19]
	s_and_not1_b32 exec_lo, exec_lo, s7
	s_cbranch_execnz .LBB41_8
; %bb.9:
	s_or_b32 exec_lo, exec_lo, s7
.LBB41_10:
	s_delay_alu instid0(SALU_CYCLE_1) | instskip(SKIP_2) | instid1(VALU_DEP_1)
	s_or_b32 exec_lo, exec_lo, s6
	v_mbcnt_lo_u32_b32 v1, -1, 0
	s_load_b64 s[0:1], s[0:1], 0x60
	v_or_b32_e32 v6, 32, v1
	s_delay_alu instid0(VALU_DEP_1) | instskip(SKIP_1) | instid1(VALU_DEP_1)
	v_cmp_gt_i32_e32 vcc_lo, 32, v6
	v_cndmask_b32_e32 v6, v1, v6, vcc_lo
	v_lshlrev_b32_e32 v7, 2, v6
	ds_bpermute_b32 v6, v7, v8
	ds_bpermute_b32 v7, v7, v9
	s_wait_dscnt 0x0
	v_dual_add_f64 v[6:7], v[8:9], v[6:7] :: v_dual_bitop2_b32 v8, 16, v1 bitop3:0x14
	s_delay_alu instid0(VALU_DEP_1) | instskip(SKIP_1) | instid1(VALU_DEP_1)
	v_cmp_gt_i32_e32 vcc_lo, 32, v8
	v_cndmask_b32_e32 v8, v1, v8, vcc_lo
	v_lshlrev_b32_e32 v9, 2, v8
	ds_bpermute_b32 v8, v9, v6
	ds_bpermute_b32 v9, v9, v7
	s_wait_dscnt 0x0
	v_add_f64_e32 v[6:7], v[6:7], v[8:9]
	v_xor_b32_e32 v8, 8, v1
	s_delay_alu instid0(VALU_DEP_1) | instskip(SKIP_1) | instid1(VALU_DEP_1)
	v_cmp_gt_i32_e32 vcc_lo, 32, v8
	v_cndmask_b32_e32 v8, v1, v8, vcc_lo
	v_lshlrev_b32_e32 v9, 2, v8
	ds_bpermute_b32 v8, v9, v6
	ds_bpermute_b32 v9, v9, v7
	s_wait_dscnt 0x0
	v_add_f64_e32 v[6:7], v[6:7], v[8:9]
	v_xor_b32_e32 v8, 4, v1
	;; [unrolled: 9-line block ×4, first 2 shown]
	s_delay_alu instid0(VALU_DEP_1) | instskip(SKIP_2) | instid1(VALU_DEP_2)
	v_cmp_gt_i32_e32 vcc_lo, 32, v8
	v_cndmask_b32_e32 v1, v1, v8, vcc_lo
	v_cmp_eq_u32_e32 vcc_lo, 63, v0
	v_lshlrev_b32_e32 v1, 2, v1
	ds_bpermute_b32 v8, v1, v6
	ds_bpermute_b32 v9, v1, v7
	s_and_b32 exec_lo, exec_lo, vcc_lo
	s_cbranch_execz .LBB41_14
; %bb.11:
	s_wait_dscnt 0x0
	v_add_f64_e32 v[0:1], v[6:7], v[8:9]
	s_wait_kmcnt 0x0
	v_lshl_add_u64 v[4:5], v[4:5], 3, s[0:1]
	s_mov_b32 s0, exec_lo
	v_cmpx_neq_f64_e32 0, v[2:3]
	s_cbranch_execz .LBB41_13
; %bb.12:
	global_load_b64 v[6:7], v[4:5], off
	s_wait_loadcnt 0x0
	v_fmac_f64_e32 v[0:1], v[2:3], v[6:7]
.LBB41_13:
	s_or_b32 exec_lo, exec_lo, s0
	global_store_b64 v[4:5], v[0:1], off
.LBB41_14:
	s_endpgm
	.section	.rodata,"a",@progbits
	.p2align	6, 0x0
	.amdhsa_kernel _ZN9rocsparseL41csrmvn_lrb_medium_rows_warp_reduce_kernelILj256ELj64EllddddEEvbT1_lPT2_S3_jNS_24const_host_device_scalarIT6_EEPKS1_PKS2_PKT3_PKT4_S6_PT5_21rocsparse_index_base_b
		.amdhsa_group_segment_fixed_size 0
		.amdhsa_private_segment_fixed_size 0
		.amdhsa_kernarg_size 112
		.amdhsa_user_sgpr_count 2
		.amdhsa_user_sgpr_dispatch_ptr 0
		.amdhsa_user_sgpr_queue_ptr 0
		.amdhsa_user_sgpr_kernarg_segment_ptr 1
		.amdhsa_user_sgpr_dispatch_id 0
		.amdhsa_user_sgpr_kernarg_preload_length 0
		.amdhsa_user_sgpr_kernarg_preload_offset 0
		.amdhsa_user_sgpr_private_segment_size 0
		.amdhsa_wavefront_size32 1
		.amdhsa_uses_dynamic_stack 0
		.amdhsa_enable_private_segment 0
		.amdhsa_system_sgpr_workgroup_id_x 1
		.amdhsa_system_sgpr_workgroup_id_y 0
		.amdhsa_system_sgpr_workgroup_id_z 0
		.amdhsa_system_sgpr_workgroup_info 0
		.amdhsa_system_vgpr_workitem_id 0
		.amdhsa_next_free_vgpr 22
		.amdhsa_next_free_sgpr 12
		.amdhsa_named_barrier_count 0
		.amdhsa_reserve_vcc 1
		.amdhsa_float_round_mode_32 0
		.amdhsa_float_round_mode_16_64 0
		.amdhsa_float_denorm_mode_32 3
		.amdhsa_float_denorm_mode_16_64 3
		.amdhsa_fp16_overflow 0
		.amdhsa_memory_ordered 1
		.amdhsa_forward_progress 1
		.amdhsa_inst_pref_size 8
		.amdhsa_round_robin_scheduling 0
		.amdhsa_exception_fp_ieee_invalid_op 0
		.amdhsa_exception_fp_denorm_src 0
		.amdhsa_exception_fp_ieee_div_zero 0
		.amdhsa_exception_fp_ieee_overflow 0
		.amdhsa_exception_fp_ieee_underflow 0
		.amdhsa_exception_fp_ieee_inexact 0
		.amdhsa_exception_int_div_zero 0
	.end_amdhsa_kernel
	.section	.text._ZN9rocsparseL41csrmvn_lrb_medium_rows_warp_reduce_kernelILj256ELj64EllddddEEvbT1_lPT2_S3_jNS_24const_host_device_scalarIT6_EEPKS1_PKS2_PKT3_PKT4_S6_PT5_21rocsparse_index_base_b,"axG",@progbits,_ZN9rocsparseL41csrmvn_lrb_medium_rows_warp_reduce_kernelILj256ELj64EllddddEEvbT1_lPT2_S3_jNS_24const_host_device_scalarIT6_EEPKS1_PKS2_PKT3_PKT4_S6_PT5_21rocsparse_index_base_b,comdat
.Lfunc_end41:
	.size	_ZN9rocsparseL41csrmvn_lrb_medium_rows_warp_reduce_kernelILj256ELj64EllddddEEvbT1_lPT2_S3_jNS_24const_host_device_scalarIT6_EEPKS1_PKS2_PKT3_PKT4_S6_PT5_21rocsparse_index_base_b, .Lfunc_end41-_ZN9rocsparseL41csrmvn_lrb_medium_rows_warp_reduce_kernelILj256ELj64EllddddEEvbT1_lPT2_S3_jNS_24const_host_device_scalarIT6_EEPKS1_PKS2_PKT3_PKT4_S6_PT5_21rocsparse_index_base_b
                                        ; -- End function
	.set _ZN9rocsparseL41csrmvn_lrb_medium_rows_warp_reduce_kernelILj256ELj64EllddddEEvbT1_lPT2_S3_jNS_24const_host_device_scalarIT6_EEPKS1_PKS2_PKT3_PKT4_S6_PT5_21rocsparse_index_base_b.num_vgpr, 22
	.set _ZN9rocsparseL41csrmvn_lrb_medium_rows_warp_reduce_kernelILj256ELj64EllddddEEvbT1_lPT2_S3_jNS_24const_host_device_scalarIT6_EEPKS1_PKS2_PKT3_PKT4_S6_PT5_21rocsparse_index_base_b.num_agpr, 0
	.set _ZN9rocsparseL41csrmvn_lrb_medium_rows_warp_reduce_kernelILj256ELj64EllddddEEvbT1_lPT2_S3_jNS_24const_host_device_scalarIT6_EEPKS1_PKS2_PKT3_PKT4_S6_PT5_21rocsparse_index_base_b.numbered_sgpr, 12
	.set _ZN9rocsparseL41csrmvn_lrb_medium_rows_warp_reduce_kernelILj256ELj64EllddddEEvbT1_lPT2_S3_jNS_24const_host_device_scalarIT6_EEPKS1_PKS2_PKT3_PKT4_S6_PT5_21rocsparse_index_base_b.num_named_barrier, 0
	.set _ZN9rocsparseL41csrmvn_lrb_medium_rows_warp_reduce_kernelILj256ELj64EllddddEEvbT1_lPT2_S3_jNS_24const_host_device_scalarIT6_EEPKS1_PKS2_PKT3_PKT4_S6_PT5_21rocsparse_index_base_b.private_seg_size, 0
	.set _ZN9rocsparseL41csrmvn_lrb_medium_rows_warp_reduce_kernelILj256ELj64EllddddEEvbT1_lPT2_S3_jNS_24const_host_device_scalarIT6_EEPKS1_PKS2_PKT3_PKT4_S6_PT5_21rocsparse_index_base_b.uses_vcc, 1
	.set _ZN9rocsparseL41csrmvn_lrb_medium_rows_warp_reduce_kernelILj256ELj64EllddddEEvbT1_lPT2_S3_jNS_24const_host_device_scalarIT6_EEPKS1_PKS2_PKT3_PKT4_S6_PT5_21rocsparse_index_base_b.uses_flat_scratch, 0
	.set _ZN9rocsparseL41csrmvn_lrb_medium_rows_warp_reduce_kernelILj256ELj64EllddddEEvbT1_lPT2_S3_jNS_24const_host_device_scalarIT6_EEPKS1_PKS2_PKT3_PKT4_S6_PT5_21rocsparse_index_base_b.has_dyn_sized_stack, 0
	.set _ZN9rocsparseL41csrmvn_lrb_medium_rows_warp_reduce_kernelILj256ELj64EllddddEEvbT1_lPT2_S3_jNS_24const_host_device_scalarIT6_EEPKS1_PKS2_PKT3_PKT4_S6_PT5_21rocsparse_index_base_b.has_recursion, 0
	.set _ZN9rocsparseL41csrmvn_lrb_medium_rows_warp_reduce_kernelILj256ELj64EllddddEEvbT1_lPT2_S3_jNS_24const_host_device_scalarIT6_EEPKS1_PKS2_PKT3_PKT4_S6_PT5_21rocsparse_index_base_b.has_indirect_call, 0
	.section	.AMDGPU.csdata,"",@progbits
; Kernel info:
; codeLenInByte = 936
; TotalNumSgprs: 14
; NumVgprs: 22
; ScratchSize: 0
; MemoryBound: 0
; FloatMode: 240
; IeeeMode: 1
; LDSByteSize: 0 bytes/workgroup (compile time only)
; SGPRBlocks: 0
; VGPRBlocks: 1
; NumSGPRsForWavesPerEU: 14
; NumVGPRsForWavesPerEU: 22
; NamedBarCnt: 0
; Occupancy: 16
; WaveLimiterHint : 1
; COMPUTE_PGM_RSRC2:SCRATCH_EN: 0
; COMPUTE_PGM_RSRC2:USER_SGPR: 2
; COMPUTE_PGM_RSRC2:TRAP_HANDLER: 0
; COMPUTE_PGM_RSRC2:TGID_X_EN: 1
; COMPUTE_PGM_RSRC2:TGID_Y_EN: 0
; COMPUTE_PGM_RSRC2:TGID_Z_EN: 0
; COMPUTE_PGM_RSRC2:TIDIG_COMP_CNT: 0
	.section	.text._ZN9rocsparseL29csrmvn_lrb_medium_rows_kernelILj256EllddddEEvbT0_PT1_S3_jNS_24const_host_device_scalarIT5_EEPKS1_PKS2_PKT2_PKT3_S6_PT4_21rocsparse_index_base_b,"axG",@progbits,_ZN9rocsparseL29csrmvn_lrb_medium_rows_kernelILj256EllddddEEvbT0_PT1_S3_jNS_24const_host_device_scalarIT5_EEPKS1_PKS2_PKT2_PKT3_S6_PT4_21rocsparse_index_base_b,comdat
	.globl	_ZN9rocsparseL29csrmvn_lrb_medium_rows_kernelILj256EllddddEEvbT0_PT1_S3_jNS_24const_host_device_scalarIT5_EEPKS1_PKS2_PKT2_PKT3_S6_PT4_21rocsparse_index_base_b ; -- Begin function _ZN9rocsparseL29csrmvn_lrb_medium_rows_kernelILj256EllddddEEvbT0_PT1_S3_jNS_24const_host_device_scalarIT5_EEPKS1_PKS2_PKT2_PKT3_S6_PT4_21rocsparse_index_base_b
	.p2align	8
	.type	_ZN9rocsparseL29csrmvn_lrb_medium_rows_kernelILj256EllddddEEvbT0_PT1_S3_jNS_24const_host_device_scalarIT5_EEPKS1_PKS2_PKT2_PKT3_S6_PT4_21rocsparse_index_base_b,@function
_ZN9rocsparseL29csrmvn_lrb_medium_rows_kernelILj256EllddddEEvbT0_PT1_S3_jNS_24const_host_device_scalarIT5_EEPKS1_PKS2_PKT2_PKT3_S6_PT4_21rocsparse_index_base_b: ; @_ZN9rocsparseL29csrmvn_lrb_medium_rows_kernelILj256EllddddEEvbT0_PT1_S3_jNS_24const_host_device_scalarIT5_EEPKS1_PKS2_PKT2_PKT3_S6_PT4_21rocsparse_index_base_b
; %bb.0:
	s_clause 0x2
	s_load_b64 s[4:5], s[0:1], 0x60
	s_load_b64 s[6:7], s[0:1], 0x28
	;; [unrolled: 1-line block ×3, first 2 shown]
	s_wait_kmcnt 0x0
	s_bitcmp1_b32 s5, 0
	v_mov_b64_e32 v[4:5], s[6:7]
	s_cselect_b32 s5, -1, 0
	s_delay_alu instid0(SALU_CYCLE_1)
	s_and_b32 vcc_lo, exec_lo, s5
	s_xor_b32 s5, s5, -1
	s_cbranch_vccnz .LBB42_2
; %bb.1:
	v_mov_b32_e32 v1, 0
	flat_load_b64 v[4:5], v1, s[6:7]
.LBB42_2:
	v_mov_b64_e32 v[2:3], s[2:3]
	s_and_not1_b32 vcc_lo, exec_lo, s5
	s_cbranch_vccnz .LBB42_4
; %bb.3:
	s_wait_xcnt 0x0
	v_mov_b32_e32 v1, 0
	flat_load_b64 v[2:3], v1, s[2:3]
.LBB42_4:
	s_wait_loadcnt_dscnt 0x0
	v_cmp_neq_f64_e32 vcc_lo, 0, v[4:5]
	s_delay_alu instid0(VALU_DEP_2) | instskip(SKIP_1) | instid1(SALU_CYCLE_1)
	v_cmp_neq_f64_e64 s2, 1.0, v[2:3]
	s_or_b32 s2, vcc_lo, s2
	s_and_saveexec_b32 s3, s2
	s_cbranch_execz .LBB42_29
; %bb.5:
	s_clause 0x1
	s_load_b128 s[8:11], s[0:1], 0x10
	s_load_b32 s2, s[0:1], 0x20
	s_bfe_u32 s5, ttmp6, 0x4000c
	s_and_b32 s6, ttmp6, 15
	s_add_co_i32 s5, s5, 1
	s_getreg_b32 s7, hwreg(HW_REG_IB_STS2, 6, 4)
	s_mul_i32 s5, ttmp9, s5
	v_mov_b32_e32 v1, 0
	s_add_co_i32 s6, s6, s5
	s_cmp_eq_u32 s7, 0
	s_mov_b32 s5, 0
	s_cselect_b32 s6, ttmp9, s6
	v_sub_nc_u64_e64 v[6:7], v[0:1], s[4:5]
	s_ashr_i32 s7, s6, 31
	s_delay_alu instid0(SALU_CYCLE_1) | instskip(SKIP_4) | instid1(SALU_CYCLE_1)
	s_lshl_b64 s[6:7], s[6:7], 3
	s_wait_kmcnt 0x0
	s_load_b64 s[2:3], s[10:11], s2 offset:0x0 scale_offset
	s_wait_kmcnt 0x0
	s_lshl_b64 s[2:3], s[2:3], 3
	s_add_nc_u64 s[2:3], s[8:9], s[2:3]
	s_delay_alu instid0(SALU_CYCLE_1) | instskip(SKIP_4) | instid1(SALU_CYCLE_1)
	s_add_nc_u64 s[2:3], s[2:3], s[6:7]
	s_load_b64 s[6:7], s[2:3], 0x0
	s_load_b64 s[8:9], s[0:1], 0x30
	s_wait_kmcnt 0x0
	s_lshl_b64 s[2:3], s[6:7], 3
	s_add_nc_u64 s[6:7], s[8:9], s[2:3]
	s_load_b128 s[8:11], s[6:7], 0x0
	s_wait_kmcnt 0x0
	v_add_nc_u64_e32 v[8:9], s[8:9], v[6:7]
	v_mov_b64_e32 v[6:7], 0
	s_sub_nc_u64 s[6:7], s[10:11], s[4:5]
	s_mov_b32 s10, exec_lo
	s_delay_alu instid0(VALU_DEP_2)
	v_cmpx_gt_i64_e64 s[6:7], v[8:9]
	s_cbranch_execz .LBB42_9
; %bb.6:
	s_clause 0x1
	s_load_b128 s[12:15], s[0:1], 0x38
	s_load_b64 s[8:9], s[0:1], 0x48
	v_lshlrev_b64_e32 v[6:7], 3, v[8:9]
	s_mov_b32 s11, s5
	s_wait_kmcnt 0x0
	s_delay_alu instid0(VALU_DEP_1)
	v_add_nc_u64_e32 v[10:11], s[14:15], v[6:7]
	v_add_nc_u64_e32 v[12:13], s[12:13], v[6:7]
	v_mov_b64_e32 v[6:7], 0
.LBB42_7:                               ; =>This Inner Loop Header: Depth=1
	global_load_b64 v[14:15], v[12:13], off
	global_load_b64 v[16:17], v[10:11], off
	v_add_nc_u64_e32 v[8:9], 0x100, v[8:9]
	s_wait_xcnt 0x0
	v_add_nc_u64_e32 v[10:11], 0x800, v[10:11]
	v_add_nc_u64_e32 v[12:13], 0x800, v[12:13]
	s_delay_alu instid0(VALU_DEP_3)
	v_cmp_le_i64_e32 vcc_lo, s[6:7], v[8:9]
	s_or_b32 s11, vcc_lo, s11
	s_wait_loadcnt 0x1
	v_sub_nc_u64_e64 v[14:15], v[14:15], s[4:5]
	s_wait_loadcnt 0x0
	v_mul_f64_e32 v[16:17], v[4:5], v[16:17]
	s_delay_alu instid0(VALU_DEP_2)
	v_lshl_add_u64 v[14:15], v[14:15], 3, s[8:9]
	global_load_b64 v[14:15], v[14:15], off
	s_wait_loadcnt 0x0
	v_fmac_f64_e32 v[6:7], v[16:17], v[14:15]
	s_and_not1_b32 exec_lo, exec_lo, s11
	s_cbranch_execnz .LBB42_7
; %bb.8:
	s_or_b32 exec_lo, exec_lo, s11
.LBB42_9:
	s_delay_alu instid0(SALU_CYCLE_1)
	s_or_b32 exec_lo, exec_lo, s10
	s_load_b64 s[0:1], s[0:1], 0x58
	v_lshlrev_b32_e32 v1, 3, v0
	s_mov_b32 s4, exec_lo
	ds_store_b64 v1, v[6:7]
	s_wait_dscnt 0x0
	s_barrier_signal -1
	s_barrier_wait -1
	v_cmpx_gt_u32_e32 0x80, v0
	s_cbranch_execz .LBB42_11
; %bb.10:
	ds_load_2addr_stride64_b64 v[4:7], v1 offset1:2
	s_wait_dscnt 0x0
	v_add_f64_e32 v[4:5], v[4:5], v[6:7]
	ds_store_b64 v1, v[4:5]
.LBB42_11:
	s_or_b32 exec_lo, exec_lo, s4
	s_delay_alu instid0(SALU_CYCLE_1)
	s_mov_b32 s4, exec_lo
	s_wait_dscnt 0x0
	s_barrier_signal -1
	s_barrier_wait -1
	v_cmpx_gt_u32_e32 64, v0
	s_cbranch_execz .LBB42_13
; %bb.12:
	ds_load_2addr_stride64_b64 v[4:7], v1 offset1:1
	s_wait_dscnt 0x0
	v_add_f64_e32 v[4:5], v[4:5], v[6:7]
	ds_store_b64 v1, v[4:5]
.LBB42_13:
	s_or_b32 exec_lo, exec_lo, s4
	s_delay_alu instid0(SALU_CYCLE_1)
	s_mov_b32 s4, exec_lo
	s_wait_dscnt 0x0
	s_barrier_signal -1
	s_barrier_wait -1
	v_cmpx_gt_u32_e32 32, v0
	s_cbranch_execz .LBB42_15
; %bb.14:
	ds_load_2addr_b64 v[4:7], v1 offset1:32
	s_wait_dscnt 0x0
	v_add_f64_e32 v[4:5], v[4:5], v[6:7]
	ds_store_b64 v1, v[4:5]
.LBB42_15:
	s_or_b32 exec_lo, exec_lo, s4
	s_delay_alu instid0(SALU_CYCLE_1)
	s_mov_b32 s4, exec_lo
	s_wait_dscnt 0x0
	s_barrier_signal -1
	s_barrier_wait -1
	v_cmpx_gt_u32_e32 16, v0
	s_cbranch_execz .LBB42_17
; %bb.16:
	ds_load_2addr_b64 v[4:7], v1 offset1:16
	s_wait_dscnt 0x0
	v_add_f64_e32 v[4:5], v[4:5], v[6:7]
	ds_store_b64 v1, v[4:5]
.LBB42_17:
	;; [unrolled: 14-line block ×5, first 2 shown]
	s_or_b32 exec_lo, exec_lo, s4
	v_cmp_eq_u32_e32 vcc_lo, 0, v0
	s_wait_dscnt 0x0
	s_barrier_signal -1
	s_barrier_wait -1
	s_and_saveexec_b32 s4, vcc_lo
	s_cbranch_execz .LBB42_25
; %bb.24:
	v_mov_b32_e32 v8, 0
	ds_load_b128 v[4:7], v8
	s_wait_dscnt 0x0
	v_add_f64_e32 v[0:1], v[4:5], v[6:7]
	ds_store_b64 v8, v[0:1]
.LBB42_25:
	s_or_b32 exec_lo, exec_lo, s4
	s_wait_dscnt 0x0
	s_barrier_signal -1
	s_barrier_wait -1
	s_and_b32 exec_lo, exec_lo, vcc_lo
	s_cbranch_execz .LBB42_29
; %bb.26:
	v_mov_b32_e32 v4, 0
	s_mov_b32 s4, exec_lo
	ds_load_b64 v[0:1], v4
	v_cmpx_neq_f64_e32 0, v[2:3]
	s_cbranch_execz .LBB42_28
; %bb.27:
	s_wait_kmcnt 0x0
	s_add_nc_u64 s[6:7], s[0:1], s[2:3]
	s_load_b64 s[6:7], s[6:7], 0x0
	s_wait_dscnt 0x0
	s_wait_kmcnt 0x0
	v_fmac_f64_e32 v[0:1], s[6:7], v[2:3]
.LBB42_28:
	s_or_b32 exec_lo, exec_lo, s4
	s_wait_kmcnt 0x0
	s_add_nc_u64 s[0:1], s[0:1], s[2:3]
	s_wait_dscnt 0x0
	global_store_b64 v4, v[0:1], s[0:1]
.LBB42_29:
	s_endpgm
	.section	.rodata,"a",@progbits
	.p2align	6, 0x0
	.amdhsa_kernel _ZN9rocsparseL29csrmvn_lrb_medium_rows_kernelILj256EllddddEEvbT0_PT1_S3_jNS_24const_host_device_scalarIT5_EEPKS1_PKS2_PKT2_PKT3_S6_PT4_21rocsparse_index_base_b
		.amdhsa_group_segment_fixed_size 2048
		.amdhsa_private_segment_fixed_size 0
		.amdhsa_kernarg_size 104
		.amdhsa_user_sgpr_count 2
		.amdhsa_user_sgpr_dispatch_ptr 0
		.amdhsa_user_sgpr_queue_ptr 0
		.amdhsa_user_sgpr_kernarg_segment_ptr 1
		.amdhsa_user_sgpr_dispatch_id 0
		.amdhsa_user_sgpr_kernarg_preload_length 0
		.amdhsa_user_sgpr_kernarg_preload_offset 0
		.amdhsa_user_sgpr_private_segment_size 0
		.amdhsa_wavefront_size32 1
		.amdhsa_uses_dynamic_stack 0
		.amdhsa_enable_private_segment 0
		.amdhsa_system_sgpr_workgroup_id_x 1
		.amdhsa_system_sgpr_workgroup_id_y 0
		.amdhsa_system_sgpr_workgroup_id_z 0
		.amdhsa_system_sgpr_workgroup_info 0
		.amdhsa_system_vgpr_workitem_id 0
		.amdhsa_next_free_vgpr 18
		.amdhsa_next_free_sgpr 16
		.amdhsa_named_barrier_count 0
		.amdhsa_reserve_vcc 1
		.amdhsa_float_round_mode_32 0
		.amdhsa_float_round_mode_16_64 0
		.amdhsa_float_denorm_mode_32 3
		.amdhsa_float_denorm_mode_16_64 3
		.amdhsa_fp16_overflow 0
		.amdhsa_memory_ordered 1
		.amdhsa_forward_progress 1
		.amdhsa_inst_pref_size 9
		.amdhsa_round_robin_scheduling 0
		.amdhsa_exception_fp_ieee_invalid_op 0
		.amdhsa_exception_fp_denorm_src 0
		.amdhsa_exception_fp_ieee_div_zero 0
		.amdhsa_exception_fp_ieee_overflow 0
		.amdhsa_exception_fp_ieee_underflow 0
		.amdhsa_exception_fp_ieee_inexact 0
		.amdhsa_exception_int_div_zero 0
	.end_amdhsa_kernel
	.section	.text._ZN9rocsparseL29csrmvn_lrb_medium_rows_kernelILj256EllddddEEvbT0_PT1_S3_jNS_24const_host_device_scalarIT5_EEPKS1_PKS2_PKT2_PKT3_S6_PT4_21rocsparse_index_base_b,"axG",@progbits,_ZN9rocsparseL29csrmvn_lrb_medium_rows_kernelILj256EllddddEEvbT0_PT1_S3_jNS_24const_host_device_scalarIT5_EEPKS1_PKS2_PKT2_PKT3_S6_PT4_21rocsparse_index_base_b,comdat
.Lfunc_end42:
	.size	_ZN9rocsparseL29csrmvn_lrb_medium_rows_kernelILj256EllddddEEvbT0_PT1_S3_jNS_24const_host_device_scalarIT5_EEPKS1_PKS2_PKT2_PKT3_S6_PT4_21rocsparse_index_base_b, .Lfunc_end42-_ZN9rocsparseL29csrmvn_lrb_medium_rows_kernelILj256EllddddEEvbT0_PT1_S3_jNS_24const_host_device_scalarIT5_EEPKS1_PKS2_PKT2_PKT3_S6_PT4_21rocsparse_index_base_b
                                        ; -- End function
	.set _ZN9rocsparseL29csrmvn_lrb_medium_rows_kernelILj256EllddddEEvbT0_PT1_S3_jNS_24const_host_device_scalarIT5_EEPKS1_PKS2_PKT2_PKT3_S6_PT4_21rocsparse_index_base_b.num_vgpr, 18
	.set _ZN9rocsparseL29csrmvn_lrb_medium_rows_kernelILj256EllddddEEvbT0_PT1_S3_jNS_24const_host_device_scalarIT5_EEPKS1_PKS2_PKT2_PKT3_S6_PT4_21rocsparse_index_base_b.num_agpr, 0
	.set _ZN9rocsparseL29csrmvn_lrb_medium_rows_kernelILj256EllddddEEvbT0_PT1_S3_jNS_24const_host_device_scalarIT5_EEPKS1_PKS2_PKT2_PKT3_S6_PT4_21rocsparse_index_base_b.numbered_sgpr, 16
	.set _ZN9rocsparseL29csrmvn_lrb_medium_rows_kernelILj256EllddddEEvbT0_PT1_S3_jNS_24const_host_device_scalarIT5_EEPKS1_PKS2_PKT2_PKT3_S6_PT4_21rocsparse_index_base_b.num_named_barrier, 0
	.set _ZN9rocsparseL29csrmvn_lrb_medium_rows_kernelILj256EllddddEEvbT0_PT1_S3_jNS_24const_host_device_scalarIT5_EEPKS1_PKS2_PKT2_PKT3_S6_PT4_21rocsparse_index_base_b.private_seg_size, 0
	.set _ZN9rocsparseL29csrmvn_lrb_medium_rows_kernelILj256EllddddEEvbT0_PT1_S3_jNS_24const_host_device_scalarIT5_EEPKS1_PKS2_PKT2_PKT3_S6_PT4_21rocsparse_index_base_b.uses_vcc, 1
	.set _ZN9rocsparseL29csrmvn_lrb_medium_rows_kernelILj256EllddddEEvbT0_PT1_S3_jNS_24const_host_device_scalarIT5_EEPKS1_PKS2_PKT2_PKT3_S6_PT4_21rocsparse_index_base_b.uses_flat_scratch, 0
	.set _ZN9rocsparseL29csrmvn_lrb_medium_rows_kernelILj256EllddddEEvbT0_PT1_S3_jNS_24const_host_device_scalarIT5_EEPKS1_PKS2_PKT2_PKT3_S6_PT4_21rocsparse_index_base_b.has_dyn_sized_stack, 0
	.set _ZN9rocsparseL29csrmvn_lrb_medium_rows_kernelILj256EllddddEEvbT0_PT1_S3_jNS_24const_host_device_scalarIT5_EEPKS1_PKS2_PKT2_PKT3_S6_PT4_21rocsparse_index_base_b.has_recursion, 0
	.set _ZN9rocsparseL29csrmvn_lrb_medium_rows_kernelILj256EllddddEEvbT0_PT1_S3_jNS_24const_host_device_scalarIT5_EEPKS1_PKS2_PKT2_PKT3_S6_PT4_21rocsparse_index_base_b.has_indirect_call, 0
	.section	.AMDGPU.csdata,"",@progbits
; Kernel info:
; codeLenInByte = 1084
; TotalNumSgprs: 18
; NumVgprs: 18
; ScratchSize: 0
; MemoryBound: 0
; FloatMode: 240
; IeeeMode: 1
; LDSByteSize: 2048 bytes/workgroup (compile time only)
; SGPRBlocks: 0
; VGPRBlocks: 1
; NumSGPRsForWavesPerEU: 18
; NumVGPRsForWavesPerEU: 18
; NamedBarCnt: 0
; Occupancy: 16
; WaveLimiterHint : 1
; COMPUTE_PGM_RSRC2:SCRATCH_EN: 0
; COMPUTE_PGM_RSRC2:USER_SGPR: 2
; COMPUTE_PGM_RSRC2:TRAP_HANDLER: 0
; COMPUTE_PGM_RSRC2:TGID_X_EN: 1
; COMPUTE_PGM_RSRC2:TGID_Y_EN: 0
; COMPUTE_PGM_RSRC2:TGID_Z_EN: 0
; COMPUTE_PGM_RSRC2:TIDIG_COMP_CNT: 0
	.section	.text._ZN9rocsparseL27csrmvn_lrb_long_rows_kernelIllddddEEvbT_PjPT0_S4_jNS_24const_host_device_scalarIT4_EEPKS1_PKS3_PKT1_PKT2_S7_PT3_21rocsparse_index_base_b,"axG",@progbits,_ZN9rocsparseL27csrmvn_lrb_long_rows_kernelIllddddEEvbT_PjPT0_S4_jNS_24const_host_device_scalarIT4_EEPKS1_PKS3_PKT1_PKT2_S7_PT3_21rocsparse_index_base_b,comdat
	.globl	_ZN9rocsparseL27csrmvn_lrb_long_rows_kernelIllddddEEvbT_PjPT0_S4_jNS_24const_host_device_scalarIT4_EEPKS1_PKS3_PKT1_PKT2_S7_PT3_21rocsparse_index_base_b ; -- Begin function _ZN9rocsparseL27csrmvn_lrb_long_rows_kernelIllddddEEvbT_PjPT0_S4_jNS_24const_host_device_scalarIT4_EEPKS1_PKS3_PKT1_PKT2_S7_PT3_21rocsparse_index_base_b
	.p2align	8
	.type	_ZN9rocsparseL27csrmvn_lrb_long_rows_kernelIllddddEEvbT_PjPT0_S4_jNS_24const_host_device_scalarIT4_EEPKS1_PKS3_PKT1_PKT2_S7_PT3_21rocsparse_index_base_b,@function
_ZN9rocsparseL27csrmvn_lrb_long_rows_kernelIllddddEEvbT_PjPT0_S4_jNS_24const_host_device_scalarIT4_EEPKS1_PKS3_PKT1_PKT2_S7_PT3_21rocsparse_index_base_b: ; @_ZN9rocsparseL27csrmvn_lrb_long_rows_kernelIllddddEEvbT_PjPT0_S4_jNS_24const_host_device_scalarIT4_EEPKS1_PKS3_PKT1_PKT2_S7_PT3_21rocsparse_index_base_b
; %bb.0:
	s_clause 0x2
	s_load_b64 s[18:19], s[0:1], 0x68
	s_load_b64 s[4:5], s[0:1], 0x30
	;; [unrolled: 1-line block ×3, first 2 shown]
	s_wait_kmcnt 0x0
	s_bitcmp1_b32 s19, 0
	v_mov_b64_e32 v[2:3], s[4:5]
	s_cselect_b32 s6, -1, 0
	s_delay_alu instid0(SALU_CYCLE_1)
	s_and_b32 vcc_lo, exec_lo, s6
	s_xor_b32 s6, s6, -1
	s_cbranch_vccnz .LBB43_2
; %bb.1:
	v_mov_b32_e32 v1, 0
	flat_load_b64 v[2:3], v1, s[4:5]
.LBB43_2:
	v_mov_b64_e32 v[4:5], s[2:3]
	s_and_not1_b32 vcc_lo, exec_lo, s6
	s_cbranch_vccnz .LBB43_4
; %bb.3:
	s_wait_xcnt 0x0
	v_mov_b32_e32 v1, 0
	flat_load_b64 v[4:5], v1, s[2:3]
.LBB43_4:
	s_wait_loadcnt_dscnt 0x0
	v_cmp_neq_f64_e32 vcc_lo, 0, v[2:3]
	s_delay_alu instid0(VALU_DEP_2) | instskip(SKIP_1) | instid1(SALU_CYCLE_1)
	v_cmp_neq_f64_e64 s2, 1.0, v[4:5]
	s_or_b32 s2, vcc_lo, s2
	s_and_saveexec_b32 s3, s2
	s_cbranch_execz .LBB43_38
; %bb.5:
	s_clause 0x1
	s_load_b96 s[8:10], s[0:1], 0x20
	s_load_b128 s[4:7], s[0:1], 0x10
	s_bfe_u32 s12, ttmp6, 0x4000c
	s_and_b32 s11, ttmp6, 15
	s_add_co_i32 s12, s12, 1
	s_getreg_b32 s13, hwreg(HW_REG_IB_STS2, 6, 4)
	v_mov_b64_e32 v[6:7], 0
	s_mov_b32 s23, exec_lo
	s_wait_kmcnt 0x0
	s_lshl_b32 s2, -1, s10
	s_delay_alu instid0(SALU_CYCLE_1) | instskip(NEXT) | instid1(SALU_CYCLE_1)
	s_not_b32 s2, s2
	s_mul_hi_u32 s2, s2, 0x2aaaaaab
	s_delay_alu instid0(SALU_CYCLE_1) | instskip(NEXT) | instid1(SALU_CYCLE_1)
	s_lshr_b32 s2, s2, 7
	s_add_co_i32 s19, s2, 1
	s_not_b32 s2, s2
	s_cvt_f32_u32 s3, s19
	s_delay_alu instid0(SALU_CYCLE_3) | instskip(SKIP_1) | instid1(TRANS32_DEP_1)
	v_rcp_iflag_f32_e32 v1, s3
	v_nop
	v_readfirstlane_b32 s3, v1
	s_mul_f32 s3, s3, 0x4f7ffffe
	s_delay_alu instid0(SALU_CYCLE_3) | instskip(SKIP_1) | instid1(SALU_CYCLE_1)
	s_cvt_u32_f32 s14, s3
	s_mul_i32 s3, ttmp9, s12
	s_add_co_i32 s11, s11, s3
	s_delay_alu instid0(SALU_CYCLE_1) | instskip(NEXT) | instid1(SALU_CYCLE_1)
	s_mul_i32 s2, s2, s14
	s_mul_hi_u32 s12, s14, s2
	s_load_b64 s[2:3], s[8:9], s10 offset:0x0 scale_offset
	s_add_co_i32 s14, s14, s12
	s_cmp_eq_u32 s13, 0
	s_cselect_b32 s16, ttmp9, s11
	s_wait_xcnt 0x0
	s_mul_hi_u32 s8, s16, s14
	s_delay_alu instid0(SALU_CYCLE_1) | instskip(SKIP_2) | instid1(SALU_CYCLE_1)
	s_mul_i32 s9, s8, s19
	s_add_co_i32 s10, s8, 1
	s_sub_co_i32 s9, s16, s9
	s_sub_co_i32 s11, s9, s19
	s_cmp_ge_u32 s9, s19
	s_cselect_b32 s8, s10, s8
	s_cselect_b32 s9, s11, s9
	s_add_co_i32 s10, s8, 1
	s_cmp_ge_u32 s9, s19
	s_cselect_b32 s20, s10, s8
	s_wait_kmcnt 0x0
	s_lshl_b64 s[2:3], s[2:3], 3
	s_ashr_i32 s17, s16, 31
	s_add_nc_u64 s[6:7], s[6:7], s[2:3]
	s_load_b64 s[8:9], s[6:7], s20 offset:0x0 scale_offset
	s_clause 0x1
	s_load_b64 s[10:11], s[0:1], 0x38
	s_load_b64 s[2:3], s[0:1], 0x60
	s_wait_xcnt 0x0
	s_mul_i32 s20, s20, s19
	s_mov_b32 s19, 0
	s_wait_kmcnt 0x0
	s_lshl_b64 s[6:7], s[8:9], 3
	s_lshl_b64 s[8:9], s[16:17], 2
	s_add_nc_u64 s[14:15], s[10:11], s[6:7]
	s_add_nc_u64 s[12:13], s[4:5], s[8:9]
	s_load_b128 s[8:11], s[14:15], 0x0
	s_load_b32 s22, s[12:13], 0x0
	s_wait_xcnt 0x0
	s_sub_co_i32 s14, s16, s20
	s_mov_b32 s15, s19
	v_or_b32_e32 v1, s14, v0
	s_sub_nc_u64 s[16:17], s[16:17], s[14:15]
	s_delay_alu instid0(VALU_DEP_1)
	v_cmpx_eq_u32_e32 0, v1
	s_cbranch_execz .LBB43_9
; %bb.6:
	v_add_f64_e32 v[4:5], -1.0, v[4:5]
	s_add_nc_u64 s[20:21], s[2:3], s[6:7]
	s_mov_b32 s24, exec_lo
	s_load_b64 s[20:21], s[20:21], 0x0
	v_mbcnt_lo_u32_b32 v1, s24, 0
	s_mov_b32 s25, exec_lo
	global_wb scope:SCOPE_DEV
	s_wait_storecnt 0x0
	global_inv scope:SCOPE_DEV
	v_cmpx_eq_u32_e32 0, v1
	s_cbranch_execz .LBB43_8
; %bb.7:
	s_bcnt1_i32_b32 s24, s24
	s_lshl_b64 s[26:27], s[16:17], 2
	s_and_b32 s24, s24, 1
	s_delay_alu instid0(SALU_CYCLE_1)
	v_dual_mov_b32 v1, 0 :: v_dual_mov_b32 v6, s24
	s_add_nc_u64 s[26:27], s[4:5], s[26:27]
	s_wait_xcnt 0x0
	global_atomic_xor_b32 v1, v6, s[26:27] scope:SCOPE_DEV
.LBB43_8:
	s_wait_xcnt 0x0
	s_or_b32 exec_lo, exec_lo, s25
	s_wait_kmcnt 0x0
	v_mul_f64_e32 v[6:7], s[20:21], v[4:5]
.LBB43_9:
	s_or_b32 exec_lo, exec_lo, s23
	s_mul_u64 s[20:21], s[14:15], 0x300
	s_wait_kmcnt 0x0
	s_sub_nc_u64 s[8:9], s[8:9], s[18:19]
	s_sub_nc_u64 s[10:11], s[10:11], s[18:19]
	s_add_nc_u64 s[8:9], s[8:9], s[20:21]
	v_mov_b32_e32 v1, 0
	s_add_nc_u64 s[20:21], s[8:9], 0x300
	s_delay_alu instid0(SALU_CYCLE_1) | instskip(SKIP_1) | instid1(VALU_DEP_2)
	v_min_i64 v[4:5], s[20:21], s[10:11]
	s_mov_b32 s10, exec_lo
	v_add_nc_u64_e32 v[8:9], s[8:9], v[0:1]
	s_delay_alu instid0(VALU_DEP_1)
	v_cmpx_lt_i64_e64 v[8:9], v[4:5]
	s_cbranch_execz .LBB43_13
; %bb.10:
	s_clause 0x1
	s_load_b128 s[24:27], s[0:1], 0x40
	s_load_b64 s[8:9], s[0:1], 0x50
	v_lshlrev_b64_e32 v[12:13], 3, v[8:9]
	s_wait_xcnt 0x0
	s_mov_b32 s0, 0
	s_wait_kmcnt 0x0
	s_delay_alu instid0(VALU_DEP_1)
	v_add_nc_u64_e32 v[10:11], s[26:27], v[12:13]
	v_add_nc_u64_e32 v[12:13], s[24:25], v[12:13]
.LBB43_11:                              ; =>This Inner Loop Header: Depth=1
	global_load_b64 v[14:15], v[12:13], off
	global_load_b64 v[16:17], v[10:11], off
	v_add_nc_u64_e32 v[8:9], 0x100, v[8:9]
	s_wait_xcnt 0x0
	v_add_nc_u64_e32 v[10:11], 0x800, v[10:11]
	v_add_nc_u64_e32 v[12:13], 0x800, v[12:13]
	s_delay_alu instid0(VALU_DEP_3)
	v_cmp_ge_i64_e32 vcc_lo, v[8:9], v[4:5]
	s_or_b32 s0, vcc_lo, s0
	s_wait_loadcnt 0x1
	v_sub_nc_u64_e64 v[14:15], v[14:15], s[18:19]
	s_wait_loadcnt 0x0
	v_mul_f64_e32 v[16:17], v[2:3], v[16:17]
	s_delay_alu instid0(VALU_DEP_2)
	v_lshl_add_u64 v[14:15], v[14:15], 3, s[8:9]
	global_load_b64 v[14:15], v[14:15], off
	s_wait_loadcnt 0x0
	v_fmac_f64_e32 v[6:7], v[16:17], v[14:15]
	s_wait_xcnt 0x0
	s_and_not1_b32 exec_lo, exec_lo, s0
	s_cbranch_execnz .LBB43_11
; %bb.12:
	s_or_b32 exec_lo, exec_lo, s0
.LBB43_13:
	s_delay_alu instid0(SALU_CYCLE_1)
	s_or_b32 exec_lo, exec_lo, s10
	v_lshlrev_b32_e32 v1, 3, v0
	s_mov_b32 s0, exec_lo
	ds_store_b64 v1, v[6:7]
	s_wait_storecnt 0x0
	s_wait_loadcnt_dscnt 0x0
	s_barrier_signal -1
	s_barrier_wait -1
	v_cmpx_gt_u32_e32 0x80, v0
	s_cbranch_execz .LBB43_15
; %bb.14:
	ds_load_2addr_stride64_b64 v[2:5], v1 offset1:2
	s_wait_dscnt 0x0
	v_add_f64_e32 v[2:3], v[2:3], v[4:5]
	ds_store_b64 v1, v[2:3]
.LBB43_15:
	s_or_b32 exec_lo, exec_lo, s0
	s_delay_alu instid0(SALU_CYCLE_1)
	s_mov_b32 s0, exec_lo
	s_wait_dscnt 0x0
	s_barrier_signal -1
	s_barrier_wait -1
	v_cmpx_gt_u32_e32 64, v0
	s_cbranch_execz .LBB43_17
; %bb.16:
	ds_load_2addr_stride64_b64 v[2:5], v1 offset1:1
	s_wait_dscnt 0x0
	v_add_f64_e32 v[2:3], v[2:3], v[4:5]
	ds_store_b64 v1, v[2:3]
.LBB43_17:
	s_or_b32 exec_lo, exec_lo, s0
	s_delay_alu instid0(SALU_CYCLE_1)
	s_mov_b32 s0, exec_lo
	s_wait_dscnt 0x0
	s_barrier_signal -1
	s_barrier_wait -1
	v_cmpx_gt_u32_e32 32, v0
	s_cbranch_execz .LBB43_19
; %bb.18:
	ds_load_2addr_b64 v[2:5], v1 offset1:32
	s_wait_dscnt 0x0
	v_add_f64_e32 v[2:3], v[2:3], v[4:5]
	ds_store_b64 v1, v[2:3]
.LBB43_19:
	s_or_b32 exec_lo, exec_lo, s0
	s_delay_alu instid0(SALU_CYCLE_1)
	s_mov_b32 s0, exec_lo
	s_wait_dscnt 0x0
	s_barrier_signal -1
	s_barrier_wait -1
	v_cmpx_gt_u32_e32 16, v0
	s_cbranch_execz .LBB43_21
; %bb.20:
	ds_load_2addr_b64 v[2:5], v1 offset1:16
	s_wait_dscnt 0x0
	v_add_f64_e32 v[2:3], v[2:3], v[4:5]
	ds_store_b64 v1, v[2:3]
.LBB43_21:
	;; [unrolled: 14-line block ×5, first 2 shown]
	s_or_b32 exec_lo, exec_lo, s0
	v_cmp_eq_u32_e32 vcc_lo, 0, v0
	s_wait_dscnt 0x0
	s_barrier_signal -1
	s_barrier_wait -1
	s_and_saveexec_b32 s0, vcc_lo
	s_cbranch_execz .LBB43_29
; %bb.28:
	v_mov_b32_e32 v4, 0
	ds_load_b128 v[0:3], v4
	s_wait_dscnt 0x0
	v_add_f64_e32 v[0:1], v[0:1], v[2:3]
	ds_store_b64 v4, v[0:1]
.LBB43_29:
	s_or_b32 exec_lo, exec_lo, s0
	s_wait_dscnt 0x0
	s_barrier_signal -1
	s_barrier_wait -1
	s_and_b32 exec_lo, exec_lo, vcc_lo
	s_cbranch_execz .LBB43_38
; %bb.30:
	s_cmp_eq_u32 s14, 0
	s_cbranch_scc1 .LBB43_36
; %bb.31:
	v_mov_b32_e32 v0, 0
	s_lshl_b64 s[0:1], s[16:17], 2
	s_delay_alu instid0(SALU_CYCLE_1)
	s_add_nc_u64 s[0:1], s[4:5], s[0:1]
	s_branch .LBB43_33
.LBB43_32:                              ;   in Loop: Header=BB43_33 Depth=1
	s_wait_xcnt 0x0
	s_or_b32 exec_lo, exec_lo, s4
	s_wait_loadcnt 0x0
	v_readfirstlane_b32 s4, v1
	s_cmp_eq_u32 s4, s22
	s_cbranch_scc0 .LBB43_35
.LBB43_33:                              ; =>This Inner Loop Header: Depth=1
	v_mbcnt_lo_u32_b32 v1, exec_lo, 0
	s_delay_alu instid0(VALU_DEP_1)
	v_cmp_eq_u32_e32 vcc_lo, 0, v1
                                        ; implicit-def: $vgpr1
	s_and_saveexec_b32 s4, vcc_lo
	s_cbranch_execz .LBB43_32
; %bb.34:                               ;   in Loop: Header=BB43_33 Depth=1
	global_load_b32 v1, v0, s[0:1] scope:SCOPE_DEV
	s_branch .LBB43_32
.LBB43_35:
	v_mov_b32_e32 v0, 0
	global_load_u16 v1, v0, s[12:13]
	s_wait_loadcnt 0x0
	v_xor_b32_e32 v1, 1, v1
	global_store_b16 v0, v1, s[12:13]
.LBB43_36:
	s_mov_b32 s0, exec_lo
	s_wait_xcnt 0x0
	v_mbcnt_lo_u32_b32 v0, s0, 0
	s_delay_alu instid0(VALU_DEP_1) | instskip(SKIP_1) | instid1(SALU_CYCLE_1)
	v_cmp_eq_u32_e32 vcc_lo, 0, v0
	s_and_b32 s1, exec_lo, vcc_lo
	s_mov_b32 exec_lo, s1
	s_cbranch_execz .LBB43_38
; %bb.37:
	s_bcnt1_i32_b32 s0, s0
	s_delay_alu instid0(SALU_CYCLE_1)
	v_cvt_f64_u32_e32 v[0:1], s0
	v_mov_b32_e32 v4, 0
	s_add_nc_u64 s[0:1], s[2:3], s[6:7]
	ds_load_b64 v[2:3], v4
	s_wait_dscnt 0x0
	v_mul_f64_e32 v[0:1], v[2:3], v[0:1]
	global_atomic_add_f64 v4, v[0:1], s[0:1] scope:SCOPE_DEV
.LBB43_38:
	s_endpgm
	.section	.rodata,"a",@progbits
	.p2align	6, 0x0
	.amdhsa_kernel _ZN9rocsparseL27csrmvn_lrb_long_rows_kernelIllddddEEvbT_PjPT0_S4_jNS_24const_host_device_scalarIT4_EEPKS1_PKS3_PKT1_PKT2_S7_PT3_21rocsparse_index_base_b
		.amdhsa_group_segment_fixed_size 2048
		.amdhsa_private_segment_fixed_size 0
		.amdhsa_kernarg_size 112
		.amdhsa_user_sgpr_count 2
		.amdhsa_user_sgpr_dispatch_ptr 0
		.amdhsa_user_sgpr_queue_ptr 0
		.amdhsa_user_sgpr_kernarg_segment_ptr 1
		.amdhsa_user_sgpr_dispatch_id 0
		.amdhsa_user_sgpr_kernarg_preload_length 0
		.amdhsa_user_sgpr_kernarg_preload_offset 0
		.amdhsa_user_sgpr_private_segment_size 0
		.amdhsa_wavefront_size32 1
		.amdhsa_uses_dynamic_stack 0
		.amdhsa_enable_private_segment 0
		.amdhsa_system_sgpr_workgroup_id_x 1
		.amdhsa_system_sgpr_workgroup_id_y 0
		.amdhsa_system_sgpr_workgroup_id_z 0
		.amdhsa_system_sgpr_workgroup_info 0
		.amdhsa_system_vgpr_workitem_id 0
		.amdhsa_next_free_vgpr 18
		.amdhsa_next_free_sgpr 28
		.amdhsa_named_barrier_count 0
		.amdhsa_reserve_vcc 1
		.amdhsa_float_round_mode_32 0
		.amdhsa_float_round_mode_16_64 0
		.amdhsa_float_denorm_mode_32 3
		.amdhsa_float_denorm_mode_16_64 3
		.amdhsa_fp16_overflow 0
		.amdhsa_memory_ordered 1
		.amdhsa_forward_progress 1
		.amdhsa_inst_pref_size 13
		.amdhsa_round_robin_scheduling 0
		.amdhsa_exception_fp_ieee_invalid_op 0
		.amdhsa_exception_fp_denorm_src 0
		.amdhsa_exception_fp_ieee_div_zero 0
		.amdhsa_exception_fp_ieee_overflow 0
		.amdhsa_exception_fp_ieee_underflow 0
		.amdhsa_exception_fp_ieee_inexact 0
		.amdhsa_exception_int_div_zero 0
	.end_amdhsa_kernel
	.section	.text._ZN9rocsparseL27csrmvn_lrb_long_rows_kernelIllddddEEvbT_PjPT0_S4_jNS_24const_host_device_scalarIT4_EEPKS1_PKS3_PKT1_PKT2_S7_PT3_21rocsparse_index_base_b,"axG",@progbits,_ZN9rocsparseL27csrmvn_lrb_long_rows_kernelIllddddEEvbT_PjPT0_S4_jNS_24const_host_device_scalarIT4_EEPKS1_PKS3_PKT1_PKT2_S7_PT3_21rocsparse_index_base_b,comdat
.Lfunc_end43:
	.size	_ZN9rocsparseL27csrmvn_lrb_long_rows_kernelIllddddEEvbT_PjPT0_S4_jNS_24const_host_device_scalarIT4_EEPKS1_PKS3_PKT1_PKT2_S7_PT3_21rocsparse_index_base_b, .Lfunc_end43-_ZN9rocsparseL27csrmvn_lrb_long_rows_kernelIllddddEEvbT_PjPT0_S4_jNS_24const_host_device_scalarIT4_EEPKS1_PKS3_PKT1_PKT2_S7_PT3_21rocsparse_index_base_b
                                        ; -- End function
	.set _ZN9rocsparseL27csrmvn_lrb_long_rows_kernelIllddddEEvbT_PjPT0_S4_jNS_24const_host_device_scalarIT4_EEPKS1_PKS3_PKT1_PKT2_S7_PT3_21rocsparse_index_base_b.num_vgpr, 18
	.set _ZN9rocsparseL27csrmvn_lrb_long_rows_kernelIllddddEEvbT_PjPT0_S4_jNS_24const_host_device_scalarIT4_EEPKS1_PKS3_PKT1_PKT2_S7_PT3_21rocsparse_index_base_b.num_agpr, 0
	.set _ZN9rocsparseL27csrmvn_lrb_long_rows_kernelIllddddEEvbT_PjPT0_S4_jNS_24const_host_device_scalarIT4_EEPKS1_PKS3_PKT1_PKT2_S7_PT3_21rocsparse_index_base_b.numbered_sgpr, 28
	.set _ZN9rocsparseL27csrmvn_lrb_long_rows_kernelIllddddEEvbT_PjPT0_S4_jNS_24const_host_device_scalarIT4_EEPKS1_PKS3_PKT1_PKT2_S7_PT3_21rocsparse_index_base_b.num_named_barrier, 0
	.set _ZN9rocsparseL27csrmvn_lrb_long_rows_kernelIllddddEEvbT_PjPT0_S4_jNS_24const_host_device_scalarIT4_EEPKS1_PKS3_PKT1_PKT2_S7_PT3_21rocsparse_index_base_b.private_seg_size, 0
	.set _ZN9rocsparseL27csrmvn_lrb_long_rows_kernelIllddddEEvbT_PjPT0_S4_jNS_24const_host_device_scalarIT4_EEPKS1_PKS3_PKT1_PKT2_S7_PT3_21rocsparse_index_base_b.uses_vcc, 1
	.set _ZN9rocsparseL27csrmvn_lrb_long_rows_kernelIllddddEEvbT_PjPT0_S4_jNS_24const_host_device_scalarIT4_EEPKS1_PKS3_PKT1_PKT2_S7_PT3_21rocsparse_index_base_b.uses_flat_scratch, 0
	.set _ZN9rocsparseL27csrmvn_lrb_long_rows_kernelIllddddEEvbT_PjPT0_S4_jNS_24const_host_device_scalarIT4_EEPKS1_PKS3_PKT1_PKT2_S7_PT3_21rocsparse_index_base_b.has_dyn_sized_stack, 0
	.set _ZN9rocsparseL27csrmvn_lrb_long_rows_kernelIllddddEEvbT_PjPT0_S4_jNS_24const_host_device_scalarIT4_EEPKS1_PKS3_PKT1_PKT2_S7_PT3_21rocsparse_index_base_b.has_recursion, 0
	.set _ZN9rocsparseL27csrmvn_lrb_long_rows_kernelIllddddEEvbT_PjPT0_S4_jNS_24const_host_device_scalarIT4_EEPKS1_PKS3_PKT1_PKT2_S7_PT3_21rocsparse_index_base_b.has_indirect_call, 0
	.section	.AMDGPU.csdata,"",@progbits
; Kernel info:
; codeLenInByte = 1572
; TotalNumSgprs: 30
; NumVgprs: 18
; ScratchSize: 0
; MemoryBound: 0
; FloatMode: 240
; IeeeMode: 1
; LDSByteSize: 2048 bytes/workgroup (compile time only)
; SGPRBlocks: 0
; VGPRBlocks: 1
; NumSGPRsForWavesPerEU: 30
; NumVGPRsForWavesPerEU: 18
; NamedBarCnt: 0
; Occupancy: 16
; WaveLimiterHint : 1
; COMPUTE_PGM_RSRC2:SCRATCH_EN: 0
; COMPUTE_PGM_RSRC2:USER_SGPR: 2
; COMPUTE_PGM_RSRC2:TRAP_HANDLER: 0
; COMPUTE_PGM_RSRC2:TGID_X_EN: 1
; COMPUTE_PGM_RSRC2:TGID_Y_EN: 0
; COMPUTE_PGM_RSRC2:TGID_Z_EN: 0
; COMPUTE_PGM_RSRC2:TIDIG_COMP_CNT: 0
	.section	.text._ZN9rocsparseL28csrmvn_lrb_short_rows_kernelIii21rocsparse_complex_numIfES2_S2_S2_EEvbT_PT0_S5_jNS_24const_host_device_scalarIT4_EEPKS3_PKS4_PKT1_PKT2_S8_PT3_21rocsparse_index_base_b,"axG",@progbits,_ZN9rocsparseL28csrmvn_lrb_short_rows_kernelIii21rocsparse_complex_numIfES2_S2_S2_EEvbT_PT0_S5_jNS_24const_host_device_scalarIT4_EEPKS3_PKS4_PKT1_PKT2_S8_PT3_21rocsparse_index_base_b,comdat
	.globl	_ZN9rocsparseL28csrmvn_lrb_short_rows_kernelIii21rocsparse_complex_numIfES2_S2_S2_EEvbT_PT0_S5_jNS_24const_host_device_scalarIT4_EEPKS3_PKS4_PKT1_PKT2_S8_PT3_21rocsparse_index_base_b ; -- Begin function _ZN9rocsparseL28csrmvn_lrb_short_rows_kernelIii21rocsparse_complex_numIfES2_S2_S2_EEvbT_PT0_S5_jNS_24const_host_device_scalarIT4_EEPKS3_PKS4_PKT1_PKT2_S8_PT3_21rocsparse_index_base_b
	.p2align	8
	.type	_ZN9rocsparseL28csrmvn_lrb_short_rows_kernelIii21rocsparse_complex_numIfES2_S2_S2_EEvbT_PT0_S5_jNS_24const_host_device_scalarIT4_EEPKS3_PKS4_PKT1_PKT2_S8_PT3_21rocsparse_index_base_b,@function
_ZN9rocsparseL28csrmvn_lrb_short_rows_kernelIii21rocsparse_complex_numIfES2_S2_S2_EEvbT_PT0_S5_jNS_24const_host_device_scalarIT4_EEPKS3_PKS4_PKT1_PKT2_S8_PT3_21rocsparse_index_base_b: ; @_ZN9rocsparseL28csrmvn_lrb_short_rows_kernelIii21rocsparse_complex_numIfES2_S2_S2_EEvbT_PT0_S5_jNS_24const_host_device_scalarIT4_EEPKS3_PKS4_PKT1_PKT2_S8_PT3_21rocsparse_index_base_b
; %bb.0:
	s_clause 0x2
	s_load_b64 s[16:17], s[0:1], 0x58
	s_load_b64 s[2:3], s[0:1], 0x20
	;; [unrolled: 1-line block ×3, first 2 shown]
	v_mov_b32_e32 v1, 0
	s_add_nc_u64 s[6:7], s[0:1], 32
	s_add_nc_u64 s[8:9], s[0:1], 0x48
	s_wait_kmcnt 0x0
	s_bitcmp1_b32 s17, 0
	s_cselect_b32 s3, s7, s3
	s_cselect_b32 s2, s6, s2
	;; [unrolled: 1-line block ×4, first 2 shown]
	s_clause 0x1
	flat_load_b64 v[4:5], v1, s[2:3]
	flat_load_b64 v[2:3], v1, s[4:5]
	s_wait_loadcnt_dscnt 0x101
	s_wait_xcnt 0x1
	v_cmp_neq_f32_e64 s2, 0, v4
	v_cmp_neq_f32_e64 s3, 0, v5
	s_wait_loadcnt_dscnt 0x0
	v_cmp_neq_f32_e64 s4, 1.0, v2
	v_cmp_neq_f32_e32 vcc_lo, 0, v3
	s_or_b32 s2, s2, s3
	s_or_b32 s3, s4, vcc_lo
	s_delay_alu instid0(SALU_CYCLE_1) | instskip(NEXT) | instid1(SALU_CYCLE_1)
	s_or_b32 s2, s2, s3
	s_and_saveexec_b32 s3, s2
	s_cbranch_execz .LBB44_15
; %bb.1:
	s_clause 0x1
	s_load_b32 s17, s[0:1], 0x18
	s_load_b128 s[12:15], s[0:1], 0x8
	s_and_b32 s5, ttmp6, 15
	s_getreg_b32 s6, hwreg(HW_REG_IB_STS2, 6, 4)
	s_wait_kmcnt 0x0
	s_add_co_i32 s2, s17, 1
	s_clause 0x1
	s_load_b32 s3, s[14:15], s17 offset:0x0 scale_offset
	s_load_b32 s4, s[14:15], s2 offset:0x0 scale_offset
	s_wait_xcnt 0x0
	s_bfe_u32 s2, ttmp6, 0x4000c
	s_delay_alu instid0(SALU_CYCLE_1) | instskip(NEXT) | instid1(SALU_CYCLE_1)
	s_add_co_i32 s2, s2, 1
	s_mul_i32 s2, ttmp9, s2
	s_delay_alu instid0(SALU_CYCLE_1) | instskip(SKIP_4) | instid1(SALU_CYCLE_1)
	s_add_co_i32 s5, s5, s2
	s_wait_kmcnt 0x0
	s_sub_co_i32 s4, s4, s3
	s_cmp_eq_u32 s6, 0
	s_cselect_b32 s2, ttmp9, s5
	s_lshl_b32 s14, s2, 8
	s_delay_alu instid0(SALU_CYCLE_1) | instskip(NEXT) | instid1(SALU_CYCLE_1)
	s_add_co_i32 s2, s14, 0x100
	s_min_u32 s15, s4, s2
	s_cmp_gt_u32 s17, 23
	s_cbranch_scc1 .LBB44_9
; %bb.2:
	s_clause 0x1
	s_load_b32 s2, s[0:1], 0x0
	s_load_b256 s[4:11], s[0:1], 0x28
	v_bfe_u32 v1, v0, 0, s17
	s_lshl_b32 s18, 0x100, s17
	v_xor_b32_e32 v6, 0x80000000, v5
	v_dual_mov_b32 v7, v4 :: v_dual_mov_b32 v11, 0
	v_lshl_add_u32 v10, v0, 3, 0
	v_subrev_nc_u32_e32 v12, s16, v1
	s_mov_b32 s20, 0
	s_wait_kmcnt 0x0
	s_bitcmp1_b32 s2, 0
	s_cselect_b32 s19, -1, 0
	s_branch .LBB44_4
.LBB44_3:                               ;   in Loop: Header=BB44_4 Depth=1
	s_or_b32 exec_lo, exec_lo, s21
	v_add_nc_u32_e32 v10, 0x800, v10
	s_addk_co_i32 s20, 0x100
	s_delay_alu instid0(SALU_CYCLE_1)
	s_cmp_ge_u32 s20, s18
	s_cbranch_scc1 .LBB44_9
.LBB44_4:                               ; =>This Inner Loop Header: Depth=1
	v_add_nc_u32_e32 v8, s20, v0
	s_mov_b32 s21, exec_lo
	s_delay_alu instid0(VALU_DEP_1) | instskip(NEXT) | instid1(VALU_DEP_1)
	v_lshrrev_b32_e32 v8, s17, v8
	v_add_nc_u32_e32 v8, s14, v8
	s_delay_alu instid0(VALU_DEP_1)
	v_cmpx_gt_u32_e64 s15, v8
	s_cbranch_execz .LBB44_3
; %bb.5:                                ;   in Loop: Header=BB44_4 Depth=1
	v_add_nc_u32_e32 v8, s3, v8
	global_load_b32 v8, v8, s[12:13] scale_offset
	s_wait_loadcnt 0x0
	v_ashrrev_i32_e32 v9, 31, v8
	s_wait_xcnt 0x0
	s_delay_alu instid0(VALU_DEP_1) | instskip(SKIP_4) | instid1(VALU_DEP_1)
	v_lshl_add_u64 v[8:9], v[8:9], 2, s[4:5]
	global_load_b64 v[8:9], v[8:9], off
	s_wait_loadcnt 0x0
	s_wait_xcnt 0x0
	v_sub_nc_u32_e32 v9, v9, v8
	v_cmp_ge_u32_e64 s2, v1, v9
	s_and_saveexec_b32 s22, s2
	s_delay_alu instid0(SALU_CYCLE_1)
	s_xor_b32 s2, exec_lo, s22
; %bb.6:                                ;   in Loop: Header=BB44_4 Depth=1
	ds_store_2addr_b32 v10, v11, v11 offset1:1
                                        ; implicit-def: $vgpr8_vgpr9
; %bb.7:                                ;   in Loop: Header=BB44_4 Depth=1
	s_and_not1_saveexec_b32 s2, s2
	s_cbranch_execz .LBB44_3
; %bb.8:                                ;   in Loop: Header=BB44_4 Depth=1
	v_add_nc_u32_e32 v13, v12, v8
	s_clause 0x1
	global_load_b32 v14, v13, s[6:7] scale_offset
	global_load_b64 v[8:9], v13, s[8:9] scale_offset
	s_wait_loadcnt 0x1
	s_wait_xcnt 0x0
	v_subrev_nc_u32_e32 v13, s16, v14
	s_wait_loadcnt 0x0
	v_cndmask_b32_e64 v16, v9, -v9, s19
	global_load_b64 v[14:15], v13, s[10:11] scale_offset
	v_pk_mul_f32 v[16:17], v[16:17], v[6:7] op_sel_hi:[0,1]
	s_delay_alu instid0(VALU_DEP_1) | instskip(SKIP_1) | instid1(VALU_DEP_1)
	v_pk_fma_f32 v[8:9], v[4:5], v[8:9], v[16:17] op_sel_hi:[1,0,1]
	s_wait_loadcnt 0x0
	v_pk_mul_f32 v[16:17], v[14:15], v[8:9] op_sel:[1,1] op_sel_hi:[1,0] neg_lo:[0,1]
	s_delay_alu instid0(VALU_DEP_1)
	v_pk_fma_f32 v[8:9], v[8:9], v[14:15], v[16:17] op_sel_hi:[1,0,1]
	ds_store_2addr_b32 v10, v8, v9 offset1:1
	s_branch .LBB44_3
.LBB44_9:
	s_sub_co_i32 s2, s15, s14
	s_wait_dscnt 0x0
	v_cmp_gt_u32_e64 s2, s2, v0
	s_barrier_signal -1
	s_barrier_wait -1
	s_and_b32 exec_lo, exec_lo, s2
	s_cbranch_execz .LBB44_15
; %bb.10:
	v_add3_u32 v1, s3, s14, v0
	s_load_b64 s[2:3], s[0:1], 0x50
	s_wait_xcnt 0x0
	s_mov_b32 s0, 1
	global_load_b32 v4, v1, s[12:13] scale_offset
	s_wait_xcnt 0x0
	v_dual_mov_b32 v0, 0 :: v_dual_lshlrev_b32 v1, s17, v0
	s_delay_alu instid0(VALU_DEP_1) | instskip(NEXT) | instid1(VALU_DEP_2)
	v_lshl_add_u32 v5, v1, 3, 0
	v_mov_b32_e32 v1, v0
.LBB44_11:                              ; =>This Inner Loop Header: Depth=1
	ds_load_2addr_b32 v[6:7], v5 offset1:1
	v_add_nc_u32_e32 v5, 8, v5
	s_lshr_b32 s1, s0, s17
	s_add_co_i32 s0, s0, 1
	s_cmp_lg_u32 s1, 0
	s_wait_dscnt 0x0
	v_pk_add_f32 v[0:1], v[0:1], v[6:7]
	s_cbranch_scc0 .LBB44_11
; %bb.12:
	s_wait_loadcnt 0x0
	v_ashrrev_i32_e32 v5, 31, v4
	v_cmp_neq_f32_e64 s0, 0, v2
	s_wait_kmcnt 0x0
	s_delay_alu instid0(VALU_DEP_2) | instskip(SKIP_1) | instid1(SALU_CYCLE_1)
	v_lshl_add_u64 v[4:5], v[4:5], 3, s[2:3]
	s_or_b32 s1, s0, vcc_lo
	s_and_saveexec_b32 s0, s1
	s_cbranch_execz .LBB44_14
; %bb.13:
	global_load_b64 v[6:7], v[4:5], off
	v_xor_b32_e32 v8, 0x80000000, v3
	v_mov_b32_e32 v9, v2
	s_wait_loadcnt 0x0
	v_pk_fma_f32 v[0:1], v[2:3], v[6:7], v[0:1] op_sel_hi:[1,0,1]
	s_delay_alu instid0(VALU_DEP_1)
	v_pk_fma_f32 v[0:1], v[8:9], v[6:7], v[0:1] op_sel:[0,1,0]
.LBB44_14:
	s_or_b32 exec_lo, exec_lo, s0
	global_store_b64 v[4:5], v[0:1], off
.LBB44_15:
	s_endpgm
	.section	.rodata,"a",@progbits
	.p2align	6, 0x0
	.amdhsa_kernel _ZN9rocsparseL28csrmvn_lrb_short_rows_kernelIii21rocsparse_complex_numIfES2_S2_S2_EEvbT_PT0_S5_jNS_24const_host_device_scalarIT4_EEPKS3_PKS4_PKT1_PKT2_S8_PT3_21rocsparse_index_base_b
		.amdhsa_group_segment_fixed_size 0
		.amdhsa_private_segment_fixed_size 0
		.amdhsa_kernarg_size 96
		.amdhsa_user_sgpr_count 2
		.amdhsa_user_sgpr_dispatch_ptr 0
		.amdhsa_user_sgpr_queue_ptr 0
		.amdhsa_user_sgpr_kernarg_segment_ptr 1
		.amdhsa_user_sgpr_dispatch_id 0
		.amdhsa_user_sgpr_kernarg_preload_length 0
		.amdhsa_user_sgpr_kernarg_preload_offset 0
		.amdhsa_user_sgpr_private_segment_size 0
		.amdhsa_wavefront_size32 1
		.amdhsa_uses_dynamic_stack 0
		.amdhsa_enable_private_segment 0
		.amdhsa_system_sgpr_workgroup_id_x 1
		.amdhsa_system_sgpr_workgroup_id_y 0
		.amdhsa_system_sgpr_workgroup_id_z 0
		.amdhsa_system_sgpr_workgroup_info 0
		.amdhsa_system_vgpr_workitem_id 0
		.amdhsa_next_free_vgpr 18
		.amdhsa_next_free_sgpr 23
		.amdhsa_named_barrier_count 0
		.amdhsa_reserve_vcc 1
		.amdhsa_float_round_mode_32 0
		.amdhsa_float_round_mode_16_64 0
		.amdhsa_float_denorm_mode_32 3
		.amdhsa_float_denorm_mode_16_64 3
		.amdhsa_fp16_overflow 0
		.amdhsa_memory_ordered 1
		.amdhsa_forward_progress 1
		.amdhsa_inst_pref_size 8
		.amdhsa_round_robin_scheduling 0
		.amdhsa_exception_fp_ieee_invalid_op 0
		.amdhsa_exception_fp_denorm_src 0
		.amdhsa_exception_fp_ieee_div_zero 0
		.amdhsa_exception_fp_ieee_overflow 0
		.amdhsa_exception_fp_ieee_underflow 0
		.amdhsa_exception_fp_ieee_inexact 0
		.amdhsa_exception_int_div_zero 0
	.end_amdhsa_kernel
	.section	.text._ZN9rocsparseL28csrmvn_lrb_short_rows_kernelIii21rocsparse_complex_numIfES2_S2_S2_EEvbT_PT0_S5_jNS_24const_host_device_scalarIT4_EEPKS3_PKS4_PKT1_PKT2_S8_PT3_21rocsparse_index_base_b,"axG",@progbits,_ZN9rocsparseL28csrmvn_lrb_short_rows_kernelIii21rocsparse_complex_numIfES2_S2_S2_EEvbT_PT0_S5_jNS_24const_host_device_scalarIT4_EEPKS3_PKS4_PKT1_PKT2_S8_PT3_21rocsparse_index_base_b,comdat
.Lfunc_end44:
	.size	_ZN9rocsparseL28csrmvn_lrb_short_rows_kernelIii21rocsparse_complex_numIfES2_S2_S2_EEvbT_PT0_S5_jNS_24const_host_device_scalarIT4_EEPKS3_PKS4_PKT1_PKT2_S8_PT3_21rocsparse_index_base_b, .Lfunc_end44-_ZN9rocsparseL28csrmvn_lrb_short_rows_kernelIii21rocsparse_complex_numIfES2_S2_S2_EEvbT_PT0_S5_jNS_24const_host_device_scalarIT4_EEPKS3_PKS4_PKT1_PKT2_S8_PT3_21rocsparse_index_base_b
                                        ; -- End function
	.set _ZN9rocsparseL28csrmvn_lrb_short_rows_kernelIii21rocsparse_complex_numIfES2_S2_S2_EEvbT_PT0_S5_jNS_24const_host_device_scalarIT4_EEPKS3_PKS4_PKT1_PKT2_S8_PT3_21rocsparse_index_base_b.num_vgpr, 18
	.set _ZN9rocsparseL28csrmvn_lrb_short_rows_kernelIii21rocsparse_complex_numIfES2_S2_S2_EEvbT_PT0_S5_jNS_24const_host_device_scalarIT4_EEPKS3_PKS4_PKT1_PKT2_S8_PT3_21rocsparse_index_base_b.num_agpr, 0
	.set _ZN9rocsparseL28csrmvn_lrb_short_rows_kernelIii21rocsparse_complex_numIfES2_S2_S2_EEvbT_PT0_S5_jNS_24const_host_device_scalarIT4_EEPKS3_PKS4_PKT1_PKT2_S8_PT3_21rocsparse_index_base_b.numbered_sgpr, 23
	.set _ZN9rocsparseL28csrmvn_lrb_short_rows_kernelIii21rocsparse_complex_numIfES2_S2_S2_EEvbT_PT0_S5_jNS_24const_host_device_scalarIT4_EEPKS3_PKS4_PKT1_PKT2_S8_PT3_21rocsparse_index_base_b.num_named_barrier, 0
	.set _ZN9rocsparseL28csrmvn_lrb_short_rows_kernelIii21rocsparse_complex_numIfES2_S2_S2_EEvbT_PT0_S5_jNS_24const_host_device_scalarIT4_EEPKS3_PKS4_PKT1_PKT2_S8_PT3_21rocsparse_index_base_b.private_seg_size, 0
	.set _ZN9rocsparseL28csrmvn_lrb_short_rows_kernelIii21rocsparse_complex_numIfES2_S2_S2_EEvbT_PT0_S5_jNS_24const_host_device_scalarIT4_EEPKS3_PKS4_PKT1_PKT2_S8_PT3_21rocsparse_index_base_b.uses_vcc, 1
	.set _ZN9rocsparseL28csrmvn_lrb_short_rows_kernelIii21rocsparse_complex_numIfES2_S2_S2_EEvbT_PT0_S5_jNS_24const_host_device_scalarIT4_EEPKS3_PKS4_PKT1_PKT2_S8_PT3_21rocsparse_index_base_b.uses_flat_scratch, 1
	.set _ZN9rocsparseL28csrmvn_lrb_short_rows_kernelIii21rocsparse_complex_numIfES2_S2_S2_EEvbT_PT0_S5_jNS_24const_host_device_scalarIT4_EEPKS3_PKS4_PKT1_PKT2_S8_PT3_21rocsparse_index_base_b.has_dyn_sized_stack, 0
	.set _ZN9rocsparseL28csrmvn_lrb_short_rows_kernelIii21rocsparse_complex_numIfES2_S2_S2_EEvbT_PT0_S5_jNS_24const_host_device_scalarIT4_EEPKS3_PKS4_PKT1_PKT2_S8_PT3_21rocsparse_index_base_b.has_recursion, 0
	.set _ZN9rocsparseL28csrmvn_lrb_short_rows_kernelIii21rocsparse_complex_numIfES2_S2_S2_EEvbT_PT0_S5_jNS_24const_host_device_scalarIT4_EEPKS3_PKS4_PKT1_PKT2_S8_PT3_21rocsparse_index_base_b.has_indirect_call, 0
	.section	.AMDGPU.csdata,"",@progbits
; Kernel info:
; codeLenInByte = 916
; TotalNumSgprs: 25
; NumVgprs: 18
; ScratchSize: 0
; MemoryBound: 0
; FloatMode: 240
; IeeeMode: 1
; LDSByteSize: 0 bytes/workgroup (compile time only)
; SGPRBlocks: 0
; VGPRBlocks: 1
; NumSGPRsForWavesPerEU: 25
; NumVGPRsForWavesPerEU: 18
; NamedBarCnt: 0
; Occupancy: 16
; WaveLimiterHint : 1
; COMPUTE_PGM_RSRC2:SCRATCH_EN: 0
; COMPUTE_PGM_RSRC2:USER_SGPR: 2
; COMPUTE_PGM_RSRC2:TRAP_HANDLER: 0
; COMPUTE_PGM_RSRC2:TGID_X_EN: 1
; COMPUTE_PGM_RSRC2:TGID_Y_EN: 0
; COMPUTE_PGM_RSRC2:TGID_Z_EN: 0
; COMPUTE_PGM_RSRC2:TIDIG_COMP_CNT: 0
	.section	.text._ZN9rocsparseL30csrmvn_lrb_short_rows_2_kernelIii21rocsparse_complex_numIfES2_S2_S2_EEvbT_PT0_S5_jNS_24const_host_device_scalarIT4_EEPKS3_PKS4_PKT1_PKT2_S8_PT3_21rocsparse_index_base_b,"axG",@progbits,_ZN9rocsparseL30csrmvn_lrb_short_rows_2_kernelIii21rocsparse_complex_numIfES2_S2_S2_EEvbT_PT0_S5_jNS_24const_host_device_scalarIT4_EEPKS3_PKS4_PKT1_PKT2_S8_PT3_21rocsparse_index_base_b,comdat
	.globl	_ZN9rocsparseL30csrmvn_lrb_short_rows_2_kernelIii21rocsparse_complex_numIfES2_S2_S2_EEvbT_PT0_S5_jNS_24const_host_device_scalarIT4_EEPKS3_PKS4_PKT1_PKT2_S8_PT3_21rocsparse_index_base_b ; -- Begin function _ZN9rocsparseL30csrmvn_lrb_short_rows_2_kernelIii21rocsparse_complex_numIfES2_S2_S2_EEvbT_PT0_S5_jNS_24const_host_device_scalarIT4_EEPKS3_PKS4_PKT1_PKT2_S8_PT3_21rocsparse_index_base_b
	.p2align	8
	.type	_ZN9rocsparseL30csrmvn_lrb_short_rows_2_kernelIii21rocsparse_complex_numIfES2_S2_S2_EEvbT_PT0_S5_jNS_24const_host_device_scalarIT4_EEPKS3_PKS4_PKT1_PKT2_S8_PT3_21rocsparse_index_base_b,@function
_ZN9rocsparseL30csrmvn_lrb_short_rows_2_kernelIii21rocsparse_complex_numIfES2_S2_S2_EEvbT_PT0_S5_jNS_24const_host_device_scalarIT4_EEPKS3_PKS4_PKT1_PKT2_S8_PT3_21rocsparse_index_base_b: ; @_ZN9rocsparseL30csrmvn_lrb_short_rows_2_kernelIii21rocsparse_complex_numIfES2_S2_S2_EEvbT_PT0_S5_jNS_24const_host_device_scalarIT4_EEPKS3_PKS4_PKT1_PKT2_S8_PT3_21rocsparse_index_base_b
; %bb.0:
	s_clause 0x2
	s_load_b64 s[16:17], s[0:1], 0x58
	s_load_b64 s[2:3], s[0:1], 0x20
	s_load_b64 s[4:5], s[0:1], 0x48
	v_mov_b32_e32 v1, 0
	s_add_nc_u64 s[6:7], s[0:1], 32
	s_add_nc_u64 s[8:9], s[0:1], 0x48
	s_wait_kmcnt 0x0
	s_bitcmp1_b32 s17, 0
	s_cselect_b32 s3, s7, s3
	s_cselect_b32 s2, s6, s2
	;; [unrolled: 1-line block ×4, first 2 shown]
	s_clause 0x1
	flat_load_b64 v[4:5], v1, s[2:3]
	flat_load_b64 v[2:3], v1, s[4:5]
	s_wait_loadcnt_dscnt 0x101
	s_wait_xcnt 0x1
	v_cmp_neq_f32_e64 s2, 0, v4
	v_cmp_neq_f32_e64 s3, 0, v5
	s_wait_loadcnt_dscnt 0x0
	v_cmp_neq_f32_e64 s4, 1.0, v2
	v_cmp_neq_f32_e32 vcc_lo, 0, v3
	s_or_b32 s2, s2, s3
	s_or_b32 s3, s4, vcc_lo
	s_delay_alu instid0(SALU_CYCLE_1) | instskip(NEXT) | instid1(SALU_CYCLE_1)
	s_or_b32 s2, s2, s3
	s_and_saveexec_b32 s3, s2
	s_cbranch_execz .LBB45_30
; %bb.1:
	s_clause 0x2
	s_load_b32 s17, s[0:1], 0x18
	s_load_b32 s2, s[0:1], 0x0
	s_load_b128 s[12:15], s[0:1], 0x8
	s_wait_kmcnt 0x0
	v_lshrrev_b32_e32 v1, s17, v0
	s_bitcmp1_b32 s2, 0
	v_bfe_u32 v8, v0, 0, s17
	s_cselect_b32 s3, -1, 0
	s_add_co_i32 s2, s17, 1
	s_clause 0x1
	s_load_b32 s18, s[14:15], s17 offset:0x0 scale_offset
	s_load_b32 s19, s[14:15], s2 offset:0x0 scale_offset
	s_load_b256 s[4:11], s[0:1], 0x28
	s_wait_xcnt 0x0
	s_bfe_u32 s15, ttmp6, 0x4000c
	s_and_b32 s20, ttmp6, 15
	s_add_co_i32 s15, s15, 1
	s_getreg_b32 s2, hwreg(HW_REG_IB_STS2, 6, 4)
	s_mul_i32 s15, ttmp9, s15
	s_lshr_b32 s14, 0x400, s17
	s_add_co_i32 s20, s20, s15
	s_wait_kmcnt 0x0
	s_sub_co_i32 s19, s19, s18
	s_cmp_eq_u32 s2, 0
	s_cselect_b32 s2, ttmp9, s20
	s_mov_b32 s20, exec_lo
	s_mul_i32 s15, s14, s2
	s_delay_alu instid0(SALU_CYCLE_1) | instskip(SKIP_2) | instid1(SALU_CYCLE_1)
	v_add_nc_u32_e32 v6, s15, v1
	v_subrev_nc_u32_e32 v1, s16, v8
	s_add_co_i32 s2, s15, s14
	s_min_u32 s19, s19, s2
	s_delay_alu instid0(VALU_DEP_2) | instid1(SALU_CYCLE_1)
	v_cmpx_gt_u32_e64 s19, v6
	s_cbranch_execz .LBB45_6
; %bb.2:
	v_add_nc_u32_e32 v6, s18, v6
	global_load_b32 v6, v6, s[12:13] scale_offset
	s_wait_loadcnt 0x0
	v_ashrrev_i32_e32 v7, 31, v6
	s_delay_alu instid0(VALU_DEP_1) | instskip(SKIP_3) | instid1(VALU_DEP_1)
	v_lshl_add_u64 v[6:7], v[6:7], 2, s[4:5]
	global_load_b64 v[6:7], v[6:7], off
	s_wait_loadcnt 0x0
	v_sub_nc_u32_e32 v7, v7, v6
	v_cmp_ge_u32_e64 s2, v8, v7
	s_and_saveexec_b32 s21, s2
	s_delay_alu instid0(SALU_CYCLE_1)
	s_xor_b32 s2, exec_lo, s21
; %bb.3:
	v_mov_b64_e32 v[6:7], 0
	v_lshlrev_b32_e32 v9, 3, v0
	ds_store_b64 v9, v[6:7]
                                        ; implicit-def: $vgpr6_vgpr7
; %bb.4:
	s_and_not1_saveexec_b32 s2, s2
	s_cbranch_execz .LBB45_6
; %bb.5:
	v_add_nc_u32_e32 v9, v6, v1
	v_xor_b32_e32 v14, 0x80000000, v5
	v_mov_b32_e32 v15, v4
	s_clause 0x1
	global_load_b32 v10, v9, s[6:7] scale_offset
	global_load_b64 v[6:7], v9, s[8:9] scale_offset
	s_wait_loadcnt 0x1
	s_wait_xcnt 0x0
	v_subrev_nc_u32_e32 v9, s16, v10
	s_wait_loadcnt 0x0
	v_cndmask_b32_e64 v12, v7, -v7, s3
	global_load_b64 v[10:11], v9, s[10:11] scale_offset
	s_wait_xcnt 0x0
	v_lshlrev_b32_e32 v9, 3, v0
	v_pk_mul_f32 v[12:13], v[12:13], v[14:15] op_sel_hi:[0,1]
	s_delay_alu instid0(VALU_DEP_1) | instskip(SKIP_1) | instid1(VALU_DEP_1)
	v_pk_fma_f32 v[6:7], v[4:5], v[6:7], v[12:13] op_sel_hi:[1,0,1]
	s_wait_loadcnt 0x0
	v_pk_mul_f32 v[12:13], v[10:11], v[6:7] op_sel:[1,1] op_sel_hi:[1,0] neg_lo:[0,1]
	s_delay_alu instid0(VALU_DEP_1)
	v_pk_fma_f32 v[6:7], v[6:7], v[10:11], v[12:13] op_sel_hi:[1,0,1]
	ds_store_b64 v9, v[6:7]
.LBB45_6:
	s_or_b32 exec_lo, exec_lo, s20
	v_or_b32_e32 v6, 0x100, v0
	s_mov_b32 s20, exec_lo
	s_delay_alu instid0(VALU_DEP_1) | instskip(NEXT) | instid1(VALU_DEP_1)
	v_lshrrev_b32_e32 v6, s17, v6
	v_add_nc_u32_e32 v6, s15, v6
	s_delay_alu instid0(VALU_DEP_1)
	v_cmpx_gt_u32_e64 s19, v6
	s_cbranch_execz .LBB45_11
; %bb.7:
	v_add_nc_u32_e32 v6, s18, v6
	global_load_b32 v6, v6, s[12:13] scale_offset
	s_wait_loadcnt 0x0
	v_ashrrev_i32_e32 v7, 31, v6
	s_delay_alu instid0(VALU_DEP_1) | instskip(SKIP_3) | instid1(VALU_DEP_1)
	v_lshl_add_u64 v[6:7], v[6:7], 2, s[4:5]
	global_load_b64 v[6:7], v[6:7], off
	s_wait_loadcnt 0x0
	v_sub_nc_u32_e32 v7, v7, v6
	v_cmp_ge_u32_e64 s2, v8, v7
	s_and_saveexec_b32 s21, s2
	s_delay_alu instid0(SALU_CYCLE_1)
	s_xor_b32 s2, exec_lo, s21
; %bb.8:
	v_mov_b64_e32 v[6:7], 0
	v_lshlrev_b32_e32 v9, 3, v0
	ds_store_b64 v9, v[6:7] offset:2048
                                        ; implicit-def: $vgpr6_vgpr7
; %bb.9:
	s_and_not1_saveexec_b32 s2, s2
	s_cbranch_execz .LBB45_11
; %bb.10:
	v_add_nc_u32_e32 v9, v6, v1
	v_xor_b32_e32 v14, 0x80000000, v5
	v_mov_b32_e32 v15, v4
	s_clause 0x1
	global_load_b32 v10, v9, s[6:7] scale_offset
	global_load_b64 v[6:7], v9, s[8:9] scale_offset
	s_wait_loadcnt 0x1
	s_wait_xcnt 0x0
	v_subrev_nc_u32_e32 v9, s16, v10
	s_wait_loadcnt 0x0
	v_cndmask_b32_e64 v12, v7, -v7, s3
	global_load_b64 v[10:11], v9, s[10:11] scale_offset
	s_wait_xcnt 0x0
	v_lshlrev_b32_e32 v9, 3, v0
	v_pk_mul_f32 v[12:13], v[12:13], v[14:15] op_sel_hi:[0,1]
	s_delay_alu instid0(VALU_DEP_1) | instskip(SKIP_1) | instid1(VALU_DEP_1)
	v_pk_fma_f32 v[6:7], v[4:5], v[6:7], v[12:13] op_sel_hi:[1,0,1]
	s_wait_loadcnt 0x0
	v_pk_mul_f32 v[12:13], v[10:11], v[6:7] op_sel:[1,1] op_sel_hi:[1,0] neg_lo:[0,1]
	s_delay_alu instid0(VALU_DEP_1)
	v_pk_fma_f32 v[6:7], v[6:7], v[10:11], v[12:13] op_sel_hi:[1,0,1]
	ds_store_b64 v9, v[6:7] offset:2048
.LBB45_11:
	s_or_b32 exec_lo, exec_lo, s20
	v_or_b32_e32 v6, 0x200, v0
	s_mov_b32 s20, exec_lo
	s_delay_alu instid0(VALU_DEP_1) | instskip(NEXT) | instid1(VALU_DEP_1)
	v_lshrrev_b32_e32 v6, s17, v6
	v_add_nc_u32_e32 v6, s15, v6
	s_delay_alu instid0(VALU_DEP_1)
	v_cmpx_gt_u32_e64 s19, v6
	s_cbranch_execz .LBB45_16
; %bb.12:
	v_add_nc_u32_e32 v6, s18, v6
	global_load_b32 v6, v6, s[12:13] scale_offset
	s_wait_loadcnt 0x0
	v_ashrrev_i32_e32 v7, 31, v6
	s_delay_alu instid0(VALU_DEP_1) | instskip(SKIP_3) | instid1(VALU_DEP_1)
	v_lshl_add_u64 v[6:7], v[6:7], 2, s[4:5]
	global_load_b64 v[6:7], v[6:7], off
	s_wait_loadcnt 0x0
	v_sub_nc_u32_e32 v7, v7, v6
	v_cmp_ge_u32_e64 s2, v8, v7
	s_and_saveexec_b32 s21, s2
	s_delay_alu instid0(SALU_CYCLE_1)
	s_xor_b32 s2, exec_lo, s21
; %bb.13:
	v_mov_b64_e32 v[6:7], 0
	v_lshlrev_b32_e32 v9, 3, v0
	ds_store_b64 v9, v[6:7] offset:4096
                                        ; implicit-def: $vgpr6_vgpr7
; %bb.14:
	s_and_not1_saveexec_b32 s2, s2
	s_cbranch_execz .LBB45_16
; %bb.15:
	v_add_nc_u32_e32 v9, v6, v1
	v_xor_b32_e32 v14, 0x80000000, v5
	v_mov_b32_e32 v15, v4
	s_clause 0x1
	global_load_b32 v10, v9, s[6:7] scale_offset
	global_load_b64 v[6:7], v9, s[8:9] scale_offset
	s_wait_loadcnt 0x1
	s_wait_xcnt 0x0
	v_subrev_nc_u32_e32 v9, s16, v10
	s_wait_loadcnt 0x0
	v_cndmask_b32_e64 v12, v7, -v7, s3
	global_load_b64 v[10:11], v9, s[10:11] scale_offset
	s_wait_xcnt 0x0
	v_lshlrev_b32_e32 v9, 3, v0
	v_pk_mul_f32 v[12:13], v[12:13], v[14:15] op_sel_hi:[0,1]
	s_delay_alu instid0(VALU_DEP_1) | instskip(SKIP_1) | instid1(VALU_DEP_1)
	v_pk_fma_f32 v[6:7], v[4:5], v[6:7], v[12:13] op_sel_hi:[1,0,1]
	s_wait_loadcnt 0x0
	v_pk_mul_f32 v[12:13], v[10:11], v[6:7] op_sel:[1,1] op_sel_hi:[1,0] neg_lo:[0,1]
	s_delay_alu instid0(VALU_DEP_1)
	v_pk_fma_f32 v[6:7], v[6:7], v[10:11], v[12:13] op_sel_hi:[1,0,1]
	ds_store_b64 v9, v[6:7] offset:4096
.LBB45_16:
	s_or_b32 exec_lo, exec_lo, s20
	v_or_b32_e32 v6, 0x300, v0
	s_mov_b32 s20, exec_lo
	s_delay_alu instid0(VALU_DEP_1) | instskip(NEXT) | instid1(VALU_DEP_1)
	v_lshrrev_b32_e32 v6, s17, v6
	v_add_nc_u32_e32 v6, s15, v6
	s_delay_alu instid0(VALU_DEP_1)
	v_cmpx_gt_u32_e64 s19, v6
	s_cbranch_execz .LBB45_21
; %bb.17:
	v_add_nc_u32_e32 v6, s18, v6
	global_load_b32 v6, v6, s[12:13] scale_offset
	s_wait_loadcnt 0x0
	v_ashrrev_i32_e32 v7, 31, v6
	s_delay_alu instid0(VALU_DEP_1) | instskip(SKIP_3) | instid1(VALU_DEP_1)
	v_lshl_add_u64 v[6:7], v[6:7], 2, s[4:5]
	global_load_b64 v[6:7], v[6:7], off
	s_wait_loadcnt 0x0
	v_sub_nc_u32_e32 v7, v7, v6
	v_cmp_ge_u32_e64 s2, v8, v7
	v_lshlrev_b32_e32 v7, 3, v0
	s_and_saveexec_b32 s4, s2
	s_delay_alu instid0(SALU_CYCLE_1)
	s_xor_b32 s2, exec_lo, s4
; %bb.18:
	v_mov_b64_e32 v[4:5], 0
                                        ; implicit-def: $vgpr1
	ds_store_b64 v7, v[4:5] offset:6144
                                        ; implicit-def: $vgpr6_vgpr7
                                        ; implicit-def: $vgpr4_vgpr5
                                        ; implicit-def: $vgpr7
; %bb.19:
	s_and_not1_saveexec_b32 s2, s2
	s_cbranch_execz .LBB45_21
; %bb.20:
	v_dual_add_nc_u32 v1, v6, v1 :: v_dual_mov_b32 v13, v4
	v_xor_b32_e32 v12, 0x80000000, v5
	s_clause 0x1
	global_load_b32 v6, v1, s[6:7] scale_offset
	global_load_b64 v[8:9], v1, s[8:9] scale_offset
	s_wait_loadcnt 0x1
	s_wait_xcnt 0x0
	v_subrev_nc_u32_e32 v1, s16, v6
	s_wait_loadcnt 0x0
	v_cndmask_b32_e64 v6, v9, -v9, s3
	global_load_b64 v[10:11], v1, s[10:11] scale_offset
	v_pk_mul_f32 v[12:13], v[6:7], v[12:13] op_sel_hi:[0,1]
	s_delay_alu instid0(VALU_DEP_1) | instskip(SKIP_1) | instid1(VALU_DEP_1)
	v_pk_fma_f32 v[4:5], v[4:5], v[8:9], v[12:13] op_sel_hi:[1,0,1]
	s_wait_loadcnt 0x0
	v_pk_mul_f32 v[8:9], v[10:11], v[4:5] op_sel:[1,1] op_sel_hi:[1,0] neg_lo:[0,1]
	s_delay_alu instid0(VALU_DEP_1)
	v_pk_fma_f32 v[4:5], v[4:5], v[10:11], v[8:9] op_sel_hi:[1,0,1]
	ds_store_b64 v7, v[4:5] offset:6144
.LBB45_21:
	s_or_b32 exec_lo, exec_lo, s20
	s_cmp_lt_u32 s17, 11
	s_wait_dscnt 0x0
	s_barrier_signal -1
	s_barrier_wait -1
	s_cbranch_scc0 .LBB45_30
; %bb.22:
	s_load_b64 s[2:3], s[0:1], 0x50
	s_wait_xcnt 0x0
	v_cmp_neq_f32_e64 s0, 0, v2
	v_xor_b32_e32 v4, 0x80000000, v3
	v_mov_b32_e32 v5, v2
	s_sub_co_i32 s1, s19, s15
	s_add_co_i32 s18, s18, s15
	s_mov_b32 s4, 0
	s_or_b32 s0, s0, vcc_lo
	s_branch .LBB45_25
.LBB45_23:                              ;   in Loop: Header=BB45_25 Depth=1
	s_wait_xcnt 0x0
	s_or_b32 exec_lo, exec_lo, s6
	global_store_b64 v[8:9], v[6:7], off
.LBB45_24:                              ;   in Loop: Header=BB45_25 Depth=1
	s_wait_xcnt 0x0
	s_or_b32 exec_lo, exec_lo, s5
	s_addk_co_i32 s4, 0x100
	s_delay_alu instid0(SALU_CYCLE_1)
	s_cmp_lt_u32 s4, s14
	s_cbranch_scc0 .LBB45_30
.LBB45_25:                              ; =>This Loop Header: Depth=1
                                        ;     Child Loop BB45_27 Depth 2
	v_add_nc_u32_e32 v1, s4, v0
	s_mov_b32 s5, exec_lo
	s_delay_alu instid0(VALU_DEP_1)
	v_cmpx_gt_u32_e64 s1, v1
	s_cbranch_execz .LBB45_24
; %bb.26:                               ;   in Loop: Header=BB45_25 Depth=1
	v_dual_add_nc_u32 v6, s18, v1 :: v_dual_lshlrev_b32 v1, s17, v1
	s_mov_b32 s6, 1
	global_load_b32 v8, v6, s[12:13] scale_offset
	s_wait_xcnt 0x0
	v_dual_mov_b32 v6, 0 :: v_dual_lshlrev_b32 v1, 3, v1
	s_delay_alu instid0(VALU_DEP_1)
	v_mov_b32_e32 v7, v6
.LBB45_27:                              ;   Parent Loop BB45_25 Depth=1
                                        ; =>  This Inner Loop Header: Depth=2
	ds_load_b64 v[10:11], v1
	v_add_nc_u32_e32 v1, 8, v1
	s_lshr_b32 s7, s6, s17
	s_add_co_i32 s6, s6, 1
	s_cmp_lg_u32 s7, 0
	s_wait_dscnt 0x0
	v_pk_add_f32 v[6:7], v[6:7], v[10:11]
	s_cbranch_scc0 .LBB45_27
; %bb.28:                               ;   in Loop: Header=BB45_25 Depth=1
	s_wait_loadcnt 0x0
	v_ashrrev_i32_e32 v9, 31, v8
	s_wait_kmcnt 0x0
	s_delay_alu instid0(VALU_DEP_1)
	v_lshl_add_u64 v[8:9], v[8:9], 3, s[2:3]
	s_and_saveexec_b32 s6, s0
	s_cbranch_execz .LBB45_23
; %bb.29:                               ;   in Loop: Header=BB45_25 Depth=1
	global_load_b64 v[10:11], v[8:9], off
	s_wait_loadcnt 0x0
	v_pk_fma_f32 v[6:7], v[2:3], v[10:11], v[6:7] op_sel_hi:[1,0,1]
	s_delay_alu instid0(VALU_DEP_1)
	v_pk_fma_f32 v[6:7], v[4:5], v[10:11], v[6:7] op_sel:[0,1,0]
	s_branch .LBB45_23
.LBB45_30:
	s_endpgm
	.section	.rodata,"a",@progbits
	.p2align	6, 0x0
	.amdhsa_kernel _ZN9rocsparseL30csrmvn_lrb_short_rows_2_kernelIii21rocsparse_complex_numIfES2_S2_S2_EEvbT_PT0_S5_jNS_24const_host_device_scalarIT4_EEPKS3_PKS4_PKT1_PKT2_S8_PT3_21rocsparse_index_base_b
		.amdhsa_group_segment_fixed_size 8192
		.amdhsa_private_segment_fixed_size 0
		.amdhsa_kernarg_size 96
		.amdhsa_user_sgpr_count 2
		.amdhsa_user_sgpr_dispatch_ptr 0
		.amdhsa_user_sgpr_queue_ptr 0
		.amdhsa_user_sgpr_kernarg_segment_ptr 1
		.amdhsa_user_sgpr_dispatch_id 0
		.amdhsa_user_sgpr_kernarg_preload_length 0
		.amdhsa_user_sgpr_kernarg_preload_offset 0
		.amdhsa_user_sgpr_private_segment_size 0
		.amdhsa_wavefront_size32 1
		.amdhsa_uses_dynamic_stack 0
		.amdhsa_enable_private_segment 0
		.amdhsa_system_sgpr_workgroup_id_x 1
		.amdhsa_system_sgpr_workgroup_id_y 0
		.amdhsa_system_sgpr_workgroup_id_z 0
		.amdhsa_system_sgpr_workgroup_info 0
		.amdhsa_system_vgpr_workitem_id 0
		.amdhsa_next_free_vgpr 16
		.amdhsa_next_free_sgpr 22
		.amdhsa_named_barrier_count 0
		.amdhsa_reserve_vcc 1
		.amdhsa_float_round_mode_32 0
		.amdhsa_float_round_mode_16_64 0
		.amdhsa_float_denorm_mode_32 3
		.amdhsa_float_denorm_mode_16_64 3
		.amdhsa_fp16_overflow 0
		.amdhsa_memory_ordered 1
		.amdhsa_forward_progress 1
		.amdhsa_inst_pref_size 14
		.amdhsa_round_robin_scheduling 0
		.amdhsa_exception_fp_ieee_invalid_op 0
		.amdhsa_exception_fp_denorm_src 0
		.amdhsa_exception_fp_ieee_div_zero 0
		.amdhsa_exception_fp_ieee_overflow 0
		.amdhsa_exception_fp_ieee_underflow 0
		.amdhsa_exception_fp_ieee_inexact 0
		.amdhsa_exception_int_div_zero 0
	.end_amdhsa_kernel
	.section	.text._ZN9rocsparseL30csrmvn_lrb_short_rows_2_kernelIii21rocsparse_complex_numIfES2_S2_S2_EEvbT_PT0_S5_jNS_24const_host_device_scalarIT4_EEPKS3_PKS4_PKT1_PKT2_S8_PT3_21rocsparse_index_base_b,"axG",@progbits,_ZN9rocsparseL30csrmvn_lrb_short_rows_2_kernelIii21rocsparse_complex_numIfES2_S2_S2_EEvbT_PT0_S5_jNS_24const_host_device_scalarIT4_EEPKS3_PKS4_PKT1_PKT2_S8_PT3_21rocsparse_index_base_b,comdat
.Lfunc_end45:
	.size	_ZN9rocsparseL30csrmvn_lrb_short_rows_2_kernelIii21rocsparse_complex_numIfES2_S2_S2_EEvbT_PT0_S5_jNS_24const_host_device_scalarIT4_EEPKS3_PKS4_PKT1_PKT2_S8_PT3_21rocsparse_index_base_b, .Lfunc_end45-_ZN9rocsparseL30csrmvn_lrb_short_rows_2_kernelIii21rocsparse_complex_numIfES2_S2_S2_EEvbT_PT0_S5_jNS_24const_host_device_scalarIT4_EEPKS3_PKS4_PKT1_PKT2_S8_PT3_21rocsparse_index_base_b
                                        ; -- End function
	.set _ZN9rocsparseL30csrmvn_lrb_short_rows_2_kernelIii21rocsparse_complex_numIfES2_S2_S2_EEvbT_PT0_S5_jNS_24const_host_device_scalarIT4_EEPKS3_PKS4_PKT1_PKT2_S8_PT3_21rocsparse_index_base_b.num_vgpr, 16
	.set _ZN9rocsparseL30csrmvn_lrb_short_rows_2_kernelIii21rocsparse_complex_numIfES2_S2_S2_EEvbT_PT0_S5_jNS_24const_host_device_scalarIT4_EEPKS3_PKS4_PKT1_PKT2_S8_PT3_21rocsparse_index_base_b.num_agpr, 0
	.set _ZN9rocsparseL30csrmvn_lrb_short_rows_2_kernelIii21rocsparse_complex_numIfES2_S2_S2_EEvbT_PT0_S5_jNS_24const_host_device_scalarIT4_EEPKS3_PKS4_PKT1_PKT2_S8_PT3_21rocsparse_index_base_b.numbered_sgpr, 22
	.set _ZN9rocsparseL30csrmvn_lrb_short_rows_2_kernelIii21rocsparse_complex_numIfES2_S2_S2_EEvbT_PT0_S5_jNS_24const_host_device_scalarIT4_EEPKS3_PKS4_PKT1_PKT2_S8_PT3_21rocsparse_index_base_b.num_named_barrier, 0
	.set _ZN9rocsparseL30csrmvn_lrb_short_rows_2_kernelIii21rocsparse_complex_numIfES2_S2_S2_EEvbT_PT0_S5_jNS_24const_host_device_scalarIT4_EEPKS3_PKS4_PKT1_PKT2_S8_PT3_21rocsparse_index_base_b.private_seg_size, 0
	.set _ZN9rocsparseL30csrmvn_lrb_short_rows_2_kernelIii21rocsparse_complex_numIfES2_S2_S2_EEvbT_PT0_S5_jNS_24const_host_device_scalarIT4_EEPKS3_PKS4_PKT1_PKT2_S8_PT3_21rocsparse_index_base_b.uses_vcc, 1
	.set _ZN9rocsparseL30csrmvn_lrb_short_rows_2_kernelIii21rocsparse_complex_numIfES2_S2_S2_EEvbT_PT0_S5_jNS_24const_host_device_scalarIT4_EEPKS3_PKS4_PKT1_PKT2_S8_PT3_21rocsparse_index_base_b.uses_flat_scratch, 1
	.set _ZN9rocsparseL30csrmvn_lrb_short_rows_2_kernelIii21rocsparse_complex_numIfES2_S2_S2_EEvbT_PT0_S5_jNS_24const_host_device_scalarIT4_EEPKS3_PKS4_PKT1_PKT2_S8_PT3_21rocsparse_index_base_b.has_dyn_sized_stack, 0
	.set _ZN9rocsparseL30csrmvn_lrb_short_rows_2_kernelIii21rocsparse_complex_numIfES2_S2_S2_EEvbT_PT0_S5_jNS_24const_host_device_scalarIT4_EEPKS3_PKS4_PKT1_PKT2_S8_PT3_21rocsparse_index_base_b.has_recursion, 0
	.set _ZN9rocsparseL30csrmvn_lrb_short_rows_2_kernelIii21rocsparse_complex_numIfES2_S2_S2_EEvbT_PT0_S5_jNS_24const_host_device_scalarIT4_EEPKS3_PKS4_PKT1_PKT2_S8_PT3_21rocsparse_index_base_b.has_indirect_call, 0
	.section	.AMDGPU.csdata,"",@progbits
; Kernel info:
; codeLenInByte = 1740
; TotalNumSgprs: 24
; NumVgprs: 16
; ScratchSize: 0
; MemoryBound: 0
; FloatMode: 240
; IeeeMode: 1
; LDSByteSize: 8192 bytes/workgroup (compile time only)
; SGPRBlocks: 0
; VGPRBlocks: 0
; NumSGPRsForWavesPerEU: 24
; NumVGPRsForWavesPerEU: 16
; NamedBarCnt: 0
; Occupancy: 16
; WaveLimiterHint : 1
; COMPUTE_PGM_RSRC2:SCRATCH_EN: 0
; COMPUTE_PGM_RSRC2:USER_SGPR: 2
; COMPUTE_PGM_RSRC2:TRAP_HANDLER: 0
; COMPUTE_PGM_RSRC2:TGID_X_EN: 1
; COMPUTE_PGM_RSRC2:TGID_Y_EN: 0
; COMPUTE_PGM_RSRC2:TGID_Z_EN: 0
; COMPUTE_PGM_RSRC2:TIDIG_COMP_CNT: 0
	.section	.text._ZN9rocsparseL41csrmvn_lrb_medium_rows_warp_reduce_kernelILj256ELj32Eii21rocsparse_complex_numIfES2_S2_S2_EEvbT1_lPT2_S5_jNS_24const_host_device_scalarIT6_EEPKS3_PKS4_PKT3_PKT4_S8_PT5_21rocsparse_index_base_b,"axG",@progbits,_ZN9rocsparseL41csrmvn_lrb_medium_rows_warp_reduce_kernelILj256ELj32Eii21rocsparse_complex_numIfES2_S2_S2_EEvbT1_lPT2_S5_jNS_24const_host_device_scalarIT6_EEPKS3_PKS4_PKT3_PKT4_S8_PT5_21rocsparse_index_base_b,comdat
	.globl	_ZN9rocsparseL41csrmvn_lrb_medium_rows_warp_reduce_kernelILj256ELj32Eii21rocsparse_complex_numIfES2_S2_S2_EEvbT1_lPT2_S5_jNS_24const_host_device_scalarIT6_EEPKS3_PKS4_PKT3_PKT4_S8_PT5_21rocsparse_index_base_b ; -- Begin function _ZN9rocsparseL41csrmvn_lrb_medium_rows_warp_reduce_kernelILj256ELj32Eii21rocsparse_complex_numIfES2_S2_S2_EEvbT1_lPT2_S5_jNS_24const_host_device_scalarIT6_EEPKS3_PKS4_PKT3_PKT4_S8_PT5_21rocsparse_index_base_b
	.p2align	8
	.type	_ZN9rocsparseL41csrmvn_lrb_medium_rows_warp_reduce_kernelILj256ELj32Eii21rocsparse_complex_numIfES2_S2_S2_EEvbT1_lPT2_S5_jNS_24const_host_device_scalarIT6_EEPKS3_PKS4_PKT3_PKT4_S8_PT5_21rocsparse_index_base_b,@function
_ZN9rocsparseL41csrmvn_lrb_medium_rows_warp_reduce_kernelILj256ELj32Eii21rocsparse_complex_numIfES2_S2_S2_EEvbT1_lPT2_S5_jNS_24const_host_device_scalarIT6_EEPKS3_PKS4_PKT3_PKT4_S8_PT5_21rocsparse_index_base_b: ; @_ZN9rocsparseL41csrmvn_lrb_medium_rows_warp_reduce_kernelILj256ELj32Eii21rocsparse_complex_numIfES2_S2_S2_EEvbT1_lPT2_S5_jNS_24const_host_device_scalarIT6_EEPKS3_PKS4_PKT3_PKT4_S8_PT5_21rocsparse_index_base_b
; %bb.0:
	s_clause 0x2
	s_load_b64 s[8:9], s[0:1], 0x60
	s_load_b64 s[2:3], s[0:1], 0x28
	;; [unrolled: 1-line block ×3, first 2 shown]
	v_mov_b32_e32 v1, 0
	s_add_nc_u64 s[6:7], s[0:1], 40
	s_add_nc_u64 s[10:11], s[0:1], 0x50
	s_wait_kmcnt 0x0
	s_bitcmp1_b32 s9, 0
	s_cselect_b32 s3, s7, s3
	s_cselect_b32 s2, s6, s2
	;; [unrolled: 1-line block ×4, first 2 shown]
	s_clause 0x1
	flat_load_b64 v[6:7], v1, s[2:3]
	flat_load_b64 v[2:3], v1, s[4:5]
	s_wait_loadcnt_dscnt 0x101
	s_wait_xcnt 0x1
	v_cmp_neq_f32_e64 s2, 0, v6
	v_cmp_neq_f32_e64 s3, 0, v7
	s_wait_loadcnt_dscnt 0x0
	v_cmp_neq_f32_e64 s4, 1.0, v2
	v_cmp_neq_f32_e32 vcc_lo, 0, v3
	s_or_b32 s2, s2, s3
	s_or_b32 s3, s4, vcc_lo
	s_delay_alu instid0(SALU_CYCLE_1) | instskip(NEXT) | instid1(SALU_CYCLE_1)
	s_or_b32 s2, s2, s3
	s_and_saveexec_b32 s3, s2
	s_cbranch_execz .LBB46_10
; %bb.1:
	s_bfe_u32 s4, ttmp6, 0x4000c
	s_load_b64 s[2:3], s[0:1], 0x8
	s_add_co_i32 s4, s4, 1
	s_and_b32 s5, ttmp6, 15
	s_mul_i32 s4, ttmp9, s4
	s_getreg_b32 s6, hwreg(HW_REG_IB_STS2, 6, 4)
	v_lshrrev_b32_e32 v1, 5, v0
	s_add_co_i32 s5, s5, s4
	s_cmp_eq_u32 s6, 0
	s_cselect_b32 s4, ttmp9, s5
	s_delay_alu instid0(VALU_DEP_1) | instid1(SALU_CYCLE_1)
	v_lshl_or_b32 v4, s4, 3, v1
	s_delay_alu instid0(VALU_DEP_1) | instskip(SKIP_1) | instid1(VALU_DEP_1)
	v_ashrrev_i32_e32 v5, 31, v4
	s_wait_kmcnt 0x0
	v_cmp_gt_i64_e64 s2, s[2:3], v[4:5]
	s_and_b32 exec_lo, exec_lo, s2
	s_cbranch_execz .LBB46_10
; %bb.2:
	s_clause 0x1
	s_load_b128 s[4:7], s[0:1], 0x10
	s_load_b32 s2, s[0:1], 0x20
	s_wait_kmcnt 0x0
	s_load_b32 s2, s[6:7], s2 offset:0x0 scale_offset
	s_wait_kmcnt 0x0
	v_add_nc_u32_e32 v1, s2, v4
	s_load_b64 s[2:3], s[0:1], 0x30
	global_load_b32 v4, v1, s[4:5] scale_offset
	s_wait_loadcnt 0x0
	v_dual_mov_b32 v1, 0 :: v_dual_ashrrev_i32 v5, 31, v4
	s_wait_kmcnt 0x0
	s_delay_alu instid0(VALU_DEP_1) | instskip(SKIP_3) | instid1(VALU_DEP_1)
	v_lshl_add_u64 v[8:9], v[4:5], 2, s[2:3]
	s_mov_b32 s3, exec_lo
	global_load_b64 v[8:9], v[8:9], off
	v_and_b32_e32 v10, 31, v0
	v_subrev_nc_u32_e32 v0, s8, v10
	s_wait_loadcnt 0x0
	v_subrev_nc_u32_e32 v11, s8, v9
	s_delay_alu instid0(VALU_DEP_2) | instskip(NEXT) | instid1(VALU_DEP_1)
	v_dual_add_nc_u32 v12, v8, v0 :: v_dual_mov_b32 v0, v1
	v_cmpx_lt_i32_e64 v12, v11
	s_cbranch_execz .LBB46_6
; %bb.3:
	s_clause 0x2
	s_load_b32 s2, s[0:1], 0x0
	s_load_b128 s[4:7], s[0:1], 0x38
	s_load_b64 s[10:11], s[0:1], 0x48
	v_dual_mov_b32 v1, 0 :: v_dual_mov_b32 v9, v6
	v_xor_b32_e32 v8, 0x80000000, v7
	s_mov_b32 s9, 0
	s_delay_alu instid0(VALU_DEP_2)
	v_mov_b32_e32 v0, v1
	s_wait_kmcnt 0x0
	s_bitcmp1_b32 s2, 0
	s_cselect_b32 s12, -1, 0
.LBB46_4:                               ; =>This Inner Loop Header: Depth=1
	s_clause 0x1
	global_load_b32 v13, v12, s[4:5] scale_offset
	global_load_b64 v[14:15], v12, s[6:7] scale_offset
	s_wait_xcnt 0x0
	v_add_nc_u32_e32 v12, 32, v12
	s_delay_alu instid0(VALU_DEP_1)
	v_cmp_ge_i32_e64 s2, v12, v11
	s_or_b32 s9, s2, s9
	s_wait_loadcnt 0x1
	v_subrev_nc_u32_e32 v13, s8, v13
	s_wait_loadcnt 0x0
	v_cndmask_b32_e64 v18, v15, -v15, s12
	global_load_b64 v[16:17], v13, s[10:11] scale_offset
	v_pk_mul_f32 v[18:19], v[18:19], v[8:9] op_sel_hi:[0,1]
	s_delay_alu instid0(VALU_DEP_1) | instskip(SKIP_1) | instid1(VALU_DEP_1)
	v_pk_fma_f32 v[14:15], v[6:7], v[14:15], v[18:19] op_sel_hi:[1,0,1]
	s_wait_loadcnt 0x0
	v_pk_fma_f32 v[0:1], v[14:15], v[16:17], v[0:1] op_sel_hi:[1,0,1]
	s_delay_alu instid0(VALU_DEP_1)
	v_pk_fma_f32 v[0:1], v[14:15], v[16:17], v[0:1] op_sel:[1,1,0] op_sel_hi:[0,1,1] neg_lo:[1,0,0]
	s_and_not1_b32 exec_lo, exec_lo, s9
	s_cbranch_execnz .LBB46_4
; %bb.5:
	s_or_b32 exec_lo, exec_lo, s9
.LBB46_6:
	s_delay_alu instid0(SALU_CYCLE_1) | instskip(SKIP_2) | instid1(VALU_DEP_1)
	s_or_b32 exec_lo, exec_lo, s3
	v_mbcnt_lo_u32_b32 v8, -1, 0
	s_load_b64 s[2:3], s[0:1], 0x58
	v_xor_b32_e32 v9, 8, v8
	v_xor_b32_e32 v6, 16, v8
	s_wait_xcnt 0x0
	s_delay_alu instid0(VALU_DEP_1) | instskip(NEXT) | instid1(VALU_DEP_1)
	v_cmp_gt_i32_e64 s0, 32, v6
	v_cndmask_b32_e64 v6, v8, v6, s0
	v_cmp_gt_i32_e64 s0, 32, v9
	s_delay_alu instid0(VALU_DEP_1) | instskip(NEXT) | instid1(VALU_DEP_1)
	v_cndmask_b32_e64 v9, v8, v9, s0
	v_dual_lshlrev_b32 v9, 2, v9 :: v_dual_lshlrev_b32 v7, 2, v6
	ds_bpermute_b32 v6, v7, v0
	ds_bpermute_b32 v7, v7, v1
	s_wait_dscnt 0x0
	v_pk_add_f32 v[0:1], v[0:1], v[6:7]
	ds_bpermute_b32 v6, v9, v0
	ds_bpermute_b32 v7, v9, v1
	v_xor_b32_e32 v9, 4, v8
	s_delay_alu instid0(VALU_DEP_1) | instskip(NEXT) | instid1(VALU_DEP_1)
	v_cmp_gt_i32_e64 s0, 32, v9
	v_cndmask_b32_e64 v9, v8, v9, s0
	s_delay_alu instid0(VALU_DEP_1)
	v_lshlrev_b32_e32 v9, 2, v9
	s_wait_dscnt 0x0
	v_pk_add_f32 v[0:1], v[0:1], v[6:7]
	ds_bpermute_b32 v6, v9, v0
	ds_bpermute_b32 v7, v9, v1
	v_xor_b32_e32 v9, 2, v8
	s_delay_alu instid0(VALU_DEP_1) | instskip(NEXT) | instid1(VALU_DEP_1)
	v_cmp_gt_i32_e64 s0, 32, v9
	v_cndmask_b32_e64 v9, v8, v9, s0
	s_delay_alu instid0(VALU_DEP_1)
	v_lshlrev_b32_e32 v9, 2, v9
	s_wait_dscnt 0x0
	v_pk_add_f32 v[0:1], v[0:1], v[6:7]
	ds_bpermute_b32 v6, v9, v0
	ds_bpermute_b32 v7, v9, v1
	v_xor_b32_e32 v9, 1, v8
	s_delay_alu instid0(VALU_DEP_1) | instskip(NEXT) | instid1(VALU_DEP_1)
	v_cmp_gt_i32_e64 s0, 32, v9
	v_cndmask_b32_e64 v8, v8, v9, s0
	v_cmp_eq_u32_e64 s0, 31, v10
	s_delay_alu instid0(VALU_DEP_2)
	v_lshlrev_b32_e32 v8, 2, v8
	s_wait_dscnt 0x0
	v_pk_add_f32 v[0:1], v[0:1], v[6:7]
	ds_bpermute_b32 v6, v8, v0
	ds_bpermute_b32 v7, v8, v1
	s_and_b32 exec_lo, exec_lo, s0
	s_cbranch_execz .LBB46_10
; %bb.7:
	v_cmp_neq_f32_e64 s0, 0, v2
	s_wait_dscnt 0x0
	v_pk_add_f32 v[6:7], v[0:1], v[6:7]
	s_wait_kmcnt 0x0
	v_lshl_add_u64 v[0:1], v[4:5], 3, s[2:3]
	s_or_b32 s1, s0, vcc_lo
	s_delay_alu instid0(SALU_CYCLE_1)
	s_and_saveexec_b32 s0, s1
	s_cbranch_execz .LBB46_9
; %bb.8:
	global_load_b64 v[4:5], v[0:1], off
	v_xor_b32_e32 v8, 0x80000000, v3
	v_mov_b32_e32 v9, v2
	s_wait_loadcnt 0x0
	v_pk_fma_f32 v[6:7], v[2:3], v[4:5], v[6:7] op_sel_hi:[1,0,1]
	s_delay_alu instid0(VALU_DEP_1)
	v_pk_fma_f32 v[6:7], v[8:9], v[4:5], v[6:7] op_sel:[0,1,0]
.LBB46_9:
	s_or_b32 exec_lo, exec_lo, s0
	global_store_b64 v[0:1], v[6:7], off
.LBB46_10:
	s_endpgm
	.section	.rodata,"a",@progbits
	.p2align	6, 0x0
	.amdhsa_kernel _ZN9rocsparseL41csrmvn_lrb_medium_rows_warp_reduce_kernelILj256ELj32Eii21rocsparse_complex_numIfES2_S2_S2_EEvbT1_lPT2_S5_jNS_24const_host_device_scalarIT6_EEPKS3_PKS4_PKT3_PKT4_S8_PT5_21rocsparse_index_base_b
		.amdhsa_group_segment_fixed_size 0
		.amdhsa_private_segment_fixed_size 0
		.amdhsa_kernarg_size 104
		.amdhsa_user_sgpr_count 2
		.amdhsa_user_sgpr_dispatch_ptr 0
		.amdhsa_user_sgpr_queue_ptr 0
		.amdhsa_user_sgpr_kernarg_segment_ptr 1
		.amdhsa_user_sgpr_dispatch_id 0
		.amdhsa_user_sgpr_kernarg_preload_length 0
		.amdhsa_user_sgpr_kernarg_preload_offset 0
		.amdhsa_user_sgpr_private_segment_size 0
		.amdhsa_wavefront_size32 1
		.amdhsa_uses_dynamic_stack 0
		.amdhsa_enable_private_segment 0
		.amdhsa_system_sgpr_workgroup_id_x 1
		.amdhsa_system_sgpr_workgroup_id_y 0
		.amdhsa_system_sgpr_workgroup_id_z 0
		.amdhsa_system_sgpr_workgroup_info 0
		.amdhsa_system_vgpr_workitem_id 0
		.amdhsa_next_free_vgpr 20
		.amdhsa_next_free_sgpr 13
		.amdhsa_named_barrier_count 0
		.amdhsa_reserve_vcc 1
		.amdhsa_float_round_mode_32 0
		.amdhsa_float_round_mode_16_64 0
		.amdhsa_float_denorm_mode_32 3
		.amdhsa_float_denorm_mode_16_64 3
		.amdhsa_fp16_overflow 0
		.amdhsa_memory_ordered 1
		.amdhsa_forward_progress 1
		.amdhsa_inst_pref_size 9
		.amdhsa_round_robin_scheduling 0
		.amdhsa_exception_fp_ieee_invalid_op 0
		.amdhsa_exception_fp_denorm_src 0
		.amdhsa_exception_fp_ieee_div_zero 0
		.amdhsa_exception_fp_ieee_overflow 0
		.amdhsa_exception_fp_ieee_underflow 0
		.amdhsa_exception_fp_ieee_inexact 0
		.amdhsa_exception_int_div_zero 0
	.end_amdhsa_kernel
	.section	.text._ZN9rocsparseL41csrmvn_lrb_medium_rows_warp_reduce_kernelILj256ELj32Eii21rocsparse_complex_numIfES2_S2_S2_EEvbT1_lPT2_S5_jNS_24const_host_device_scalarIT6_EEPKS3_PKS4_PKT3_PKT4_S8_PT5_21rocsparse_index_base_b,"axG",@progbits,_ZN9rocsparseL41csrmvn_lrb_medium_rows_warp_reduce_kernelILj256ELj32Eii21rocsparse_complex_numIfES2_S2_S2_EEvbT1_lPT2_S5_jNS_24const_host_device_scalarIT6_EEPKS3_PKS4_PKT3_PKT4_S8_PT5_21rocsparse_index_base_b,comdat
.Lfunc_end46:
	.size	_ZN9rocsparseL41csrmvn_lrb_medium_rows_warp_reduce_kernelILj256ELj32Eii21rocsparse_complex_numIfES2_S2_S2_EEvbT1_lPT2_S5_jNS_24const_host_device_scalarIT6_EEPKS3_PKS4_PKT3_PKT4_S8_PT5_21rocsparse_index_base_b, .Lfunc_end46-_ZN9rocsparseL41csrmvn_lrb_medium_rows_warp_reduce_kernelILj256ELj32Eii21rocsparse_complex_numIfES2_S2_S2_EEvbT1_lPT2_S5_jNS_24const_host_device_scalarIT6_EEPKS3_PKS4_PKT3_PKT4_S8_PT5_21rocsparse_index_base_b
                                        ; -- End function
	.set _ZN9rocsparseL41csrmvn_lrb_medium_rows_warp_reduce_kernelILj256ELj32Eii21rocsparse_complex_numIfES2_S2_S2_EEvbT1_lPT2_S5_jNS_24const_host_device_scalarIT6_EEPKS3_PKS4_PKT3_PKT4_S8_PT5_21rocsparse_index_base_b.num_vgpr, 20
	.set _ZN9rocsparseL41csrmvn_lrb_medium_rows_warp_reduce_kernelILj256ELj32Eii21rocsparse_complex_numIfES2_S2_S2_EEvbT1_lPT2_S5_jNS_24const_host_device_scalarIT6_EEPKS3_PKS4_PKT3_PKT4_S8_PT5_21rocsparse_index_base_b.num_agpr, 0
	.set _ZN9rocsparseL41csrmvn_lrb_medium_rows_warp_reduce_kernelILj256ELj32Eii21rocsparse_complex_numIfES2_S2_S2_EEvbT1_lPT2_S5_jNS_24const_host_device_scalarIT6_EEPKS3_PKS4_PKT3_PKT4_S8_PT5_21rocsparse_index_base_b.numbered_sgpr, 13
	.set _ZN9rocsparseL41csrmvn_lrb_medium_rows_warp_reduce_kernelILj256ELj32Eii21rocsparse_complex_numIfES2_S2_S2_EEvbT1_lPT2_S5_jNS_24const_host_device_scalarIT6_EEPKS3_PKS4_PKT3_PKT4_S8_PT5_21rocsparse_index_base_b.num_named_barrier, 0
	.set _ZN9rocsparseL41csrmvn_lrb_medium_rows_warp_reduce_kernelILj256ELj32Eii21rocsparse_complex_numIfES2_S2_S2_EEvbT1_lPT2_S5_jNS_24const_host_device_scalarIT6_EEPKS3_PKS4_PKT3_PKT4_S8_PT5_21rocsparse_index_base_b.private_seg_size, 0
	.set _ZN9rocsparseL41csrmvn_lrb_medium_rows_warp_reduce_kernelILj256ELj32Eii21rocsparse_complex_numIfES2_S2_S2_EEvbT1_lPT2_S5_jNS_24const_host_device_scalarIT6_EEPKS3_PKS4_PKT3_PKT4_S8_PT5_21rocsparse_index_base_b.uses_vcc, 1
	.set _ZN9rocsparseL41csrmvn_lrb_medium_rows_warp_reduce_kernelILj256ELj32Eii21rocsparse_complex_numIfES2_S2_S2_EEvbT1_lPT2_S5_jNS_24const_host_device_scalarIT6_EEPKS3_PKS4_PKT3_PKT4_S8_PT5_21rocsparse_index_base_b.uses_flat_scratch, 1
	.set _ZN9rocsparseL41csrmvn_lrb_medium_rows_warp_reduce_kernelILj256ELj32Eii21rocsparse_complex_numIfES2_S2_S2_EEvbT1_lPT2_S5_jNS_24const_host_device_scalarIT6_EEPKS3_PKS4_PKT3_PKT4_S8_PT5_21rocsparse_index_base_b.has_dyn_sized_stack, 0
	.set _ZN9rocsparseL41csrmvn_lrb_medium_rows_warp_reduce_kernelILj256ELj32Eii21rocsparse_complex_numIfES2_S2_S2_EEvbT1_lPT2_S5_jNS_24const_host_device_scalarIT6_EEPKS3_PKS4_PKT3_PKT4_S8_PT5_21rocsparse_index_base_b.has_recursion, 0
	.set _ZN9rocsparseL41csrmvn_lrb_medium_rows_warp_reduce_kernelILj256ELj32Eii21rocsparse_complex_numIfES2_S2_S2_EEvbT1_lPT2_S5_jNS_24const_host_device_scalarIT6_EEPKS3_PKS4_PKT3_PKT4_S8_PT5_21rocsparse_index_base_b.has_indirect_call, 0
	.section	.AMDGPU.csdata,"",@progbits
; Kernel info:
; codeLenInByte = 1056
; TotalNumSgprs: 15
; NumVgprs: 20
; ScratchSize: 0
; MemoryBound: 0
; FloatMode: 240
; IeeeMode: 1
; LDSByteSize: 0 bytes/workgroup (compile time only)
; SGPRBlocks: 0
; VGPRBlocks: 1
; NumSGPRsForWavesPerEU: 15
; NumVGPRsForWavesPerEU: 20
; NamedBarCnt: 0
; Occupancy: 16
; WaveLimiterHint : 1
; COMPUTE_PGM_RSRC2:SCRATCH_EN: 0
; COMPUTE_PGM_RSRC2:USER_SGPR: 2
; COMPUTE_PGM_RSRC2:TRAP_HANDLER: 0
; COMPUTE_PGM_RSRC2:TGID_X_EN: 1
; COMPUTE_PGM_RSRC2:TGID_Y_EN: 0
; COMPUTE_PGM_RSRC2:TGID_Z_EN: 0
; COMPUTE_PGM_RSRC2:TIDIG_COMP_CNT: 0
	.section	.text._ZN9rocsparseL41csrmvn_lrb_medium_rows_warp_reduce_kernelILj256ELj64Eii21rocsparse_complex_numIfES2_S2_S2_EEvbT1_lPT2_S5_jNS_24const_host_device_scalarIT6_EEPKS3_PKS4_PKT3_PKT4_S8_PT5_21rocsparse_index_base_b,"axG",@progbits,_ZN9rocsparseL41csrmvn_lrb_medium_rows_warp_reduce_kernelILj256ELj64Eii21rocsparse_complex_numIfES2_S2_S2_EEvbT1_lPT2_S5_jNS_24const_host_device_scalarIT6_EEPKS3_PKS4_PKT3_PKT4_S8_PT5_21rocsparse_index_base_b,comdat
	.globl	_ZN9rocsparseL41csrmvn_lrb_medium_rows_warp_reduce_kernelILj256ELj64Eii21rocsparse_complex_numIfES2_S2_S2_EEvbT1_lPT2_S5_jNS_24const_host_device_scalarIT6_EEPKS3_PKS4_PKT3_PKT4_S8_PT5_21rocsparse_index_base_b ; -- Begin function _ZN9rocsparseL41csrmvn_lrb_medium_rows_warp_reduce_kernelILj256ELj64Eii21rocsparse_complex_numIfES2_S2_S2_EEvbT1_lPT2_S5_jNS_24const_host_device_scalarIT6_EEPKS3_PKS4_PKT3_PKT4_S8_PT5_21rocsparse_index_base_b
	.p2align	8
	.type	_ZN9rocsparseL41csrmvn_lrb_medium_rows_warp_reduce_kernelILj256ELj64Eii21rocsparse_complex_numIfES2_S2_S2_EEvbT1_lPT2_S5_jNS_24const_host_device_scalarIT6_EEPKS3_PKS4_PKT3_PKT4_S8_PT5_21rocsparse_index_base_b,@function
_ZN9rocsparseL41csrmvn_lrb_medium_rows_warp_reduce_kernelILj256ELj64Eii21rocsparse_complex_numIfES2_S2_S2_EEvbT1_lPT2_S5_jNS_24const_host_device_scalarIT6_EEPKS3_PKS4_PKT3_PKT4_S8_PT5_21rocsparse_index_base_b: ; @_ZN9rocsparseL41csrmvn_lrb_medium_rows_warp_reduce_kernelILj256ELj64Eii21rocsparse_complex_numIfES2_S2_S2_EEvbT1_lPT2_S5_jNS_24const_host_device_scalarIT6_EEPKS3_PKS4_PKT3_PKT4_S8_PT5_21rocsparse_index_base_b
; %bb.0:
	s_clause 0x2
	s_load_b64 s[8:9], s[0:1], 0x60
	s_load_b64 s[2:3], s[0:1], 0x28
	;; [unrolled: 1-line block ×3, first 2 shown]
	v_mov_b32_e32 v1, 0
	s_add_nc_u64 s[6:7], s[0:1], 40
	s_add_nc_u64 s[10:11], s[0:1], 0x50
	s_wait_kmcnt 0x0
	s_bitcmp1_b32 s9, 0
	s_cselect_b32 s3, s7, s3
	s_cselect_b32 s2, s6, s2
	;; [unrolled: 1-line block ×4, first 2 shown]
	s_clause 0x1
	flat_load_b64 v[6:7], v1, s[2:3]
	flat_load_b64 v[2:3], v1, s[4:5]
	s_wait_loadcnt_dscnt 0x101
	s_wait_xcnt 0x1
	v_cmp_neq_f32_e64 s2, 0, v6
	v_cmp_neq_f32_e64 s3, 0, v7
	s_wait_loadcnt_dscnt 0x0
	v_cmp_neq_f32_e64 s4, 1.0, v2
	v_cmp_neq_f32_e32 vcc_lo, 0, v3
	s_or_b32 s2, s2, s3
	s_or_b32 s3, s4, vcc_lo
	s_delay_alu instid0(SALU_CYCLE_1) | instskip(NEXT) | instid1(SALU_CYCLE_1)
	s_or_b32 s2, s2, s3
	s_and_saveexec_b32 s3, s2
	s_cbranch_execz .LBB47_10
; %bb.1:
	s_bfe_u32 s4, ttmp6, 0x4000c
	s_load_b64 s[2:3], s[0:1], 0x8
	s_add_co_i32 s4, s4, 1
	s_and_b32 s5, ttmp6, 15
	s_mul_i32 s4, ttmp9, s4
	s_getreg_b32 s6, hwreg(HW_REG_IB_STS2, 6, 4)
	v_lshrrev_b32_e32 v1, 6, v0
	s_add_co_i32 s5, s5, s4
	s_cmp_eq_u32 s6, 0
	s_cselect_b32 s4, ttmp9, s5
	s_delay_alu instid0(VALU_DEP_1) | instid1(SALU_CYCLE_1)
	v_lshl_or_b32 v4, s4, 2, v1
	s_delay_alu instid0(VALU_DEP_1) | instskip(SKIP_1) | instid1(VALU_DEP_1)
	v_ashrrev_i32_e32 v5, 31, v4
	s_wait_kmcnt 0x0
	v_cmp_gt_i64_e64 s2, s[2:3], v[4:5]
	s_and_b32 exec_lo, exec_lo, s2
	s_cbranch_execz .LBB47_10
; %bb.2:
	s_clause 0x1
	s_load_b128 s[4:7], s[0:1], 0x10
	s_load_b32 s2, s[0:1], 0x20
	s_wait_kmcnt 0x0
	s_load_b32 s2, s[6:7], s2 offset:0x0 scale_offset
	s_wait_kmcnt 0x0
	v_add_nc_u32_e32 v1, s2, v4
	s_load_b64 s[2:3], s[0:1], 0x30
	global_load_b32 v4, v1, s[4:5] scale_offset
	s_wait_loadcnt 0x0
	v_dual_mov_b32 v1, 0 :: v_dual_ashrrev_i32 v5, 31, v4
	s_wait_kmcnt 0x0
	s_delay_alu instid0(VALU_DEP_1) | instskip(SKIP_3) | instid1(VALU_DEP_1)
	v_lshl_add_u64 v[8:9], v[4:5], 2, s[2:3]
	s_mov_b32 s3, exec_lo
	global_load_b64 v[8:9], v[8:9], off
	v_and_b32_e32 v10, 63, v0
	v_subrev_nc_u32_e32 v0, s8, v10
	s_wait_loadcnt 0x0
	v_subrev_nc_u32_e32 v11, s8, v9
	s_delay_alu instid0(VALU_DEP_2) | instskip(NEXT) | instid1(VALU_DEP_1)
	v_dual_add_nc_u32 v12, v8, v0 :: v_dual_mov_b32 v0, v1
	v_cmpx_lt_i32_e64 v12, v11
	s_cbranch_execz .LBB47_6
; %bb.3:
	s_clause 0x2
	s_load_b32 s2, s[0:1], 0x0
	s_load_b128 s[4:7], s[0:1], 0x38
	s_load_b64 s[10:11], s[0:1], 0x48
	v_dual_mov_b32 v0, 0 :: v_dual_mov_b32 v9, v6
	v_xor_b32_e32 v8, 0x80000000, v7
	s_mov_b32 s9, 0
	s_delay_alu instid0(VALU_DEP_2)
	v_mov_b32_e32 v1, v0
	s_wait_kmcnt 0x0
	s_bitcmp1_b32 s2, 0
	s_cselect_b32 s12, -1, 0
.LBB47_4:                               ; =>This Inner Loop Header: Depth=1
	s_clause 0x1
	global_load_b32 v13, v12, s[4:5] scale_offset
	global_load_b64 v[14:15], v12, s[6:7] scale_offset
	s_wait_xcnt 0x0
	v_add_nc_u32_e32 v12, 64, v12
	s_delay_alu instid0(VALU_DEP_1)
	v_cmp_ge_i32_e64 s2, v12, v11
	s_or_b32 s9, s2, s9
	s_wait_loadcnt 0x1
	v_subrev_nc_u32_e32 v13, s8, v13
	s_wait_loadcnt 0x0
	v_cndmask_b32_e64 v18, v15, -v15, s12
	global_load_b64 v[16:17], v13, s[10:11] scale_offset
	v_pk_mul_f32 v[18:19], v[18:19], v[8:9] op_sel_hi:[0,1]
	s_delay_alu instid0(VALU_DEP_1) | instskip(SKIP_1) | instid1(VALU_DEP_1)
	v_pk_fma_f32 v[14:15], v[6:7], v[14:15], v[18:19] op_sel_hi:[1,0,1]
	s_wait_loadcnt 0x0
	v_pk_fma_f32 v[0:1], v[14:15], v[16:17], v[0:1] op_sel_hi:[1,0,1]
	s_delay_alu instid0(VALU_DEP_1)
	v_pk_fma_f32 v[0:1], v[14:15], v[16:17], v[0:1] op_sel:[1,1,0] op_sel_hi:[0,1,1] neg_lo:[1,0,0]
	s_and_not1_b32 exec_lo, exec_lo, s9
	s_cbranch_execnz .LBB47_4
; %bb.5:
	s_or_b32 exec_lo, exec_lo, s9
.LBB47_6:
	s_delay_alu instid0(SALU_CYCLE_1) | instskip(SKIP_2) | instid1(VALU_DEP_1)
	s_or_b32 exec_lo, exec_lo, s3
	v_mbcnt_lo_u32_b32 v8, -1, 0
	s_load_b64 s[2:3], s[0:1], 0x58
	v_xor_b32_e32 v9, 16, v8
	v_or_b32_e32 v6, 32, v8
	s_wait_xcnt 0x0
	s_delay_alu instid0(VALU_DEP_1) | instskip(NEXT) | instid1(VALU_DEP_1)
	v_cmp_gt_i32_e64 s0, 32, v6
	v_cndmask_b32_e64 v6, v8, v6, s0
	v_cmp_gt_i32_e64 s0, 32, v9
	s_delay_alu instid0(VALU_DEP_1) | instskip(NEXT) | instid1(VALU_DEP_1)
	v_cndmask_b32_e64 v9, v8, v9, s0
	v_dual_lshlrev_b32 v9, 2, v9 :: v_dual_lshlrev_b32 v7, 2, v6
	ds_bpermute_b32 v6, v7, v0
	ds_bpermute_b32 v7, v7, v1
	s_wait_dscnt 0x0
	v_pk_add_f32 v[0:1], v[0:1], v[6:7]
	ds_bpermute_b32 v6, v9, v0
	ds_bpermute_b32 v7, v9, v1
	v_xor_b32_e32 v9, 8, v8
	s_delay_alu instid0(VALU_DEP_1) | instskip(NEXT) | instid1(VALU_DEP_1)
	v_cmp_gt_i32_e64 s0, 32, v9
	v_cndmask_b32_e64 v9, v8, v9, s0
	s_delay_alu instid0(VALU_DEP_1)
	v_lshlrev_b32_e32 v9, 2, v9
	s_wait_dscnt 0x0
	v_pk_add_f32 v[0:1], v[0:1], v[6:7]
	ds_bpermute_b32 v6, v9, v0
	ds_bpermute_b32 v7, v9, v1
	v_xor_b32_e32 v9, 4, v8
	s_delay_alu instid0(VALU_DEP_1) | instskip(NEXT) | instid1(VALU_DEP_1)
	v_cmp_gt_i32_e64 s0, 32, v9
	v_cndmask_b32_e64 v9, v8, v9, s0
	s_delay_alu instid0(VALU_DEP_1)
	v_lshlrev_b32_e32 v9, 2, v9
	;; [unrolled: 10-line block ×3, first 2 shown]
	s_wait_dscnt 0x0
	v_pk_add_f32 v[0:1], v[0:1], v[6:7]
	ds_bpermute_b32 v6, v9, v0
	ds_bpermute_b32 v7, v9, v1
	v_xor_b32_e32 v9, 1, v8
	s_delay_alu instid0(VALU_DEP_1) | instskip(NEXT) | instid1(VALU_DEP_1)
	v_cmp_gt_i32_e64 s0, 32, v9
	v_cndmask_b32_e64 v8, v8, v9, s0
	v_cmp_eq_u32_e64 s0, 63, v10
	s_delay_alu instid0(VALU_DEP_2)
	v_lshlrev_b32_e32 v8, 2, v8
	s_wait_dscnt 0x0
	v_pk_add_f32 v[0:1], v[0:1], v[6:7]
	ds_bpermute_b32 v6, v8, v0
	ds_bpermute_b32 v7, v8, v1
	s_and_b32 exec_lo, exec_lo, s0
	s_cbranch_execz .LBB47_10
; %bb.7:
	v_cmp_neq_f32_e64 s0, 0, v2
	s_wait_dscnt 0x0
	v_pk_add_f32 v[6:7], v[0:1], v[6:7]
	s_wait_kmcnt 0x0
	v_lshl_add_u64 v[0:1], v[4:5], 3, s[2:3]
	s_or_b32 s1, s0, vcc_lo
	s_delay_alu instid0(SALU_CYCLE_1)
	s_and_saveexec_b32 s0, s1
	s_cbranch_execz .LBB47_9
; %bb.8:
	global_load_b64 v[4:5], v[0:1], off
	v_xor_b32_e32 v8, 0x80000000, v3
	v_mov_b32_e32 v9, v2
	s_wait_loadcnt 0x0
	v_pk_fma_f32 v[6:7], v[2:3], v[4:5], v[6:7] op_sel_hi:[1,0,1]
	s_delay_alu instid0(VALU_DEP_1)
	v_pk_fma_f32 v[6:7], v[8:9], v[4:5], v[6:7] op_sel:[0,1,0]
.LBB47_9:
	s_or_b32 exec_lo, exec_lo, s0
	global_store_b64 v[0:1], v[6:7], off
.LBB47_10:
	s_endpgm
	.section	.rodata,"a",@progbits
	.p2align	6, 0x0
	.amdhsa_kernel _ZN9rocsparseL41csrmvn_lrb_medium_rows_warp_reduce_kernelILj256ELj64Eii21rocsparse_complex_numIfES2_S2_S2_EEvbT1_lPT2_S5_jNS_24const_host_device_scalarIT6_EEPKS3_PKS4_PKT3_PKT4_S8_PT5_21rocsparse_index_base_b
		.amdhsa_group_segment_fixed_size 0
		.amdhsa_private_segment_fixed_size 0
		.amdhsa_kernarg_size 104
		.amdhsa_user_sgpr_count 2
		.amdhsa_user_sgpr_dispatch_ptr 0
		.amdhsa_user_sgpr_queue_ptr 0
		.amdhsa_user_sgpr_kernarg_segment_ptr 1
		.amdhsa_user_sgpr_dispatch_id 0
		.amdhsa_user_sgpr_kernarg_preload_length 0
		.amdhsa_user_sgpr_kernarg_preload_offset 0
		.amdhsa_user_sgpr_private_segment_size 0
		.amdhsa_wavefront_size32 1
		.amdhsa_uses_dynamic_stack 0
		.amdhsa_enable_private_segment 0
		.amdhsa_system_sgpr_workgroup_id_x 1
		.amdhsa_system_sgpr_workgroup_id_y 0
		.amdhsa_system_sgpr_workgroup_id_z 0
		.amdhsa_system_sgpr_workgroup_info 0
		.amdhsa_system_vgpr_workitem_id 0
		.amdhsa_next_free_vgpr 20
		.amdhsa_next_free_sgpr 13
		.amdhsa_named_barrier_count 0
		.amdhsa_reserve_vcc 1
		.amdhsa_float_round_mode_32 0
		.amdhsa_float_round_mode_16_64 0
		.amdhsa_float_denorm_mode_32 3
		.amdhsa_float_denorm_mode_16_64 3
		.amdhsa_fp16_overflow 0
		.amdhsa_memory_ordered 1
		.amdhsa_forward_progress 1
		.amdhsa_inst_pref_size 9
		.amdhsa_round_robin_scheduling 0
		.amdhsa_exception_fp_ieee_invalid_op 0
		.amdhsa_exception_fp_denorm_src 0
		.amdhsa_exception_fp_ieee_div_zero 0
		.amdhsa_exception_fp_ieee_overflow 0
		.amdhsa_exception_fp_ieee_underflow 0
		.amdhsa_exception_fp_ieee_inexact 0
		.amdhsa_exception_int_div_zero 0
	.end_amdhsa_kernel
	.section	.text._ZN9rocsparseL41csrmvn_lrb_medium_rows_warp_reduce_kernelILj256ELj64Eii21rocsparse_complex_numIfES2_S2_S2_EEvbT1_lPT2_S5_jNS_24const_host_device_scalarIT6_EEPKS3_PKS4_PKT3_PKT4_S8_PT5_21rocsparse_index_base_b,"axG",@progbits,_ZN9rocsparseL41csrmvn_lrb_medium_rows_warp_reduce_kernelILj256ELj64Eii21rocsparse_complex_numIfES2_S2_S2_EEvbT1_lPT2_S5_jNS_24const_host_device_scalarIT6_EEPKS3_PKS4_PKT3_PKT4_S8_PT5_21rocsparse_index_base_b,comdat
.Lfunc_end47:
	.size	_ZN9rocsparseL41csrmvn_lrb_medium_rows_warp_reduce_kernelILj256ELj64Eii21rocsparse_complex_numIfES2_S2_S2_EEvbT1_lPT2_S5_jNS_24const_host_device_scalarIT6_EEPKS3_PKS4_PKT3_PKT4_S8_PT5_21rocsparse_index_base_b, .Lfunc_end47-_ZN9rocsparseL41csrmvn_lrb_medium_rows_warp_reduce_kernelILj256ELj64Eii21rocsparse_complex_numIfES2_S2_S2_EEvbT1_lPT2_S5_jNS_24const_host_device_scalarIT6_EEPKS3_PKS4_PKT3_PKT4_S8_PT5_21rocsparse_index_base_b
                                        ; -- End function
	.set _ZN9rocsparseL41csrmvn_lrb_medium_rows_warp_reduce_kernelILj256ELj64Eii21rocsparse_complex_numIfES2_S2_S2_EEvbT1_lPT2_S5_jNS_24const_host_device_scalarIT6_EEPKS3_PKS4_PKT3_PKT4_S8_PT5_21rocsparse_index_base_b.num_vgpr, 20
	.set _ZN9rocsparseL41csrmvn_lrb_medium_rows_warp_reduce_kernelILj256ELj64Eii21rocsparse_complex_numIfES2_S2_S2_EEvbT1_lPT2_S5_jNS_24const_host_device_scalarIT6_EEPKS3_PKS4_PKT3_PKT4_S8_PT5_21rocsparse_index_base_b.num_agpr, 0
	.set _ZN9rocsparseL41csrmvn_lrb_medium_rows_warp_reduce_kernelILj256ELj64Eii21rocsparse_complex_numIfES2_S2_S2_EEvbT1_lPT2_S5_jNS_24const_host_device_scalarIT6_EEPKS3_PKS4_PKT3_PKT4_S8_PT5_21rocsparse_index_base_b.numbered_sgpr, 13
	.set _ZN9rocsparseL41csrmvn_lrb_medium_rows_warp_reduce_kernelILj256ELj64Eii21rocsparse_complex_numIfES2_S2_S2_EEvbT1_lPT2_S5_jNS_24const_host_device_scalarIT6_EEPKS3_PKS4_PKT3_PKT4_S8_PT5_21rocsparse_index_base_b.num_named_barrier, 0
	.set _ZN9rocsparseL41csrmvn_lrb_medium_rows_warp_reduce_kernelILj256ELj64Eii21rocsparse_complex_numIfES2_S2_S2_EEvbT1_lPT2_S5_jNS_24const_host_device_scalarIT6_EEPKS3_PKS4_PKT3_PKT4_S8_PT5_21rocsparse_index_base_b.private_seg_size, 0
	.set _ZN9rocsparseL41csrmvn_lrb_medium_rows_warp_reduce_kernelILj256ELj64Eii21rocsparse_complex_numIfES2_S2_S2_EEvbT1_lPT2_S5_jNS_24const_host_device_scalarIT6_EEPKS3_PKS4_PKT3_PKT4_S8_PT5_21rocsparse_index_base_b.uses_vcc, 1
	.set _ZN9rocsparseL41csrmvn_lrb_medium_rows_warp_reduce_kernelILj256ELj64Eii21rocsparse_complex_numIfES2_S2_S2_EEvbT1_lPT2_S5_jNS_24const_host_device_scalarIT6_EEPKS3_PKS4_PKT3_PKT4_S8_PT5_21rocsparse_index_base_b.uses_flat_scratch, 1
	.set _ZN9rocsparseL41csrmvn_lrb_medium_rows_warp_reduce_kernelILj256ELj64Eii21rocsparse_complex_numIfES2_S2_S2_EEvbT1_lPT2_S5_jNS_24const_host_device_scalarIT6_EEPKS3_PKS4_PKT3_PKT4_S8_PT5_21rocsparse_index_base_b.has_dyn_sized_stack, 0
	.set _ZN9rocsparseL41csrmvn_lrb_medium_rows_warp_reduce_kernelILj256ELj64Eii21rocsparse_complex_numIfES2_S2_S2_EEvbT1_lPT2_S5_jNS_24const_host_device_scalarIT6_EEPKS3_PKS4_PKT3_PKT4_S8_PT5_21rocsparse_index_base_b.has_recursion, 0
	.set _ZN9rocsparseL41csrmvn_lrb_medium_rows_warp_reduce_kernelILj256ELj64Eii21rocsparse_complex_numIfES2_S2_S2_EEvbT1_lPT2_S5_jNS_24const_host_device_scalarIT6_EEPKS3_PKS4_PKT3_PKT4_S8_PT5_21rocsparse_index_base_b.has_indirect_call, 0
	.section	.AMDGPU.csdata,"",@progbits
; Kernel info:
; codeLenInByte = 1112
; TotalNumSgprs: 15
; NumVgprs: 20
; ScratchSize: 0
; MemoryBound: 0
; FloatMode: 240
; IeeeMode: 1
; LDSByteSize: 0 bytes/workgroup (compile time only)
; SGPRBlocks: 0
; VGPRBlocks: 1
; NumSGPRsForWavesPerEU: 15
; NumVGPRsForWavesPerEU: 20
; NamedBarCnt: 0
; Occupancy: 16
; WaveLimiterHint : 1
; COMPUTE_PGM_RSRC2:SCRATCH_EN: 0
; COMPUTE_PGM_RSRC2:USER_SGPR: 2
; COMPUTE_PGM_RSRC2:TRAP_HANDLER: 0
; COMPUTE_PGM_RSRC2:TGID_X_EN: 1
; COMPUTE_PGM_RSRC2:TGID_Y_EN: 0
; COMPUTE_PGM_RSRC2:TGID_Z_EN: 0
; COMPUTE_PGM_RSRC2:TIDIG_COMP_CNT: 0
	.section	.text._ZN9rocsparseL29csrmvn_lrb_medium_rows_kernelILj256Eii21rocsparse_complex_numIfES2_S2_S2_EEvbT0_PT1_S5_jNS_24const_host_device_scalarIT5_EEPKS3_PKS4_PKT2_PKT3_S8_PT4_21rocsparse_index_base_b,"axG",@progbits,_ZN9rocsparseL29csrmvn_lrb_medium_rows_kernelILj256Eii21rocsparse_complex_numIfES2_S2_S2_EEvbT0_PT1_S5_jNS_24const_host_device_scalarIT5_EEPKS3_PKS4_PKT2_PKT3_S8_PT4_21rocsparse_index_base_b,comdat
	.globl	_ZN9rocsparseL29csrmvn_lrb_medium_rows_kernelILj256Eii21rocsparse_complex_numIfES2_S2_S2_EEvbT0_PT1_S5_jNS_24const_host_device_scalarIT5_EEPKS3_PKS4_PKT2_PKT3_S8_PT4_21rocsparse_index_base_b ; -- Begin function _ZN9rocsparseL29csrmvn_lrb_medium_rows_kernelILj256Eii21rocsparse_complex_numIfES2_S2_S2_EEvbT0_PT1_S5_jNS_24const_host_device_scalarIT5_EEPKS3_PKS4_PKT2_PKT3_S8_PT4_21rocsparse_index_base_b
	.p2align	8
	.type	_ZN9rocsparseL29csrmvn_lrb_medium_rows_kernelILj256Eii21rocsparse_complex_numIfES2_S2_S2_EEvbT0_PT1_S5_jNS_24const_host_device_scalarIT5_EEPKS3_PKS4_PKT2_PKT3_S8_PT4_21rocsparse_index_base_b,@function
_ZN9rocsparseL29csrmvn_lrb_medium_rows_kernelILj256Eii21rocsparse_complex_numIfES2_S2_S2_EEvbT0_PT1_S5_jNS_24const_host_device_scalarIT5_EEPKS3_PKS4_PKT2_PKT3_S8_PT4_21rocsparse_index_base_b: ; @_ZN9rocsparseL29csrmvn_lrb_medium_rows_kernelILj256Eii21rocsparse_complex_numIfES2_S2_S2_EEvbT0_PT1_S5_jNS_24const_host_device_scalarIT5_EEPKS3_PKS4_PKT2_PKT3_S8_PT4_21rocsparse_index_base_b
; %bb.0:
	s_clause 0x2
	s_load_b64 s[10:11], s[0:1], 0x58
	s_load_b64 s[2:3], s[0:1], 0x20
	;; [unrolled: 1-line block ×3, first 2 shown]
	v_mov_b32_e32 v5, 0
	s_add_nc_u64 s[6:7], s[0:1], 32
	s_add_nc_u64 s[8:9], s[0:1], 0x48
	s_wait_kmcnt 0x0
	s_bitcmp1_b32 s11, 0
	s_cselect_b32 s3, s7, s3
	s_cselect_b32 s2, s6, s2
	;; [unrolled: 1-line block ×4, first 2 shown]
	s_clause 0x1
	flat_load_b64 v[6:7], v5, s[2:3]
	flat_load_b64 v[2:3], v5, s[4:5]
	s_wait_loadcnt_dscnt 0x101
	s_wait_xcnt 0x1
	v_cmp_neq_f32_e64 s2, 0, v6
	v_cmp_neq_f32_e64 s3, 0, v7
	s_wait_loadcnt_dscnt 0x0
	v_cmp_neq_f32_e64 s4, 1.0, v2
	v_cmp_neq_f32_e32 vcc_lo, 0, v3
	s_or_b32 s2, s2, s3
	s_or_b32 s3, s4, vcc_lo
	s_delay_alu instid0(SALU_CYCLE_1) | instskip(NEXT) | instid1(SALU_CYCLE_1)
	s_or_b32 s2, s2, s3
	s_and_saveexec_b32 s3, s2
	s_cbranch_execz .LBB48_25
; %bb.1:
	s_clause 0x1
	s_load_b128 s[4:7], s[0:1], 0x8
	s_load_b32 s2, s[0:1], 0x18
	s_bfe_u32 s3, ttmp6, 0x4000c
	v_subrev_nc_u32_e32 v1, s10, v0
	s_add_co_i32 s3, s3, 1
	v_mov_b32_e32 v4, 0
	s_mul_i32 s3, ttmp9, s3
	s_wait_kmcnt 0x0
	s_load_b32 s2, s[6:7], s2 offset:0x0 scale_offset
	s_wait_xcnt 0x0
	s_and_b32 s6, ttmp6, 15
	s_getreg_b32 s7, hwreg(HW_REG_IB_STS2, 6, 4)
	s_add_co_i32 s6, s6, s3
	s_cmp_eq_u32 s7, 0
	s_cselect_b32 s3, ttmp9, s6
	s_wait_kmcnt 0x0
	s_add_co_i32 s2, s2, s3
	s_delay_alu instid0(SALU_CYCLE_1) | instskip(NEXT) | instid1(SALU_CYCLE_1)
	s_ashr_i32 s3, s2, 31
	s_lshl_b64 s[2:3], s[2:3], 2
	s_delay_alu instid0(SALU_CYCLE_1) | instskip(SKIP_4) | instid1(SALU_CYCLE_1)
	s_add_nc_u64 s[2:3], s[4:5], s[2:3]
	s_load_b32 s8, s[2:3], 0x0
	s_load_b64 s[4:5], s[0:1], 0x28
	s_wait_kmcnt 0x0
	s_ashr_i32 s9, s8, 31
	s_lshl_b64 s[2:3], s[8:9], 2
	s_delay_alu instid0(SALU_CYCLE_1)
	s_add_nc_u64 s[2:3], s[4:5], s[2:3]
	s_load_b64 s[4:5], s[2:3], 0x0
	s_wait_xcnt 0x0
	s_mov_b32 s3, exec_lo
	s_wait_kmcnt 0x0
	v_add_nc_u32_e32 v1, s4, v1
	s_sub_co_i32 s11, s5, s10
	s_delay_alu instid0(VALU_DEP_1) | instid1(SALU_CYCLE_1)
	v_cmpx_gt_i32_e64 s11, v1
	s_cbranch_execz .LBB48_5
; %bb.2:
	s_clause 0x2
	s_load_b32 s2, s[0:1], 0x0
	s_load_b128 s[4:7], s[0:1], 0x30
	s_load_b64 s[12:13], s[0:1], 0x40
	v_dual_mov_b32 v4, 0 :: v_dual_mov_b32 v9, v6
	v_xor_b32_e32 v8, 0x80000000, v7
	s_mov_b32 s14, 0
	s_delay_alu instid0(VALU_DEP_2)
	v_mov_b32_e32 v5, v4
	s_wait_kmcnt 0x0
	s_bitcmp1_b32 s2, 0
	s_cselect_b32 s15, -1, 0
.LBB48_3:                               ; =>This Inner Loop Header: Depth=1
	s_clause 0x1
	global_load_b32 v12, v1, s[4:5] scale_offset
	global_load_b64 v[10:11], v1, s[6:7] scale_offset
	s_wait_xcnt 0x0
	v_add_nc_u32_e32 v1, 0x100, v1
	s_delay_alu instid0(VALU_DEP_1)
	v_cmp_le_i32_e64 s2, s11, v1
	s_or_b32 s14, s2, s14
	s_wait_loadcnt 0x1
	v_subrev_nc_u32_e32 v12, s10, v12
	s_wait_loadcnt 0x0
	v_cndmask_b32_e64 v14, v11, -v11, s15
	global_load_b64 v[12:13], v12, s[12:13] scale_offset
	v_pk_mul_f32 v[14:15], v[14:15], v[8:9] op_sel_hi:[0,1]
	s_delay_alu instid0(VALU_DEP_1) | instskip(SKIP_1) | instid1(VALU_DEP_1)
	v_pk_fma_f32 v[10:11], v[6:7], v[10:11], v[14:15] op_sel_hi:[1,0,1]
	s_wait_loadcnt 0x0
	v_pk_fma_f32 v[4:5], v[10:11], v[12:13], v[4:5] op_sel_hi:[1,0,1]
	s_delay_alu instid0(VALU_DEP_1)
	v_pk_fma_f32 v[4:5], v[10:11], v[12:13], v[4:5] op_sel:[1,1,0] op_sel_hi:[0,1,1] neg_lo:[1,0,0]
	s_and_not1_b32 exec_lo, exec_lo, s14
	s_cbranch_execnz .LBB48_3
; %bb.4:
	s_or_b32 exec_lo, exec_lo, s14
.LBB48_5:
	s_delay_alu instid0(SALU_CYCLE_1)
	s_or_b32 exec_lo, exec_lo, s3
	s_load_b64 s[2:3], s[0:1], 0x50
	v_lshlrev_b32_e32 v1, 3, v0
	s_wait_xcnt 0x0
	s_mov_b32 s1, exec_lo
	ds_store_b64 v1, v[4:5]
	s_wait_dscnt 0x0
	s_barrier_signal -1
	s_barrier_wait -1
	v_cmpx_gt_u32_e32 0x80, v0
	s_cbranch_execz .LBB48_7
; %bb.6:
	ds_load_2addr_stride64_b64 v[4:7], v1 offset1:2
	s_wait_dscnt 0x0
	v_pk_add_f32 v[4:5], v[6:7], v[4:5]
	ds_store_b64 v1, v[4:5]
.LBB48_7:
	s_or_b32 exec_lo, exec_lo, s1
	s_delay_alu instid0(SALU_CYCLE_1)
	s_mov_b32 s1, exec_lo
	s_wait_dscnt 0x0
	s_barrier_signal -1
	s_barrier_wait -1
	v_cmpx_gt_u32_e32 64, v0
	s_cbranch_execz .LBB48_9
; %bb.8:
	ds_load_2addr_stride64_b64 v[4:7], v1 offset1:1
	s_wait_dscnt 0x0
	v_pk_add_f32 v[4:5], v[6:7], v[4:5]
	ds_store_b64 v1, v[4:5]
.LBB48_9:
	s_or_b32 exec_lo, exec_lo, s1
	s_delay_alu instid0(SALU_CYCLE_1)
	s_mov_b32 s1, exec_lo
	s_wait_dscnt 0x0
	s_barrier_signal -1
	s_barrier_wait -1
	v_cmpx_gt_u32_e32 32, v0
	s_cbranch_execz .LBB48_11
; %bb.10:
	ds_load_2addr_b64 v[4:7], v1 offset1:32
	s_wait_dscnt 0x0
	v_pk_add_f32 v[4:5], v[6:7], v[4:5]
	ds_store_b64 v1, v[4:5]
.LBB48_11:
	s_or_b32 exec_lo, exec_lo, s1
	s_delay_alu instid0(SALU_CYCLE_1)
	s_mov_b32 s1, exec_lo
	s_wait_dscnt 0x0
	s_barrier_signal -1
	s_barrier_wait -1
	v_cmpx_gt_u32_e32 16, v0
	s_cbranch_execz .LBB48_13
; %bb.12:
	ds_load_2addr_b64 v[4:7], v1 offset1:16
	s_wait_dscnt 0x0
	v_pk_add_f32 v[4:5], v[6:7], v[4:5]
	ds_store_b64 v1, v[4:5]
.LBB48_13:
	s_or_b32 exec_lo, exec_lo, s1
	s_delay_alu instid0(SALU_CYCLE_1)
	s_mov_b32 s1, exec_lo
	s_wait_dscnt 0x0
	s_barrier_signal -1
	s_barrier_wait -1
	v_cmpx_gt_u32_e32 8, v0
	s_cbranch_execz .LBB48_15
; %bb.14:
	ds_load_2addr_b64 v[4:7], v1 offset1:8
	s_wait_dscnt 0x0
	v_pk_add_f32 v[4:5], v[6:7], v[4:5]
	ds_store_b64 v1, v[4:5]
.LBB48_15:
	s_or_b32 exec_lo, exec_lo, s1
	s_delay_alu instid0(SALU_CYCLE_1)
	s_mov_b32 s1, exec_lo
	s_wait_dscnt 0x0
	s_barrier_signal -1
	s_barrier_wait -1
	v_cmpx_gt_u32_e32 4, v0
	s_cbranch_execz .LBB48_17
; %bb.16:
	ds_load_2addr_b64 v[4:7], v1 offset1:4
	s_wait_dscnt 0x0
	v_pk_add_f32 v[4:5], v[6:7], v[4:5]
	ds_store_b64 v1, v[4:5]
.LBB48_17:
	s_or_b32 exec_lo, exec_lo, s1
	s_delay_alu instid0(SALU_CYCLE_1)
	s_mov_b32 s1, exec_lo
	s_wait_dscnt 0x0
	s_barrier_signal -1
	s_barrier_wait -1
	v_cmpx_gt_u32_e32 2, v0
	s_cbranch_execz .LBB48_19
; %bb.18:
	ds_load_2addr_b64 v[4:7], v1 offset1:2
	s_wait_dscnt 0x0
	v_pk_add_f32 v[4:5], v[6:7], v[4:5]
	ds_store_b64 v1, v[4:5]
.LBB48_19:
	s_or_b32 exec_lo, exec_lo, s1
	v_cmp_eq_u32_e64 s0, 0, v0
	s_wait_dscnt 0x0
	s_barrier_signal -1
	s_barrier_wait -1
	s_and_saveexec_b32 s1, s0
	s_cbranch_execz .LBB48_21
; %bb.20:
	v_mov_b32_e32 v8, 0
	ds_load_2addr_b64 v[4:7], v8 offset1:1
	s_wait_dscnt 0x0
	v_pk_add_f32 v[0:1], v[6:7], v[4:5]
	ds_store_b64 v8, v[0:1]
.LBB48_21:
	s_or_b32 exec_lo, exec_lo, s1
	s_wait_dscnt 0x0
	s_barrier_signal -1
	s_barrier_wait -1
	s_and_b32 exec_lo, exec_lo, s0
	s_cbranch_execz .LBB48_25
; %bb.22:
	v_mov_b32_e32 v4, 0
	v_cmp_neq_f32_e64 s0, 0, v2
	ds_load_b64 v[0:1], v4
	s_or_b32 s1, s0, vcc_lo
	s_delay_alu instid0(SALU_CYCLE_1)
	s_and_saveexec_b32 s0, s1
	s_cbranch_execz .LBB48_24
; %bb.23:
	s_lshl_b64 s[4:5], s[8:9], 3
	v_xor_b32_e32 v6, 0x80000000, v3
	s_wait_kmcnt 0x0
	s_add_nc_u64 s[4:5], s[2:3], s[4:5]
	v_mov_b32_e32 v7, v2
	s_load_b64 s[6:7], s[4:5], 0x0
	s_wait_dscnt 0x0
	s_wait_kmcnt 0x0
	v_pk_fma_f32 v[0:1], v[2:3], s[6:7], v[0:1] op_sel_hi:[1,0,1]
	v_mov_b64_e32 v[2:3], s[6:7]
	s_delay_alu instid0(VALU_DEP_1)
	v_pk_fma_f32 v[0:1], v[6:7], v[2:3], v[0:1] op_sel:[0,1,0]
.LBB48_24:
	s_or_b32 exec_lo, exec_lo, s0
	s_lshl_b64 s[0:1], s[8:9], 3
	s_wait_kmcnt 0x0
	s_add_nc_u64 s[0:1], s[2:3], s[0:1]
	s_wait_dscnt 0x0
	global_store_b64 v4, v[0:1], s[0:1]
.LBB48_25:
	s_endpgm
	.section	.rodata,"a",@progbits
	.p2align	6, 0x0
	.amdhsa_kernel _ZN9rocsparseL29csrmvn_lrb_medium_rows_kernelILj256Eii21rocsparse_complex_numIfES2_S2_S2_EEvbT0_PT1_S5_jNS_24const_host_device_scalarIT5_EEPKS3_PKS4_PKT2_PKT3_S8_PT4_21rocsparse_index_base_b
		.amdhsa_group_segment_fixed_size 2048
		.amdhsa_private_segment_fixed_size 0
		.amdhsa_kernarg_size 96
		.amdhsa_user_sgpr_count 2
		.amdhsa_user_sgpr_dispatch_ptr 0
		.amdhsa_user_sgpr_queue_ptr 0
		.amdhsa_user_sgpr_kernarg_segment_ptr 1
		.amdhsa_user_sgpr_dispatch_id 0
		.amdhsa_user_sgpr_kernarg_preload_length 0
		.amdhsa_user_sgpr_kernarg_preload_offset 0
		.amdhsa_user_sgpr_private_segment_size 0
		.amdhsa_wavefront_size32 1
		.amdhsa_uses_dynamic_stack 0
		.amdhsa_enable_private_segment 0
		.amdhsa_system_sgpr_workgroup_id_x 1
		.amdhsa_system_sgpr_workgroup_id_y 0
		.amdhsa_system_sgpr_workgroup_id_z 0
		.amdhsa_system_sgpr_workgroup_info 0
		.amdhsa_system_vgpr_workitem_id 0
		.amdhsa_next_free_vgpr 16
		.amdhsa_next_free_sgpr 16
		.amdhsa_named_barrier_count 0
		.amdhsa_reserve_vcc 1
		.amdhsa_float_round_mode_32 0
		.amdhsa_float_round_mode_16_64 0
		.amdhsa_float_denorm_mode_32 3
		.amdhsa_float_denorm_mode_16_64 3
		.amdhsa_fp16_overflow 0
		.amdhsa_memory_ordered 1
		.amdhsa_forward_progress 1
		.amdhsa_inst_pref_size 10
		.amdhsa_round_robin_scheduling 0
		.amdhsa_exception_fp_ieee_invalid_op 0
		.amdhsa_exception_fp_denorm_src 0
		.amdhsa_exception_fp_ieee_div_zero 0
		.amdhsa_exception_fp_ieee_overflow 0
		.amdhsa_exception_fp_ieee_underflow 0
		.amdhsa_exception_fp_ieee_inexact 0
		.amdhsa_exception_int_div_zero 0
	.end_amdhsa_kernel
	.section	.text._ZN9rocsparseL29csrmvn_lrb_medium_rows_kernelILj256Eii21rocsparse_complex_numIfES2_S2_S2_EEvbT0_PT1_S5_jNS_24const_host_device_scalarIT5_EEPKS3_PKS4_PKT2_PKT3_S8_PT4_21rocsparse_index_base_b,"axG",@progbits,_ZN9rocsparseL29csrmvn_lrb_medium_rows_kernelILj256Eii21rocsparse_complex_numIfES2_S2_S2_EEvbT0_PT1_S5_jNS_24const_host_device_scalarIT5_EEPKS3_PKS4_PKT2_PKT3_S8_PT4_21rocsparse_index_base_b,comdat
.Lfunc_end48:
	.size	_ZN9rocsparseL29csrmvn_lrb_medium_rows_kernelILj256Eii21rocsparse_complex_numIfES2_S2_S2_EEvbT0_PT1_S5_jNS_24const_host_device_scalarIT5_EEPKS3_PKS4_PKT2_PKT3_S8_PT4_21rocsparse_index_base_b, .Lfunc_end48-_ZN9rocsparseL29csrmvn_lrb_medium_rows_kernelILj256Eii21rocsparse_complex_numIfES2_S2_S2_EEvbT0_PT1_S5_jNS_24const_host_device_scalarIT5_EEPKS3_PKS4_PKT2_PKT3_S8_PT4_21rocsparse_index_base_b
                                        ; -- End function
	.set _ZN9rocsparseL29csrmvn_lrb_medium_rows_kernelILj256Eii21rocsparse_complex_numIfES2_S2_S2_EEvbT0_PT1_S5_jNS_24const_host_device_scalarIT5_EEPKS3_PKS4_PKT2_PKT3_S8_PT4_21rocsparse_index_base_b.num_vgpr, 16
	.set _ZN9rocsparseL29csrmvn_lrb_medium_rows_kernelILj256Eii21rocsparse_complex_numIfES2_S2_S2_EEvbT0_PT1_S5_jNS_24const_host_device_scalarIT5_EEPKS3_PKS4_PKT2_PKT3_S8_PT4_21rocsparse_index_base_b.num_agpr, 0
	.set _ZN9rocsparseL29csrmvn_lrb_medium_rows_kernelILj256Eii21rocsparse_complex_numIfES2_S2_S2_EEvbT0_PT1_S5_jNS_24const_host_device_scalarIT5_EEPKS3_PKS4_PKT2_PKT3_S8_PT4_21rocsparse_index_base_b.numbered_sgpr, 16
	.set _ZN9rocsparseL29csrmvn_lrb_medium_rows_kernelILj256Eii21rocsparse_complex_numIfES2_S2_S2_EEvbT0_PT1_S5_jNS_24const_host_device_scalarIT5_EEPKS3_PKS4_PKT2_PKT3_S8_PT4_21rocsparse_index_base_b.num_named_barrier, 0
	.set _ZN9rocsparseL29csrmvn_lrb_medium_rows_kernelILj256Eii21rocsparse_complex_numIfES2_S2_S2_EEvbT0_PT1_S5_jNS_24const_host_device_scalarIT5_EEPKS3_PKS4_PKT2_PKT3_S8_PT4_21rocsparse_index_base_b.private_seg_size, 0
	.set _ZN9rocsparseL29csrmvn_lrb_medium_rows_kernelILj256Eii21rocsparse_complex_numIfES2_S2_S2_EEvbT0_PT1_S5_jNS_24const_host_device_scalarIT5_EEPKS3_PKS4_PKT2_PKT3_S8_PT4_21rocsparse_index_base_b.uses_vcc, 1
	.set _ZN9rocsparseL29csrmvn_lrb_medium_rows_kernelILj256Eii21rocsparse_complex_numIfES2_S2_S2_EEvbT0_PT1_S5_jNS_24const_host_device_scalarIT5_EEPKS3_PKS4_PKT2_PKT3_S8_PT4_21rocsparse_index_base_b.uses_flat_scratch, 1
	.set _ZN9rocsparseL29csrmvn_lrb_medium_rows_kernelILj256Eii21rocsparse_complex_numIfES2_S2_S2_EEvbT0_PT1_S5_jNS_24const_host_device_scalarIT5_EEPKS3_PKS4_PKT2_PKT3_S8_PT4_21rocsparse_index_base_b.has_dyn_sized_stack, 0
	.set _ZN9rocsparseL29csrmvn_lrb_medium_rows_kernelILj256Eii21rocsparse_complex_numIfES2_S2_S2_EEvbT0_PT1_S5_jNS_24const_host_device_scalarIT5_EEPKS3_PKS4_PKT2_PKT3_S8_PT4_21rocsparse_index_base_b.has_recursion, 0
	.set _ZN9rocsparseL29csrmvn_lrb_medium_rows_kernelILj256Eii21rocsparse_complex_numIfES2_S2_S2_EEvbT0_PT1_S5_jNS_24const_host_device_scalarIT5_EEPKS3_PKS4_PKT2_PKT3_S8_PT4_21rocsparse_index_base_b.has_indirect_call, 0
	.section	.AMDGPU.csdata,"",@progbits
; Kernel info:
; codeLenInByte = 1232
; TotalNumSgprs: 18
; NumVgprs: 16
; ScratchSize: 0
; MemoryBound: 0
; FloatMode: 240
; IeeeMode: 1
; LDSByteSize: 2048 bytes/workgroup (compile time only)
; SGPRBlocks: 0
; VGPRBlocks: 0
; NumSGPRsForWavesPerEU: 18
; NumVGPRsForWavesPerEU: 16
; NamedBarCnt: 0
; Occupancy: 16
; WaveLimiterHint : 1
; COMPUTE_PGM_RSRC2:SCRATCH_EN: 0
; COMPUTE_PGM_RSRC2:USER_SGPR: 2
; COMPUTE_PGM_RSRC2:TRAP_HANDLER: 0
; COMPUTE_PGM_RSRC2:TGID_X_EN: 1
; COMPUTE_PGM_RSRC2:TGID_Y_EN: 0
; COMPUTE_PGM_RSRC2:TGID_Z_EN: 0
; COMPUTE_PGM_RSRC2:TIDIG_COMP_CNT: 0
	.section	.text._ZN9rocsparseL27csrmvn_lrb_long_rows_kernelIii21rocsparse_complex_numIfES2_S2_S2_EEvbT_PjPT0_S6_jNS_24const_host_device_scalarIT4_EEPKS3_PKS5_PKT1_PKT2_S9_PT3_21rocsparse_index_base_b,"axG",@progbits,_ZN9rocsparseL27csrmvn_lrb_long_rows_kernelIii21rocsparse_complex_numIfES2_S2_S2_EEvbT_PjPT0_S6_jNS_24const_host_device_scalarIT4_EEPKS3_PKS5_PKT1_PKT2_S9_PT3_21rocsparse_index_base_b,comdat
	.globl	_ZN9rocsparseL27csrmvn_lrb_long_rows_kernelIii21rocsparse_complex_numIfES2_S2_S2_EEvbT_PjPT0_S6_jNS_24const_host_device_scalarIT4_EEPKS3_PKS5_PKT1_PKT2_S9_PT3_21rocsparse_index_base_b ; -- Begin function _ZN9rocsparseL27csrmvn_lrb_long_rows_kernelIii21rocsparse_complex_numIfES2_S2_S2_EEvbT_PjPT0_S6_jNS_24const_host_device_scalarIT4_EEPKS3_PKS5_PKT1_PKT2_S9_PT3_21rocsparse_index_base_b
	.p2align	8
	.type	_ZN9rocsparseL27csrmvn_lrb_long_rows_kernelIii21rocsparse_complex_numIfES2_S2_S2_EEvbT_PjPT0_S6_jNS_24const_host_device_scalarIT4_EEPKS3_PKS5_PKT1_PKT2_S9_PT3_21rocsparse_index_base_b,@function
_ZN9rocsparseL27csrmvn_lrb_long_rows_kernelIii21rocsparse_complex_numIfES2_S2_S2_EEvbT_PjPT0_S6_jNS_24const_host_device_scalarIT4_EEPKS3_PKS5_PKT1_PKT2_S9_PT3_21rocsparse_index_base_b: ; @_ZN9rocsparseL27csrmvn_lrb_long_rows_kernelIii21rocsparse_complex_numIfES2_S2_S2_EEvbT_PjPT0_S6_jNS_24const_host_device_scalarIT4_EEPKS3_PKS5_PKT1_PKT2_S9_PT3_21rocsparse_index_base_b
; %bb.0:
	s_clause 0x2
	s_load_b64 s[16:17], s[0:1], 0x60
	s_load_b64 s[2:3], s[0:1], 0x28
	;; [unrolled: 1-line block ×3, first 2 shown]
	v_mov_b32_e32 v1, 0
	s_add_nc_u64 s[6:7], s[0:1], 40
	s_wait_kmcnt 0x0
	s_bitcmp1_b32 s17, 0
	s_cselect_b32 s3, s7, s3
	s_cselect_b32 s2, s6, s2
	flat_load_b64 v[2:3], v1, s[2:3]
	s_wait_xcnt 0x0
	s_add_nc_u64 s[2:3], s[0:1], 0x50
	s_delay_alu instid0(SALU_CYCLE_1)
	s_cselect_b32 s3, s3, s5
	s_cselect_b32 s2, s2, s4
	flat_load_b64 v[4:5], v1, s[2:3]
	s_wait_loadcnt_dscnt 0x101
	v_cmp_eq_f32_e32 vcc_lo, 0, v2
	s_wait_xcnt 0x0
	v_cmp_eq_f32_e64 s2, 0, v3
	s_and_b32 s4, vcc_lo, s2
	s_mov_b32 s2, -1
	s_and_saveexec_b32 s3, s4
	s_cbranch_execz .LBB49_2
; %bb.1:
	s_wait_loadcnt_dscnt 0x0
	v_cmp_neq_f32_e32 vcc_lo, 1.0, v4
	v_cmp_neq_f32_e64 s2, 0, v5
	s_or_b32 s2, vcc_lo, s2
	s_delay_alu instid0(SALU_CYCLE_1)
	s_or_not1_b32 s2, s2, exec_lo
.LBB49_2:
	s_or_b32 exec_lo, exec_lo, s3
	s_and_saveexec_b32 s3, s2
	s_cbranch_execz .LBB49_38
; %bb.3:
	s_load_b96 s[4:6], s[0:1], 0x18
	s_bfe_u32 s8, ttmp6, 0x4000c
	s_and_b32 s7, ttmp6, 15
	s_add_co_i32 s8, s8, 1
	s_getreg_b32 s9, hwreg(HW_REG_IB_STS2, 6, 4)
	s_mul_i32 s8, ttmp9, s8
	v_mov_b64_e32 v[6:7], 0
	s_add_co_i32 s7, s7, s8
	s_wait_kmcnt 0x0
	s_lshl_b32 s2, -1, s6
	s_load_b32 s8, s[4:5], s6 offset:0x0 scale_offset
	s_not_b32 s2, s2
	s_delay_alu instid0(SALU_CYCLE_1) | instskip(NEXT) | instid1(SALU_CYCLE_1)
	s_mul_hi_u32 s2, s2, 0x2aaaaaab
	s_lshr_b32 s2, s2, 7
	s_delay_alu instid0(SALU_CYCLE_1) | instskip(SKIP_2) | instid1(SALU_CYCLE_3)
	s_add_co_i32 s20, s2, 1
	s_not_b32 s2, s2
	s_cvt_f32_u32 s3, s20
	v_rcp_iflag_f32_e32 v1, s3
	v_nop
	s_delay_alu instid0(TRANS32_DEP_1) | instskip(SKIP_1) | instid1(SALU_CYCLE_3)
	v_readfirstlane_b32 s3, v1
	s_mul_f32 s3, s3, 0x4f7ffffe
	s_cvt_u32_f32 s3, s3
	s_delay_alu instid0(SALU_CYCLE_3) | instskip(NEXT) | instid1(SALU_CYCLE_1)
	s_mul_i32 s2, s2, s3
	s_mul_hi_u32 s2, s3, s2
	s_delay_alu instid0(SALU_CYCLE_1)
	s_add_co_i32 s3, s3, s2
	s_cmp_eq_u32 s9, 0
	s_cselect_b32 s10, ttmp9, s7
	s_wait_xcnt 0x0
	s_load_b128 s[4:7], s[0:1], 0x8
	s_mul_hi_u32 s2, s10, s3
	s_delay_alu instid0(SALU_CYCLE_1) | instskip(SKIP_2) | instid1(SALU_CYCLE_1)
	s_mul_i32 s3, s2, s20
	s_add_co_i32 s9, s2, 1
	s_sub_co_i32 s3, s10, s3
	s_sub_co_i32 s11, s3, s20
	s_cmp_ge_u32 s3, s20
	s_cselect_b32 s2, s9, s2
	s_cselect_b32 s3, s11, s3
	s_add_co_i32 s9, s2, 1
	s_cmp_ge_u32 s3, s20
	s_cselect_b32 s21, s9, s2
	s_ashr_i32 s11, s10, 31
	s_wait_kmcnt 0x0
	s_add_co_i32 s2, s21, s8
	s_lshl_b64 s[14:15], s[10:11], 2
	s_ashr_i32 s3, s2, 31
	s_delay_alu instid0(SALU_CYCLE_1) | instskip(NEXT) | instid1(SALU_CYCLE_1)
	s_lshl_b64 s[2:3], s[2:3], 2
	s_add_nc_u64 s[8:9], s[6:7], s[2:3]
	s_load_b32 s2, s[8:9], 0x0
	s_clause 0x1
	s_load_b64 s[12:13], s[0:1], 0x30
	s_load_b64 s[6:7], s[0:1], 0x58
	s_wait_kmcnt 0x0
	s_ashr_i32 s3, s2, 31
	s_delay_alu instid0(SALU_CYCLE_1) | instskip(NEXT) | instid1(SALU_CYCLE_1)
	s_lshl_b64 s[8:9], s[2:3], 2
	s_add_nc_u64 s[18:19], s[12:13], s[8:9]
	s_add_nc_u64 s[12:13], s[4:5], s[14:15]
	s_load_b64 s[8:9], s[18:19], 0x0
	s_load_b32 s17, s[12:13], 0x0
	s_mul_i32 s14, s21, s20
	s_wait_xcnt 0x0
	s_mov_b32 s18, exec_lo
	s_sub_co_i32 s15, s10, s14
	s_delay_alu instid0(SALU_CYCLE_1) | instskip(NEXT) | instid1(VALU_DEP_1)
	v_or_b32_e32 v1, s15, v0
	v_cmpx_eq_u32_e32 0, v1
	s_cbranch_execz .LBB49_7
; %bb.4:
	s_lshl_b64 s[10:11], s[2:3], 3
	s_wait_loadcnt_dscnt 0x0
	v_add_f32_e32 v7, -1.0, v4
	s_add_nc_u64 s[20:21], s[6:7], s[10:11]
	v_xor_b32_e32 v6, 0x80000000, v5
	s_load_b64 s[10:11], s[20:21], 0x0
	s_mov_b32 s19, exec_lo
	v_mov_b32_e32 v4, v7
	v_mbcnt_lo_u32_b32 v1, s19, 0
	s_wait_xcnt 0x0
	s_mov_b32 s20, exec_lo
	global_wb scope:SCOPE_DEV
	s_wait_storecnt 0x0
	global_inv scope:SCOPE_DEV
	s_wait_kmcnt 0x0
	v_mov_b64_e32 v[8:9], s[10:11]
	s_delay_alu instid0(VALU_DEP_1)
	v_pk_mul_f32 v[6:7], v[8:9], v[6:7] op_sel:[1,0]
	v_cmpx_eq_u32_e32 0, v1
	s_cbranch_execz .LBB49_6
; %bb.5:
	s_bcnt1_i32_b32 s19, s19
	s_delay_alu instid0(SALU_CYCLE_1) | instskip(NEXT) | instid1(SALU_CYCLE_1)
	s_and_b32 s19, s19, 1
	v_dual_mov_b32 v1, s14 :: v_dual_mov_b32 v8, s19
	global_atomic_xor_b32 v1, v8, s[4:5] scale_offset scope:SCOPE_DEV
.LBB49_6:
	s_wait_xcnt 0x0
	s_or_b32 exec_lo, exec_lo, s20
	v_pk_fma_f32 v[6:7], v[4:5], s[10:11], v[6:7] op_sel_hi:[1,0,1]
.LBB49_7:
	s_or_b32 exec_lo, exec_lo, s18
	s_mul_i32 s10, s15, 0x300
	s_wait_kmcnt 0x0
	s_sub_co_i32 s9, s9, s16
	s_sub_co_i32 s10, s10, s16
	s_mov_b32 s20, exec_lo
	s_add_co_i32 s8, s10, s8
	s_delay_alu instid0(SALU_CYCLE_1) | instskip(SKIP_1) | instid1(SALU_CYCLE_1)
	v_add_nc_u32_e32 v1, s8, v0
	s_addk_co_i32 s8, 0x300
	s_min_i32 s21, s8, s9
	s_delay_alu instid0(VALU_DEP_1) | instid1(SALU_CYCLE_1)
	v_cmpx_gt_i32_e64 s21, v1
	s_cbranch_execz .LBB49_11
; %bb.8:
	s_clause 0x2
	s_load_b32 s22, s[0:1], 0x0
	s_load_b128 s[8:11], s[0:1], 0x38
	s_load_b64 s[18:19], s[0:1], 0x48
	s_wait_loadcnt_dscnt 0x0
	v_xor_b32_e32 v4, 0x80000000, v3
	v_mov_b32_e32 v5, v2
	s_wait_xcnt 0x0
	s_mov_b32 s0, 0
	s_wait_kmcnt 0x0
	s_bitcmp1_b32 s22, 0
	s_cselect_b32 s1, -1, 0
.LBB49_9:                               ; =>This Inner Loop Header: Depth=1
	s_clause 0x1
	global_load_b32 v10, v1, s[8:9] scale_offset
	global_load_b64 v[8:9], v1, s[10:11] scale_offset
	s_wait_xcnt 0x0
	v_add_nc_u32_e32 v1, 0x100, v1
	s_delay_alu instid0(VALU_DEP_1)
	v_cmp_le_i32_e32 vcc_lo, s21, v1
	s_or_b32 s0, vcc_lo, s0
	s_wait_loadcnt 0x1
	v_subrev_nc_u32_e32 v10, s16, v10
	s_wait_loadcnt 0x0
	v_cndmask_b32_e64 v12, v9, -v9, s1
	global_load_b64 v[10:11], v10, s[18:19] scale_offset
	v_pk_mul_f32 v[12:13], v[12:13], v[4:5] op_sel_hi:[0,1]
	s_delay_alu instid0(VALU_DEP_1) | instskip(SKIP_1) | instid1(VALU_DEP_1)
	v_pk_fma_f32 v[8:9], v[2:3], v[8:9], v[12:13] op_sel_hi:[1,0,1]
	s_wait_loadcnt 0x0
	v_pk_fma_f32 v[6:7], v[8:9], v[10:11], v[6:7] op_sel_hi:[1,0,1]
	s_delay_alu instid0(VALU_DEP_1)
	v_pk_fma_f32 v[6:7], v[8:9], v[10:11], v[6:7] op_sel:[1,1,0] op_sel_hi:[0,1,1] neg_lo:[1,0,0]
	s_wait_xcnt 0x0
	s_and_not1_b32 exec_lo, exec_lo, s0
	s_cbranch_execnz .LBB49_9
; %bb.10:
	s_or_b32 exec_lo, exec_lo, s0
.LBB49_11:
	s_delay_alu instid0(SALU_CYCLE_1)
	s_or_b32 exec_lo, exec_lo, s20
	v_lshlrev_b32_e32 v1, 3, v0
	s_mov_b32 s0, exec_lo
	ds_store_b64 v1, v[6:7]
	s_wait_storecnt 0x0
	s_wait_loadcnt_dscnt 0x0
	s_barrier_signal -1
	s_barrier_wait -1
	v_cmpx_gt_u32_e32 0x80, v0
	s_cbranch_execz .LBB49_13
; %bb.12:
	ds_load_2addr_stride64_b64 v[2:5], v1 offset1:2
	s_wait_dscnt 0x0
	v_pk_add_f32 v[2:3], v[4:5], v[2:3]
	ds_store_b64 v1, v[2:3]
.LBB49_13:
	s_or_b32 exec_lo, exec_lo, s0
	s_delay_alu instid0(SALU_CYCLE_1)
	s_mov_b32 s0, exec_lo
	s_wait_dscnt 0x0
	s_barrier_signal -1
	s_barrier_wait -1
	v_cmpx_gt_u32_e32 64, v0
	s_cbranch_execz .LBB49_15
; %bb.14:
	ds_load_2addr_stride64_b64 v[2:5], v1 offset1:1
	s_wait_dscnt 0x0
	v_pk_add_f32 v[2:3], v[4:5], v[2:3]
	ds_store_b64 v1, v[2:3]
.LBB49_15:
	s_or_b32 exec_lo, exec_lo, s0
	s_delay_alu instid0(SALU_CYCLE_1)
	s_mov_b32 s0, exec_lo
	s_wait_dscnt 0x0
	s_barrier_signal -1
	s_barrier_wait -1
	v_cmpx_gt_u32_e32 32, v0
	s_cbranch_execz .LBB49_17
; %bb.16:
	ds_load_2addr_b64 v[2:5], v1 offset1:32
	s_wait_dscnt 0x0
	v_pk_add_f32 v[2:3], v[4:5], v[2:3]
	ds_store_b64 v1, v[2:3]
.LBB49_17:
	s_or_b32 exec_lo, exec_lo, s0
	s_delay_alu instid0(SALU_CYCLE_1)
	s_mov_b32 s0, exec_lo
	s_wait_dscnt 0x0
	s_barrier_signal -1
	s_barrier_wait -1
	v_cmpx_gt_u32_e32 16, v0
	s_cbranch_execz .LBB49_19
; %bb.18:
	ds_load_2addr_b64 v[2:5], v1 offset1:16
	s_wait_dscnt 0x0
	v_pk_add_f32 v[2:3], v[4:5], v[2:3]
	ds_store_b64 v1, v[2:3]
.LBB49_19:
	;; [unrolled: 14-line block ×5, first 2 shown]
	s_or_b32 exec_lo, exec_lo, s0
	v_cmp_eq_u32_e32 vcc_lo, 0, v0
	s_wait_dscnt 0x0
	s_barrier_signal -1
	s_barrier_wait -1
	s_and_saveexec_b32 s0, vcc_lo
	s_cbranch_execz .LBB49_27
; %bb.26:
	v_mov_b32_e32 v4, 0
	ds_load_2addr_b64 v[0:3], v4 offset1:1
	s_wait_dscnt 0x0
	v_pk_add_f32 v[0:1], v[2:3], v[0:1]
	ds_store_b64 v4, v[0:1]
.LBB49_27:
	s_or_b32 exec_lo, exec_lo, s0
	s_wait_dscnt 0x0
	s_barrier_signal -1
	s_barrier_wait -1
	s_and_b32 exec_lo, exec_lo, vcc_lo
	s_cbranch_execz .LBB49_38
; %bb.28:
	s_cmp_eq_u32 s15, 0
	s_cbranch_scc1 .LBB49_34
; %bb.29:
	s_ashr_i32 s15, s14, 31
	v_mov_b32_e32 v0, 0
	s_lshl_b64 s[0:1], s[14:15], 2
	s_delay_alu instid0(SALU_CYCLE_1)
	s_add_nc_u64 s[0:1], s[4:5], s[0:1]
	s_branch .LBB49_31
.LBB49_30:                              ;   in Loop: Header=BB49_31 Depth=1
	s_wait_xcnt 0x0
	s_or_b32 exec_lo, exec_lo, s4
	s_wait_loadcnt 0x0
	v_readfirstlane_b32 s4, v1
	s_cmp_eq_u32 s4, s17
	s_cbranch_scc0 .LBB49_33
.LBB49_31:                              ; =>This Inner Loop Header: Depth=1
	v_mbcnt_lo_u32_b32 v1, exec_lo, 0
	s_delay_alu instid0(VALU_DEP_1)
	v_cmp_eq_u32_e32 vcc_lo, 0, v1
                                        ; implicit-def: $vgpr1
	s_and_saveexec_b32 s4, vcc_lo
	s_cbranch_execz .LBB49_30
; %bb.32:                               ;   in Loop: Header=BB49_31 Depth=1
	global_load_b32 v1, v0, s[0:1] scope:SCOPE_DEV
	s_branch .LBB49_30
.LBB49_33:
	v_mov_b32_e32 v0, 0
	global_load_u16 v1, v0, s[12:13]
	s_wait_loadcnt 0x0
	v_xor_b32_e32 v1, 1, v1
	global_store_b16 v0, v1, s[12:13]
.LBB49_34:
	v_mov_b32_e32 v2, 0
	s_mov_b32 s4, exec_lo
	s_lshl_b64 s[0:1], s[2:3], 3
	v_mbcnt_lo_u32_b32 v3, s4, 0
	s_add_nc_u64 s[0:1], s[6:7], s[0:1]
	s_wait_xcnt 0x0
	ds_load_b64 v[0:1], v2
	s_mov_b32 s2, exec_lo
	v_cmpx_eq_u32_e32 0, v3
	s_cbranch_execz .LBB49_36
; %bb.35:
	s_bcnt1_i32_b32 s3, s4
	s_delay_alu instid0(SALU_CYCLE_1) | instskip(SKIP_1) | instid1(VALU_DEP_1)
	v_cvt_f32_ubyte0_e32 v3, s3
	s_wait_dscnt 0x0
	v_mul_f32_e32 v0, v0, v3
	global_atomic_add_f32 v2, v0, s[0:1] scope:SCOPE_DEV
.LBB49_36:
	s_wait_xcnt 0x0
	s_or_b32 exec_lo, exec_lo, s2
	s_delay_alu instid0(SALU_CYCLE_1) | instskip(SKIP_2) | instid1(VALU_DEP_1)
	s_mov_b32 s2, exec_lo
	s_wait_dscnt 0x0
	v_mbcnt_lo_u32_b32 v0, s2, 0
	v_cmp_eq_u32_e32 vcc_lo, 0, v0
	s_and_b32 s3, exec_lo, vcc_lo
	s_delay_alu instid0(SALU_CYCLE_1)
	s_mov_b32 exec_lo, s3
	s_cbranch_execz .LBB49_38
; %bb.37:
	s_bcnt1_i32_b32 s2, s2
	s_delay_alu instid0(SALU_CYCLE_1) | instskip(NEXT) | instid1(VALU_DEP_1)
	v_cvt_f32_ubyte0_e32 v0, s2
	v_dual_mul_f32 v0, v1, v0 :: v_dual_mov_b32 v1, 0
	global_atomic_add_f32 v1, v0, s[0:1] offset:4 scope:SCOPE_DEV
.LBB49_38:
	s_endpgm
	.section	.rodata,"a",@progbits
	.p2align	6, 0x0
	.amdhsa_kernel _ZN9rocsparseL27csrmvn_lrb_long_rows_kernelIii21rocsparse_complex_numIfES2_S2_S2_EEvbT_PjPT0_S6_jNS_24const_host_device_scalarIT4_EEPKS3_PKS5_PKT1_PKT2_S9_PT3_21rocsparse_index_base_b
		.amdhsa_group_segment_fixed_size 2048
		.amdhsa_private_segment_fixed_size 0
		.amdhsa_kernarg_size 104
		.amdhsa_user_sgpr_count 2
		.amdhsa_user_sgpr_dispatch_ptr 0
		.amdhsa_user_sgpr_queue_ptr 0
		.amdhsa_user_sgpr_kernarg_segment_ptr 1
		.amdhsa_user_sgpr_dispatch_id 0
		.amdhsa_user_sgpr_kernarg_preload_length 0
		.amdhsa_user_sgpr_kernarg_preload_offset 0
		.amdhsa_user_sgpr_private_segment_size 0
		.amdhsa_wavefront_size32 1
		.amdhsa_uses_dynamic_stack 0
		.amdhsa_enable_private_segment 0
		.amdhsa_system_sgpr_workgroup_id_x 1
		.amdhsa_system_sgpr_workgroup_id_y 0
		.amdhsa_system_sgpr_workgroup_id_z 0
		.amdhsa_system_sgpr_workgroup_info 0
		.amdhsa_system_vgpr_workitem_id 0
		.amdhsa_next_free_vgpr 14
		.amdhsa_next_free_sgpr 23
		.amdhsa_named_barrier_count 0
		.amdhsa_reserve_vcc 1
		.amdhsa_float_round_mode_32 0
		.amdhsa_float_round_mode_16_64 0
		.amdhsa_float_denorm_mode_32 3
		.amdhsa_float_denorm_mode_16_64 3
		.amdhsa_fp16_overflow 0
		.amdhsa_memory_ordered 1
		.amdhsa_forward_progress 1
		.amdhsa_inst_pref_size 14
		.amdhsa_round_robin_scheduling 0
		.amdhsa_exception_fp_ieee_invalid_op 0
		.amdhsa_exception_fp_denorm_src 0
		.amdhsa_exception_fp_ieee_div_zero 0
		.amdhsa_exception_fp_ieee_overflow 0
		.amdhsa_exception_fp_ieee_underflow 0
		.amdhsa_exception_fp_ieee_inexact 0
		.amdhsa_exception_int_div_zero 0
	.end_amdhsa_kernel
	.section	.text._ZN9rocsparseL27csrmvn_lrb_long_rows_kernelIii21rocsparse_complex_numIfES2_S2_S2_EEvbT_PjPT0_S6_jNS_24const_host_device_scalarIT4_EEPKS3_PKS5_PKT1_PKT2_S9_PT3_21rocsparse_index_base_b,"axG",@progbits,_ZN9rocsparseL27csrmvn_lrb_long_rows_kernelIii21rocsparse_complex_numIfES2_S2_S2_EEvbT_PjPT0_S6_jNS_24const_host_device_scalarIT4_EEPKS3_PKS5_PKT1_PKT2_S9_PT3_21rocsparse_index_base_b,comdat
.Lfunc_end49:
	.size	_ZN9rocsparseL27csrmvn_lrb_long_rows_kernelIii21rocsparse_complex_numIfES2_S2_S2_EEvbT_PjPT0_S6_jNS_24const_host_device_scalarIT4_EEPKS3_PKS5_PKT1_PKT2_S9_PT3_21rocsparse_index_base_b, .Lfunc_end49-_ZN9rocsparseL27csrmvn_lrb_long_rows_kernelIii21rocsparse_complex_numIfES2_S2_S2_EEvbT_PjPT0_S6_jNS_24const_host_device_scalarIT4_EEPKS3_PKS5_PKT1_PKT2_S9_PT3_21rocsparse_index_base_b
                                        ; -- End function
	.set _ZN9rocsparseL27csrmvn_lrb_long_rows_kernelIii21rocsparse_complex_numIfES2_S2_S2_EEvbT_PjPT0_S6_jNS_24const_host_device_scalarIT4_EEPKS3_PKS5_PKT1_PKT2_S9_PT3_21rocsparse_index_base_b.num_vgpr, 14
	.set _ZN9rocsparseL27csrmvn_lrb_long_rows_kernelIii21rocsparse_complex_numIfES2_S2_S2_EEvbT_PjPT0_S6_jNS_24const_host_device_scalarIT4_EEPKS3_PKS5_PKT1_PKT2_S9_PT3_21rocsparse_index_base_b.num_agpr, 0
	.set _ZN9rocsparseL27csrmvn_lrb_long_rows_kernelIii21rocsparse_complex_numIfES2_S2_S2_EEvbT_PjPT0_S6_jNS_24const_host_device_scalarIT4_EEPKS3_PKS5_PKT1_PKT2_S9_PT3_21rocsparse_index_base_b.numbered_sgpr, 23
	.set _ZN9rocsparseL27csrmvn_lrb_long_rows_kernelIii21rocsparse_complex_numIfES2_S2_S2_EEvbT_PjPT0_S6_jNS_24const_host_device_scalarIT4_EEPKS3_PKS5_PKT1_PKT2_S9_PT3_21rocsparse_index_base_b.num_named_barrier, 0
	.set _ZN9rocsparseL27csrmvn_lrb_long_rows_kernelIii21rocsparse_complex_numIfES2_S2_S2_EEvbT_PjPT0_S6_jNS_24const_host_device_scalarIT4_EEPKS3_PKS5_PKT1_PKT2_S9_PT3_21rocsparse_index_base_b.private_seg_size, 0
	.set _ZN9rocsparseL27csrmvn_lrb_long_rows_kernelIii21rocsparse_complex_numIfES2_S2_S2_EEvbT_PjPT0_S6_jNS_24const_host_device_scalarIT4_EEPKS3_PKS5_PKT1_PKT2_S9_PT3_21rocsparse_index_base_b.uses_vcc, 1
	.set _ZN9rocsparseL27csrmvn_lrb_long_rows_kernelIii21rocsparse_complex_numIfES2_S2_S2_EEvbT_PjPT0_S6_jNS_24const_host_device_scalarIT4_EEPKS3_PKS5_PKT1_PKT2_S9_PT3_21rocsparse_index_base_b.uses_flat_scratch, 0
	.set _ZN9rocsparseL27csrmvn_lrb_long_rows_kernelIii21rocsparse_complex_numIfES2_S2_S2_EEvbT_PjPT0_S6_jNS_24const_host_device_scalarIT4_EEPKS3_PKS5_PKT1_PKT2_S9_PT3_21rocsparse_index_base_b.has_dyn_sized_stack, 0
	.set _ZN9rocsparseL27csrmvn_lrb_long_rows_kernelIii21rocsparse_complex_numIfES2_S2_S2_EEvbT_PjPT0_S6_jNS_24const_host_device_scalarIT4_EEPKS3_PKS5_PKT1_PKT2_S9_PT3_21rocsparse_index_base_b.has_recursion, 0
	.set _ZN9rocsparseL27csrmvn_lrb_long_rows_kernelIii21rocsparse_complex_numIfES2_S2_S2_EEvbT_PjPT0_S6_jNS_24const_host_device_scalarIT4_EEPKS3_PKS5_PKT1_PKT2_S9_PT3_21rocsparse_index_base_b.has_indirect_call, 0
	.section	.AMDGPU.csdata,"",@progbits
; Kernel info:
; codeLenInByte = 1768
; TotalNumSgprs: 25
; NumVgprs: 14
; ScratchSize: 0
; MemoryBound: 0
; FloatMode: 240
; IeeeMode: 1
; LDSByteSize: 2048 bytes/workgroup (compile time only)
; SGPRBlocks: 0
; VGPRBlocks: 0
; NumSGPRsForWavesPerEU: 25
; NumVGPRsForWavesPerEU: 14
; NamedBarCnt: 0
; Occupancy: 16
; WaveLimiterHint : 1
; COMPUTE_PGM_RSRC2:SCRATCH_EN: 0
; COMPUTE_PGM_RSRC2:USER_SGPR: 2
; COMPUTE_PGM_RSRC2:TRAP_HANDLER: 0
; COMPUTE_PGM_RSRC2:TGID_X_EN: 1
; COMPUTE_PGM_RSRC2:TGID_Y_EN: 0
; COMPUTE_PGM_RSRC2:TGID_Z_EN: 0
; COMPUTE_PGM_RSRC2:TIDIG_COMP_CNT: 0
	.section	.text._ZN9rocsparseL28csrmvn_lrb_short_rows_kernelIli21rocsparse_complex_numIfES2_S2_S2_EEvbT_PT0_S5_jNS_24const_host_device_scalarIT4_EEPKS3_PKS4_PKT1_PKT2_S8_PT3_21rocsparse_index_base_b,"axG",@progbits,_ZN9rocsparseL28csrmvn_lrb_short_rows_kernelIli21rocsparse_complex_numIfES2_S2_S2_EEvbT_PT0_S5_jNS_24const_host_device_scalarIT4_EEPKS3_PKS4_PKT1_PKT2_S8_PT3_21rocsparse_index_base_b,comdat
	.globl	_ZN9rocsparseL28csrmvn_lrb_short_rows_kernelIli21rocsparse_complex_numIfES2_S2_S2_EEvbT_PT0_S5_jNS_24const_host_device_scalarIT4_EEPKS3_PKS4_PKT1_PKT2_S8_PT3_21rocsparse_index_base_b ; -- Begin function _ZN9rocsparseL28csrmvn_lrb_short_rows_kernelIli21rocsparse_complex_numIfES2_S2_S2_EEvbT_PT0_S5_jNS_24const_host_device_scalarIT4_EEPKS3_PKS4_PKT1_PKT2_S8_PT3_21rocsparse_index_base_b
	.p2align	8
	.type	_ZN9rocsparseL28csrmvn_lrb_short_rows_kernelIli21rocsparse_complex_numIfES2_S2_S2_EEvbT_PT0_S5_jNS_24const_host_device_scalarIT4_EEPKS3_PKS4_PKT1_PKT2_S8_PT3_21rocsparse_index_base_b,@function
_ZN9rocsparseL28csrmvn_lrb_short_rows_kernelIli21rocsparse_complex_numIfES2_S2_S2_EEvbT_PT0_S5_jNS_24const_host_device_scalarIT4_EEPKS3_PKS4_PKT1_PKT2_S8_PT3_21rocsparse_index_base_b: ; @_ZN9rocsparseL28csrmvn_lrb_short_rows_kernelIli21rocsparse_complex_numIfES2_S2_S2_EEvbT_PT0_S5_jNS_24const_host_device_scalarIT4_EEPKS3_PKS4_PKT1_PKT2_S8_PT3_21rocsparse_index_base_b
; %bb.0:
	s_clause 0x2
	s_load_b64 s[16:17], s[0:1], 0x60
	s_load_b64 s[2:3], s[0:1], 0x28
	;; [unrolled: 1-line block ×3, first 2 shown]
	v_mov_b32_e32 v1, 0
	s_add_nc_u64 s[6:7], s[0:1], 40
	s_add_nc_u64 s[8:9], s[0:1], 0x50
	s_wait_kmcnt 0x0
	s_bitcmp1_b32 s17, 0
	s_cselect_b32 s3, s7, s3
	s_cselect_b32 s2, s6, s2
	;; [unrolled: 1-line block ×4, first 2 shown]
	s_clause 0x1
	flat_load_b64 v[8:9], v1, s[2:3]
	flat_load_b64 v[6:7], v1, s[4:5]
	s_wait_loadcnt_dscnt 0x101
	s_wait_xcnt 0x1
	v_cmp_neq_f32_e64 s2, 0, v8
	v_cmp_neq_f32_e64 s3, 0, v9
	s_wait_loadcnt_dscnt 0x0
	v_cmp_neq_f32_e64 s4, 1.0, v6
	v_cmp_neq_f32_e32 vcc_lo, 0, v7
	s_or_b32 s2, s2, s3
	s_or_b32 s3, s4, vcc_lo
	s_delay_alu instid0(SALU_CYCLE_1) | instskip(NEXT) | instid1(SALU_CYCLE_1)
	s_or_b32 s2, s2, s3
	s_and_saveexec_b32 s3, s2
	s_cbranch_execz .LBB50_15
; %bb.1:
	s_clause 0x1
	s_load_b32 s18, s[0:1], 0x20
	s_load_b128 s[12:15], s[0:1], 0x10
	s_and_b32 s5, ttmp6, 15
	s_getreg_b32 s6, hwreg(HW_REG_IB_STS2, 6, 4)
	s_wait_kmcnt 0x0
	s_add_co_i32 s2, s18, 1
	s_clause 0x1
	s_load_b32 s3, s[14:15], s18 offset:0x0 scale_offset
	s_load_b32 s4, s[14:15], s2 offset:0x0 scale_offset
	s_wait_xcnt 0x0
	s_bfe_u32 s2, ttmp6, 0x4000c
	s_delay_alu instid0(SALU_CYCLE_1) | instskip(NEXT) | instid1(SALU_CYCLE_1)
	s_add_co_i32 s2, s2, 1
	s_mul_i32 s2, ttmp9, s2
	s_delay_alu instid0(SALU_CYCLE_1) | instskip(SKIP_4) | instid1(SALU_CYCLE_1)
	s_add_co_i32 s5, s5, s2
	s_wait_kmcnt 0x0
	s_sub_co_i32 s4, s4, s3
	s_cmp_eq_u32 s6, 0
	s_cselect_b32 s2, ttmp9, s5
	s_lshl_b32 s14, s2, 8
	s_delay_alu instid0(SALU_CYCLE_1) | instskip(NEXT) | instid1(SALU_CYCLE_1)
	s_add_co_i32 s2, s14, 0x100
	s_min_u32 s15, s4, s2
	s_cmp_gt_u32 s18, 23
	s_cbranch_scc1 .LBB50_9
; %bb.2:
	s_clause 0x1
	s_load_b32 s2, s[0:1], 0x0
	s_load_b256 s[4:11], s[0:1], 0x30
	s_lshl_b32 s19, 0x100, s18
	v_bfe_u32 v10, v0, 0, s18
	v_dual_mov_b32 v11, 0 :: v_dual_mov_b32 v13, v8
	v_xor_b32_e32 v12, 0x80000000, v9
	v_lshl_add_u32 v1, v0, 3, 0
	s_mov_b32 s17, 0
	s_delay_alu instid0(SALU_CYCLE_1)
	s_mov_b32 s21, s17
	s_wait_kmcnt 0x0
	s_bitcmp1_b32 s2, 0
	s_cselect_b32 s20, -1, 0
	s_branch .LBB50_4
.LBB50_3:                               ;   in Loop: Header=BB50_4 Depth=1
	s_or_b32 exec_lo, exec_lo, s22
	v_add_nc_u32_e32 v1, 0x800, v1
	s_addk_co_i32 s21, 0x100
	s_delay_alu instid0(SALU_CYCLE_1)
	s_cmp_ge_u32 s21, s19
	s_cbranch_scc1 .LBB50_9
.LBB50_4:                               ; =>This Inner Loop Header: Depth=1
	v_add_nc_u32_e32 v2, s21, v0
	s_mov_b32 s22, exec_lo
	s_delay_alu instid0(VALU_DEP_1) | instskip(NEXT) | instid1(VALU_DEP_1)
	v_lshrrev_b32_e32 v2, s18, v2
	v_add_nc_u32_e32 v2, s14, v2
	s_delay_alu instid0(VALU_DEP_1)
	v_cmpx_gt_u32_e64 s15, v2
	s_cbranch_execz .LBB50_3
; %bb.5:                                ;   in Loop: Header=BB50_4 Depth=1
	v_add_nc_u32_e32 v2, s3, v2
	global_load_b32 v2, v2, s[12:13] scale_offset
	s_wait_loadcnt 0x0
	v_ashrrev_i32_e32 v3, 31, v2
	s_wait_xcnt 0x0
	s_delay_alu instid0(VALU_DEP_1) | instskip(SKIP_3) | instid1(VALU_DEP_1)
	v_lshl_add_u64 v[2:3], v[2:3], 3, s[4:5]
	global_load_b128 v[2:5], v[2:3], off
	s_wait_loadcnt 0x0
	v_sub_nc_u64_e32 v[4:5], v[4:5], v[2:3]
	v_cmp_le_i64_e64 s2, v[4:5], v[10:11]
	s_wait_xcnt 0x0
	s_and_saveexec_b32 s23, s2
	s_delay_alu instid0(SALU_CYCLE_1)
	s_xor_b32 s2, exec_lo, s23
; %bb.6:                                ;   in Loop: Header=BB50_4 Depth=1
	ds_store_2addr_b32 v1, v11, v11 offset1:1
                                        ; implicit-def: $vgpr2_vgpr3
; %bb.7:                                ;   in Loop: Header=BB50_4 Depth=1
	s_and_not1_saveexec_b32 s2, s2
	s_cbranch_execz .LBB50_3
; %bb.8:                                ;   in Loop: Header=BB50_4 Depth=1
	v_sub_nc_u64_e64 v[2:3], v[2:3], s[16:17]
	s_delay_alu instid0(VALU_DEP_1) | instskip(NEXT) | instid1(VALU_DEP_1)
	v_add_nc_u64_e32 v[2:3], v[2:3], v[10:11]
	v_lshl_add_u64 v[4:5], v[2:3], 2, s[6:7]
	v_lshl_add_u64 v[2:3], v[2:3], 3, s[8:9]
	global_load_b32 v4, v[4:5], off
	global_load_b64 v[2:3], v[2:3], off
	s_wait_loadcnt 0x1
	s_wait_xcnt 0x1
	v_subrev_nc_u32_e32 v4, s16, v4
	s_wait_loadcnt 0x0
	v_cndmask_b32_e64 v14, v3, -v3, s20
	global_load_b64 v[4:5], v4, s[10:11] scale_offset
	v_pk_mul_f32 v[14:15], v[14:15], v[12:13] op_sel_hi:[0,1]
	s_delay_alu instid0(VALU_DEP_1) | instskip(SKIP_1) | instid1(VALU_DEP_1)
	v_pk_fma_f32 v[2:3], v[8:9], v[2:3], v[14:15] op_sel_hi:[1,0,1]
	s_wait_loadcnt 0x0
	v_pk_mul_f32 v[14:15], v[4:5], v[2:3] op_sel:[1,1] op_sel_hi:[1,0] neg_lo:[0,1]
	s_delay_alu instid0(VALU_DEP_1)
	v_pk_fma_f32 v[2:3], v[2:3], v[4:5], v[14:15] op_sel_hi:[1,0,1]
	ds_store_2addr_b32 v1, v2, v3 offset1:1
	s_branch .LBB50_3
.LBB50_9:
	s_sub_co_i32 s2, s15, s14
	s_wait_dscnt 0x0
	v_cmp_gt_u32_e64 s2, s2, v0
	s_barrier_signal -1
	s_barrier_wait -1
	s_and_b32 exec_lo, exec_lo, s2
	s_cbranch_execz .LBB50_15
; %bb.10:
	v_add3_u32 v1, s3, s14, v0
	s_load_b64 s[2:3], s[0:1], 0x58
	s_wait_xcnt 0x0
	s_mov_b32 s0, 1
	global_load_b32 v2, v1, s[12:13] scale_offset
	s_wait_xcnt 0x0
	v_dual_mov_b32 v0, 0 :: v_dual_lshlrev_b32 v1, s18, v0
	s_delay_alu instid0(VALU_DEP_1) | instskip(NEXT) | instid1(VALU_DEP_2)
	v_lshl_add_u32 v3, v1, 3, 0
	v_mov_b32_e32 v1, v0
.LBB50_11:                              ; =>This Inner Loop Header: Depth=1
	ds_load_2addr_b32 v[4:5], v3 offset1:1
	v_add_nc_u32_e32 v3, 8, v3
	s_lshr_b32 s1, s0, s18
	s_add_co_i32 s0, s0, 1
	s_cmp_lg_u32 s1, 0
	s_wait_dscnt 0x0
	v_pk_add_f32 v[0:1], v[0:1], v[4:5]
	s_cbranch_scc0 .LBB50_11
; %bb.12:
	s_wait_loadcnt 0x0
	v_ashrrev_i32_e32 v3, 31, v2
	v_cmp_neq_f32_e64 s0, 0, v6
	s_wait_kmcnt 0x0
	s_delay_alu instid0(VALU_DEP_2) | instskip(SKIP_1) | instid1(SALU_CYCLE_1)
	v_lshl_add_u64 v[2:3], v[2:3], 3, s[2:3]
	s_or_b32 s1, s0, vcc_lo
	s_and_saveexec_b32 s0, s1
	s_cbranch_execz .LBB50_14
; %bb.13:
	global_load_b64 v[4:5], v[2:3], off
	v_xor_b32_e32 v8, 0x80000000, v7
	v_mov_b32_e32 v9, v6
	s_wait_loadcnt 0x0
	v_pk_fma_f32 v[0:1], v[6:7], v[4:5], v[0:1] op_sel_hi:[1,0,1]
	s_delay_alu instid0(VALU_DEP_1)
	v_pk_fma_f32 v[0:1], v[8:9], v[4:5], v[0:1] op_sel:[0,1,0]
.LBB50_14:
	s_or_b32 exec_lo, exec_lo, s0
	global_store_b64 v[2:3], v[0:1], off
.LBB50_15:
	s_endpgm
	.section	.rodata,"a",@progbits
	.p2align	6, 0x0
	.amdhsa_kernel _ZN9rocsparseL28csrmvn_lrb_short_rows_kernelIli21rocsparse_complex_numIfES2_S2_S2_EEvbT_PT0_S5_jNS_24const_host_device_scalarIT4_EEPKS3_PKS4_PKT1_PKT2_S8_PT3_21rocsparse_index_base_b
		.amdhsa_group_segment_fixed_size 0
		.amdhsa_private_segment_fixed_size 0
		.amdhsa_kernarg_size 104
		.amdhsa_user_sgpr_count 2
		.amdhsa_user_sgpr_dispatch_ptr 0
		.amdhsa_user_sgpr_queue_ptr 0
		.amdhsa_user_sgpr_kernarg_segment_ptr 1
		.amdhsa_user_sgpr_dispatch_id 0
		.amdhsa_user_sgpr_kernarg_preload_length 0
		.amdhsa_user_sgpr_kernarg_preload_offset 0
		.amdhsa_user_sgpr_private_segment_size 0
		.amdhsa_wavefront_size32 1
		.amdhsa_uses_dynamic_stack 0
		.amdhsa_enable_private_segment 0
		.amdhsa_system_sgpr_workgroup_id_x 1
		.amdhsa_system_sgpr_workgroup_id_y 0
		.amdhsa_system_sgpr_workgroup_id_z 0
		.amdhsa_system_sgpr_workgroup_info 0
		.amdhsa_system_vgpr_workitem_id 0
		.amdhsa_next_free_vgpr 16
		.amdhsa_next_free_sgpr 24
		.amdhsa_named_barrier_count 0
		.amdhsa_reserve_vcc 1
		.amdhsa_float_round_mode_32 0
		.amdhsa_float_round_mode_16_64 0
		.amdhsa_float_denorm_mode_32 3
		.amdhsa_float_denorm_mode_16_64 3
		.amdhsa_fp16_overflow 0
		.amdhsa_memory_ordered 1
		.amdhsa_forward_progress 1
		.amdhsa_inst_pref_size 8
		.amdhsa_round_robin_scheduling 0
		.amdhsa_exception_fp_ieee_invalid_op 0
		.amdhsa_exception_fp_denorm_src 0
		.amdhsa_exception_fp_ieee_div_zero 0
		.amdhsa_exception_fp_ieee_overflow 0
		.amdhsa_exception_fp_ieee_underflow 0
		.amdhsa_exception_fp_ieee_inexact 0
		.amdhsa_exception_int_div_zero 0
	.end_amdhsa_kernel
	.section	.text._ZN9rocsparseL28csrmvn_lrb_short_rows_kernelIli21rocsparse_complex_numIfES2_S2_S2_EEvbT_PT0_S5_jNS_24const_host_device_scalarIT4_EEPKS3_PKS4_PKT1_PKT2_S8_PT3_21rocsparse_index_base_b,"axG",@progbits,_ZN9rocsparseL28csrmvn_lrb_short_rows_kernelIli21rocsparse_complex_numIfES2_S2_S2_EEvbT_PT0_S5_jNS_24const_host_device_scalarIT4_EEPKS3_PKS4_PKT1_PKT2_S8_PT3_21rocsparse_index_base_b,comdat
.Lfunc_end50:
	.size	_ZN9rocsparseL28csrmvn_lrb_short_rows_kernelIli21rocsparse_complex_numIfES2_S2_S2_EEvbT_PT0_S5_jNS_24const_host_device_scalarIT4_EEPKS3_PKS4_PKT1_PKT2_S8_PT3_21rocsparse_index_base_b, .Lfunc_end50-_ZN9rocsparseL28csrmvn_lrb_short_rows_kernelIli21rocsparse_complex_numIfES2_S2_S2_EEvbT_PT0_S5_jNS_24const_host_device_scalarIT4_EEPKS3_PKS4_PKT1_PKT2_S8_PT3_21rocsparse_index_base_b
                                        ; -- End function
	.set _ZN9rocsparseL28csrmvn_lrb_short_rows_kernelIli21rocsparse_complex_numIfES2_S2_S2_EEvbT_PT0_S5_jNS_24const_host_device_scalarIT4_EEPKS3_PKS4_PKT1_PKT2_S8_PT3_21rocsparse_index_base_b.num_vgpr, 16
	.set _ZN9rocsparseL28csrmvn_lrb_short_rows_kernelIli21rocsparse_complex_numIfES2_S2_S2_EEvbT_PT0_S5_jNS_24const_host_device_scalarIT4_EEPKS3_PKS4_PKT1_PKT2_S8_PT3_21rocsparse_index_base_b.num_agpr, 0
	.set _ZN9rocsparseL28csrmvn_lrb_short_rows_kernelIli21rocsparse_complex_numIfES2_S2_S2_EEvbT_PT0_S5_jNS_24const_host_device_scalarIT4_EEPKS3_PKS4_PKT1_PKT2_S8_PT3_21rocsparse_index_base_b.numbered_sgpr, 24
	.set _ZN9rocsparseL28csrmvn_lrb_short_rows_kernelIli21rocsparse_complex_numIfES2_S2_S2_EEvbT_PT0_S5_jNS_24const_host_device_scalarIT4_EEPKS3_PKS4_PKT1_PKT2_S8_PT3_21rocsparse_index_base_b.num_named_barrier, 0
	.set _ZN9rocsparseL28csrmvn_lrb_short_rows_kernelIli21rocsparse_complex_numIfES2_S2_S2_EEvbT_PT0_S5_jNS_24const_host_device_scalarIT4_EEPKS3_PKS4_PKT1_PKT2_S8_PT3_21rocsparse_index_base_b.private_seg_size, 0
	.set _ZN9rocsparseL28csrmvn_lrb_short_rows_kernelIli21rocsparse_complex_numIfES2_S2_S2_EEvbT_PT0_S5_jNS_24const_host_device_scalarIT4_EEPKS3_PKS4_PKT1_PKT2_S8_PT3_21rocsparse_index_base_b.uses_vcc, 1
	.set _ZN9rocsparseL28csrmvn_lrb_short_rows_kernelIli21rocsparse_complex_numIfES2_S2_S2_EEvbT_PT0_S5_jNS_24const_host_device_scalarIT4_EEPKS3_PKS4_PKT1_PKT2_S8_PT3_21rocsparse_index_base_b.uses_flat_scratch, 1
	.set _ZN9rocsparseL28csrmvn_lrb_short_rows_kernelIli21rocsparse_complex_numIfES2_S2_S2_EEvbT_PT0_S5_jNS_24const_host_device_scalarIT4_EEPKS3_PKS4_PKT1_PKT2_S8_PT3_21rocsparse_index_base_b.has_dyn_sized_stack, 0
	.set _ZN9rocsparseL28csrmvn_lrb_short_rows_kernelIli21rocsparse_complex_numIfES2_S2_S2_EEvbT_PT0_S5_jNS_24const_host_device_scalarIT4_EEPKS3_PKS4_PKT1_PKT2_S8_PT3_21rocsparse_index_base_b.has_recursion, 0
	.set _ZN9rocsparseL28csrmvn_lrb_short_rows_kernelIli21rocsparse_complex_numIfES2_S2_S2_EEvbT_PT0_S5_jNS_24const_host_device_scalarIT4_EEPKS3_PKS4_PKT1_PKT2_S8_PT3_21rocsparse_index_base_b.has_indirect_call, 0
	.section	.AMDGPU.csdata,"",@progbits
; Kernel info:
; codeLenInByte = 944
; TotalNumSgprs: 26
; NumVgprs: 16
; ScratchSize: 0
; MemoryBound: 0
; FloatMode: 240
; IeeeMode: 1
; LDSByteSize: 0 bytes/workgroup (compile time only)
; SGPRBlocks: 0
; VGPRBlocks: 0
; NumSGPRsForWavesPerEU: 26
; NumVGPRsForWavesPerEU: 16
; NamedBarCnt: 0
; Occupancy: 16
; WaveLimiterHint : 1
; COMPUTE_PGM_RSRC2:SCRATCH_EN: 0
; COMPUTE_PGM_RSRC2:USER_SGPR: 2
; COMPUTE_PGM_RSRC2:TRAP_HANDLER: 0
; COMPUTE_PGM_RSRC2:TGID_X_EN: 1
; COMPUTE_PGM_RSRC2:TGID_Y_EN: 0
; COMPUTE_PGM_RSRC2:TGID_Z_EN: 0
; COMPUTE_PGM_RSRC2:TIDIG_COMP_CNT: 0
	.section	.text._ZN9rocsparseL30csrmvn_lrb_short_rows_2_kernelIli21rocsparse_complex_numIfES2_S2_S2_EEvbT_PT0_S5_jNS_24const_host_device_scalarIT4_EEPKS3_PKS4_PKT1_PKT2_S8_PT3_21rocsparse_index_base_b,"axG",@progbits,_ZN9rocsparseL30csrmvn_lrb_short_rows_2_kernelIli21rocsparse_complex_numIfES2_S2_S2_EEvbT_PT0_S5_jNS_24const_host_device_scalarIT4_EEPKS3_PKS4_PKT1_PKT2_S8_PT3_21rocsparse_index_base_b,comdat
	.globl	_ZN9rocsparseL30csrmvn_lrb_short_rows_2_kernelIli21rocsparse_complex_numIfES2_S2_S2_EEvbT_PT0_S5_jNS_24const_host_device_scalarIT4_EEPKS3_PKS4_PKT1_PKT2_S8_PT3_21rocsparse_index_base_b ; -- Begin function _ZN9rocsparseL30csrmvn_lrb_short_rows_2_kernelIli21rocsparse_complex_numIfES2_S2_S2_EEvbT_PT0_S5_jNS_24const_host_device_scalarIT4_EEPKS3_PKS4_PKT1_PKT2_S8_PT3_21rocsparse_index_base_b
	.p2align	8
	.type	_ZN9rocsparseL30csrmvn_lrb_short_rows_2_kernelIli21rocsparse_complex_numIfES2_S2_S2_EEvbT_PT0_S5_jNS_24const_host_device_scalarIT4_EEPKS3_PKS4_PKT1_PKT2_S8_PT3_21rocsparse_index_base_b,@function
_ZN9rocsparseL30csrmvn_lrb_short_rows_2_kernelIli21rocsparse_complex_numIfES2_S2_S2_EEvbT_PT0_S5_jNS_24const_host_device_scalarIT4_EEPKS3_PKS4_PKT1_PKT2_S8_PT3_21rocsparse_index_base_b: ; @_ZN9rocsparseL30csrmvn_lrb_short_rows_2_kernelIli21rocsparse_complex_numIfES2_S2_S2_EEvbT_PT0_S5_jNS_24const_host_device_scalarIT4_EEPKS3_PKS4_PKT1_PKT2_S8_PT3_21rocsparse_index_base_b
; %bb.0:
	s_clause 0x2
	s_load_b64 s[16:17], s[0:1], 0x60
	s_load_b64 s[2:3], s[0:1], 0x28
	s_load_b64 s[4:5], s[0:1], 0x50
	v_mov_b32_e32 v11, 0
	s_add_nc_u64 s[6:7], s[0:1], 40
	s_add_nc_u64 s[8:9], s[0:1], 0x50
	s_wait_kmcnt 0x0
	s_bitcmp1_b32 s17, 0
	s_mov_b32 s17, 0
	s_cselect_b32 s3, s7, s3
	s_cselect_b32 s2, s6, s2
	;; [unrolled: 1-line block ×4, first 2 shown]
	s_clause 0x1
	flat_load_b64 v[8:9], v11, s[2:3]
	flat_load_b64 v[6:7], v11, s[4:5]
	s_wait_loadcnt_dscnt 0x101
	s_wait_xcnt 0x1
	v_cmp_neq_f32_e64 s2, 0, v8
	v_cmp_neq_f32_e64 s3, 0, v9
	s_wait_loadcnt_dscnt 0x0
	v_cmp_neq_f32_e64 s4, 1.0, v6
	v_cmp_neq_f32_e32 vcc_lo, 0, v7
	s_or_b32 s2, s2, s3
	s_or_b32 s3, s4, vcc_lo
	s_delay_alu instid0(SALU_CYCLE_1) | instskip(NEXT) | instid1(SALU_CYCLE_1)
	s_or_b32 s2, s2, s3
	s_and_saveexec_b32 s3, s2
	s_cbranch_execz .LBB51_30
; %bb.1:
	s_clause 0x2
	s_load_b32 s18, s[0:1], 0x20
	s_load_b32 s2, s[0:1], 0x0
	s_load_b128 s[12:15], s[0:1], 0x10
	s_wait_kmcnt 0x0
	v_lshrrev_b32_e32 v1, s18, v0
	s_bitcmp1_b32 s2, 0
	v_bfe_u32 v10, v0, 0, s18
	s_cselect_b32 s3, -1, 0
	s_add_co_i32 s2, s18, 1
	s_clause 0x1
	s_load_b32 s19, s[14:15], s18 offset:0x0 scale_offset
	s_load_b32 s20, s[14:15], s2 offset:0x0 scale_offset
	s_load_b256 s[4:11], s[0:1], 0x30
	s_wait_xcnt 0x0
	s_bfe_u32 s15, ttmp6, 0x4000c
	s_and_b32 s21, ttmp6, 15
	s_add_co_i32 s15, s15, 1
	s_getreg_b32 s2, hwreg(HW_REG_IB_STS2, 6, 4)
	s_mul_i32 s15, ttmp9, s15
	s_lshr_b32 s14, 0x400, s18
	s_add_co_i32 s21, s21, s15
	s_wait_kmcnt 0x0
	s_sub_co_i32 s20, s20, s19
	s_cmp_eq_u32 s2, 0
	s_cselect_b32 s2, ttmp9, s21
	s_mov_b32 s21, exec_lo
	s_mul_i32 s15, s14, s2
	s_delay_alu instid0(SALU_CYCLE_1) | instskip(SKIP_1) | instid1(SALU_CYCLE_1)
	v_add_nc_u32_e32 v1, s15, v1
	s_add_co_i32 s2, s15, s14
	s_min_u32 s20, s20, s2
	s_delay_alu instid0(VALU_DEP_1) | instid1(SALU_CYCLE_1)
	v_cmpx_gt_u32_e64 s20, v1
	s_cbranch_execz .LBB51_6
; %bb.2:
	v_add_nc_u32_e32 v1, s19, v1
	global_load_b32 v2, v1, s[12:13] scale_offset
	s_wait_loadcnt 0x0
	v_ashrrev_i32_e32 v3, 31, v2
	s_delay_alu instid0(VALU_DEP_1) | instskip(SKIP_3) | instid1(VALU_DEP_1)
	v_lshl_add_u64 v[2:3], v[2:3], 3, s[4:5]
	global_load_b128 v[2:5], v[2:3], off
	s_wait_loadcnt 0x0
	v_sub_nc_u64_e32 v[4:5], v[4:5], v[2:3]
	v_cmp_le_i64_e64 s2, v[4:5], v[10:11]
	s_and_saveexec_b32 s22, s2
	s_delay_alu instid0(SALU_CYCLE_1)
	s_xor_b32 s2, exec_lo, s22
; %bb.3:
	v_mov_b64_e32 v[2:3], 0
	v_lshlrev_b32_e32 v1, 3, v0
	ds_store_b64 v1, v[2:3]
                                        ; implicit-def: $vgpr2_vgpr3
; %bb.4:
	s_and_not1_saveexec_b32 s2, s2
	s_cbranch_execz .LBB51_6
; %bb.5:
	v_sub_nc_u64_e64 v[2:3], v[2:3], s[16:17]
	v_xor_b32_e32 v14, 0x80000000, v9
	v_mov_b32_e32 v15, v8
	s_delay_alu instid0(VALU_DEP_3) | instskip(NEXT) | instid1(VALU_DEP_1)
	v_add_nc_u64_e32 v[2:3], v[2:3], v[10:11]
	v_lshl_add_u64 v[4:5], v[2:3], 2, s[6:7]
	v_lshl_add_u64 v[2:3], v[2:3], 3, s[8:9]
	global_load_b32 v1, v[4:5], off
	global_load_b64 v[2:3], v[2:3], off
	s_wait_loadcnt 0x1
	v_subrev_nc_u32_e32 v1, s16, v1
	s_wait_loadcnt 0x0
	v_cndmask_b32_e64 v12, v3, -v3, s3
	global_load_b64 v[4:5], v1, s[10:11] scale_offset
	v_pk_mul_f32 v[12:13], v[12:13], v[14:15] op_sel_hi:[0,1]
	s_wait_xcnt 0x0
	v_lshlrev_b32_e32 v1, 3, v0
	s_delay_alu instid0(VALU_DEP_2) | instskip(SKIP_1) | instid1(VALU_DEP_1)
	v_pk_fma_f32 v[2:3], v[8:9], v[2:3], v[12:13] op_sel_hi:[1,0,1]
	s_wait_loadcnt 0x0
	v_pk_mul_f32 v[12:13], v[4:5], v[2:3] op_sel:[1,1] op_sel_hi:[1,0] neg_lo:[0,1]
	s_delay_alu instid0(VALU_DEP_1)
	v_pk_fma_f32 v[2:3], v[2:3], v[4:5], v[12:13] op_sel_hi:[1,0,1]
	ds_store_b64 v1, v[2:3]
.LBB51_6:
	s_or_b32 exec_lo, exec_lo, s21
	v_or_b32_e32 v1, 0x100, v0
	s_mov_b32 s21, exec_lo
	s_delay_alu instid0(VALU_DEP_1) | instskip(NEXT) | instid1(VALU_DEP_1)
	v_lshrrev_b32_e32 v1, s18, v1
	v_add_nc_u32_e32 v1, s15, v1
	s_delay_alu instid0(VALU_DEP_1)
	v_cmpx_gt_u32_e64 s20, v1
	s_cbranch_execz .LBB51_11
; %bb.7:
	v_add_nc_u32_e32 v1, s19, v1
	global_load_b32 v2, v1, s[12:13] scale_offset
	s_wait_loadcnt 0x0
	v_ashrrev_i32_e32 v3, 31, v2
	s_delay_alu instid0(VALU_DEP_1) | instskip(SKIP_3) | instid1(VALU_DEP_1)
	v_lshl_add_u64 v[2:3], v[2:3], 3, s[4:5]
	global_load_b128 v[2:5], v[2:3], off
	s_wait_loadcnt 0x0
	v_sub_nc_u64_e32 v[4:5], v[4:5], v[2:3]
	v_cmp_le_i64_e64 s2, v[4:5], v[10:11]
	s_and_saveexec_b32 s22, s2
	s_delay_alu instid0(SALU_CYCLE_1)
	s_xor_b32 s2, exec_lo, s22
; %bb.8:
	v_mov_b64_e32 v[2:3], 0
	v_lshlrev_b32_e32 v1, 3, v0
	ds_store_b64 v1, v[2:3] offset:2048
                                        ; implicit-def: $vgpr2_vgpr3
; %bb.9:
	s_and_not1_saveexec_b32 s2, s2
	s_cbranch_execz .LBB51_11
; %bb.10:
	v_sub_nc_u64_e64 v[2:3], v[2:3], s[16:17]
	v_xor_b32_e32 v14, 0x80000000, v9
	v_mov_b32_e32 v15, v8
	s_delay_alu instid0(VALU_DEP_3) | instskip(NEXT) | instid1(VALU_DEP_1)
	v_add_nc_u64_e32 v[2:3], v[2:3], v[10:11]
	v_lshl_add_u64 v[4:5], v[2:3], 2, s[6:7]
	v_lshl_add_u64 v[2:3], v[2:3], 3, s[8:9]
	global_load_b32 v1, v[4:5], off
	global_load_b64 v[2:3], v[2:3], off
	s_wait_loadcnt 0x1
	v_subrev_nc_u32_e32 v1, s16, v1
	s_wait_loadcnt 0x0
	v_cndmask_b32_e64 v12, v3, -v3, s3
	global_load_b64 v[4:5], v1, s[10:11] scale_offset
	v_pk_mul_f32 v[12:13], v[12:13], v[14:15] op_sel_hi:[0,1]
	s_wait_xcnt 0x0
	v_lshlrev_b32_e32 v1, 3, v0
	s_delay_alu instid0(VALU_DEP_2) | instskip(SKIP_1) | instid1(VALU_DEP_1)
	v_pk_fma_f32 v[2:3], v[8:9], v[2:3], v[12:13] op_sel_hi:[1,0,1]
	s_wait_loadcnt 0x0
	v_pk_mul_f32 v[12:13], v[4:5], v[2:3] op_sel:[1,1] op_sel_hi:[1,0] neg_lo:[0,1]
	s_delay_alu instid0(VALU_DEP_1)
	v_pk_fma_f32 v[2:3], v[2:3], v[4:5], v[12:13] op_sel_hi:[1,0,1]
	ds_store_b64 v1, v[2:3] offset:2048
.LBB51_11:
	s_or_b32 exec_lo, exec_lo, s21
	v_or_b32_e32 v1, 0x200, v0
	s_mov_b32 s21, exec_lo
	s_delay_alu instid0(VALU_DEP_1) | instskip(NEXT) | instid1(VALU_DEP_1)
	v_lshrrev_b32_e32 v1, s18, v1
	v_add_nc_u32_e32 v1, s15, v1
	s_delay_alu instid0(VALU_DEP_1)
	v_cmpx_gt_u32_e64 s20, v1
	s_cbranch_execz .LBB51_16
; %bb.12:
	v_add_nc_u32_e32 v1, s19, v1
	global_load_b32 v2, v1, s[12:13] scale_offset
	s_wait_loadcnt 0x0
	v_ashrrev_i32_e32 v3, 31, v2
	s_delay_alu instid0(VALU_DEP_1) | instskip(SKIP_3) | instid1(VALU_DEP_1)
	v_lshl_add_u64 v[2:3], v[2:3], 3, s[4:5]
	global_load_b128 v[2:5], v[2:3], off
	s_wait_loadcnt 0x0
	v_sub_nc_u64_e32 v[4:5], v[4:5], v[2:3]
	v_cmp_le_i64_e64 s2, v[4:5], v[10:11]
	s_and_saveexec_b32 s22, s2
	s_delay_alu instid0(SALU_CYCLE_1)
	s_xor_b32 s2, exec_lo, s22
; %bb.13:
	v_mov_b64_e32 v[2:3], 0
	v_lshlrev_b32_e32 v1, 3, v0
	ds_store_b64 v1, v[2:3] offset:4096
                                        ; implicit-def: $vgpr2_vgpr3
; %bb.14:
	s_and_not1_saveexec_b32 s2, s2
	s_cbranch_execz .LBB51_16
; %bb.15:
	v_sub_nc_u64_e64 v[2:3], v[2:3], s[16:17]
	v_xor_b32_e32 v14, 0x80000000, v9
	v_mov_b32_e32 v15, v8
	s_delay_alu instid0(VALU_DEP_3) | instskip(NEXT) | instid1(VALU_DEP_1)
	v_add_nc_u64_e32 v[2:3], v[2:3], v[10:11]
	v_lshl_add_u64 v[4:5], v[2:3], 2, s[6:7]
	v_lshl_add_u64 v[2:3], v[2:3], 3, s[8:9]
	global_load_b32 v1, v[4:5], off
	global_load_b64 v[2:3], v[2:3], off
	s_wait_loadcnt 0x1
	v_subrev_nc_u32_e32 v1, s16, v1
	s_wait_loadcnt 0x0
	v_cndmask_b32_e64 v12, v3, -v3, s3
	global_load_b64 v[4:5], v1, s[10:11] scale_offset
	v_pk_mul_f32 v[12:13], v[12:13], v[14:15] op_sel_hi:[0,1]
	s_wait_xcnt 0x0
	v_lshlrev_b32_e32 v1, 3, v0
	s_delay_alu instid0(VALU_DEP_2) | instskip(SKIP_1) | instid1(VALU_DEP_1)
	v_pk_fma_f32 v[2:3], v[8:9], v[2:3], v[12:13] op_sel_hi:[1,0,1]
	s_wait_loadcnt 0x0
	v_pk_mul_f32 v[12:13], v[4:5], v[2:3] op_sel:[1,1] op_sel_hi:[1,0] neg_lo:[0,1]
	s_delay_alu instid0(VALU_DEP_1)
	v_pk_fma_f32 v[2:3], v[2:3], v[4:5], v[12:13] op_sel_hi:[1,0,1]
	ds_store_b64 v1, v[2:3] offset:4096
.LBB51_16:
	s_or_b32 exec_lo, exec_lo, s21
	v_or_b32_e32 v1, 0x300, v0
	s_mov_b32 s21, exec_lo
	s_delay_alu instid0(VALU_DEP_1) | instskip(NEXT) | instid1(VALU_DEP_1)
	v_lshrrev_b32_e32 v1, s18, v1
	v_add_nc_u32_e32 v1, s15, v1
	s_delay_alu instid0(VALU_DEP_1)
	v_cmpx_gt_u32_e64 s20, v1
	s_cbranch_execz .LBB51_21
; %bb.17:
	v_add_nc_u32_e32 v1, s19, v1
	global_load_b32 v2, v1, s[12:13] scale_offset
	s_wait_loadcnt 0x0
	v_dual_lshlrev_b32 v1, 3, v0 :: v_dual_ashrrev_i32 v3, 31, v2
	s_delay_alu instid0(VALU_DEP_1) | instskip(SKIP_3) | instid1(VALU_DEP_1)
	v_lshl_add_u64 v[2:3], v[2:3], 3, s[4:5]
	global_load_b128 v[2:5], v[2:3], off
	s_wait_loadcnt 0x0
	v_sub_nc_u64_e32 v[4:5], v[4:5], v[2:3]
	v_cmp_le_i64_e64 s2, v[4:5], v[10:11]
	s_and_saveexec_b32 s4, s2
	s_delay_alu instid0(SALU_CYCLE_1)
	s_xor_b32 s2, exec_lo, s4
; %bb.18:
	v_mov_b64_e32 v[2:3], 0
                                        ; implicit-def: $vgpr10_vgpr11
                                        ; implicit-def: $vgpr8_vgpr9
	ds_store_b64 v1, v[2:3] offset:6144
                                        ; implicit-def: $vgpr2_vgpr3
                                        ; implicit-def: $vgpr1
; %bb.19:
	s_and_not1_saveexec_b32 s2, s2
	s_cbranch_execz .LBB51_21
; %bb.20:
	v_sub_nc_u64_e64 v[2:3], v[2:3], s[16:17]
	v_xor_b32_e32 v12, 0x80000000, v9
	v_mov_b32_e32 v13, v8
	s_delay_alu instid0(VALU_DEP_3) | instskip(NEXT) | instid1(VALU_DEP_1)
	v_add_nc_u64_e32 v[2:3], v[2:3], v[10:11]
	v_lshl_add_u64 v[4:5], v[2:3], 2, s[6:7]
	v_lshl_add_u64 v[2:3], v[2:3], 3, s[8:9]
	global_load_b32 v4, v[4:5], off
	global_load_b64 v[2:3], v[2:3], off
	s_wait_loadcnt 0x1
	s_wait_xcnt 0x1
	v_subrev_nc_u32_e32 v4, s16, v4
	s_wait_loadcnt 0x0
	v_cndmask_b32_e64 v10, v3, -v3, s3
	global_load_b64 v[4:5], v4, s[10:11] scale_offset
	v_pk_mul_f32 v[10:11], v[10:11], v[12:13] op_sel_hi:[0,1]
	s_delay_alu instid0(VALU_DEP_1) | instskip(SKIP_1) | instid1(VALU_DEP_1)
	v_pk_fma_f32 v[2:3], v[8:9], v[2:3], v[10:11] op_sel_hi:[1,0,1]
	s_wait_loadcnt 0x0
	v_pk_mul_f32 v[8:9], v[4:5], v[2:3] op_sel:[1,1] op_sel_hi:[1,0] neg_lo:[0,1]
	s_delay_alu instid0(VALU_DEP_1)
	v_pk_fma_f32 v[2:3], v[2:3], v[4:5], v[8:9] op_sel_hi:[1,0,1]
	ds_store_b64 v1, v[2:3] offset:6144
.LBB51_21:
	s_or_b32 exec_lo, exec_lo, s21
	s_cmp_lt_u32 s18, 11
	s_wait_dscnt 0x0
	s_barrier_signal -1
	s_barrier_wait -1
	s_cbranch_scc0 .LBB51_30
; %bb.22:
	s_load_b64 s[2:3], s[0:1], 0x58
	s_wait_xcnt 0x0
	v_cmp_neq_f32_e64 s0, 0, v6
	v_xor_b32_e32 v2, 0x80000000, v7
	v_mov_b32_e32 v3, v6
	s_sub_co_i32 s1, s20, s15
	s_add_co_i32 s19, s19, s15
	s_mov_b32 s4, 0
	s_or_b32 s0, s0, vcc_lo
	s_branch .LBB51_25
.LBB51_23:                              ;   in Loop: Header=BB51_25 Depth=1
	s_wait_xcnt 0x0
	s_or_b32 exec_lo, exec_lo, s6
	global_store_b64 v[8:9], v[4:5], off
.LBB51_24:                              ;   in Loop: Header=BB51_25 Depth=1
	s_wait_xcnt 0x0
	s_or_b32 exec_lo, exec_lo, s5
	s_addk_co_i32 s4, 0x100
	s_delay_alu instid0(SALU_CYCLE_1)
	s_cmp_lt_u32 s4, s14
	s_cbranch_scc0 .LBB51_30
.LBB51_25:                              ; =>This Loop Header: Depth=1
                                        ;     Child Loop BB51_27 Depth 2
	v_add_nc_u32_e32 v1, s4, v0
	s_mov_b32 s5, exec_lo
	s_delay_alu instid0(VALU_DEP_1)
	v_cmpx_gt_u32_e64 s1, v1
	s_cbranch_execz .LBB51_24
; %bb.26:                               ;   in Loop: Header=BB51_25 Depth=1
	v_dual_add_nc_u32 v4, s19, v1 :: v_dual_lshlrev_b32 v1, s18, v1
	s_mov_b32 s6, 1
	global_load_b32 v8, v4, s[12:13] scale_offset
	s_wait_xcnt 0x0
	v_dual_mov_b32 v4, 0 :: v_dual_lshlrev_b32 v1, 3, v1
	s_delay_alu instid0(VALU_DEP_1)
	v_mov_b32_e32 v5, v4
.LBB51_27:                              ;   Parent Loop BB51_25 Depth=1
                                        ; =>  This Inner Loop Header: Depth=2
	ds_load_b64 v[10:11], v1
	v_add_nc_u32_e32 v1, 8, v1
	s_lshr_b32 s7, s6, s18
	s_add_co_i32 s6, s6, 1
	s_cmp_lg_u32 s7, 0
	s_wait_dscnt 0x0
	v_pk_add_f32 v[4:5], v[4:5], v[10:11]
	s_cbranch_scc0 .LBB51_27
; %bb.28:                               ;   in Loop: Header=BB51_25 Depth=1
	s_wait_loadcnt 0x0
	v_ashrrev_i32_e32 v9, 31, v8
	s_wait_kmcnt 0x0
	s_delay_alu instid0(VALU_DEP_1)
	v_lshl_add_u64 v[8:9], v[8:9], 3, s[2:3]
	s_and_saveexec_b32 s6, s0
	s_cbranch_execz .LBB51_23
; %bb.29:                               ;   in Loop: Header=BB51_25 Depth=1
	global_load_b64 v[10:11], v[8:9], off
	s_wait_loadcnt 0x0
	v_pk_fma_f32 v[4:5], v[6:7], v[10:11], v[4:5] op_sel_hi:[1,0,1]
	s_delay_alu instid0(VALU_DEP_1)
	v_pk_fma_f32 v[4:5], v[2:3], v[10:11], v[4:5] op_sel:[0,1,0]
	s_branch .LBB51_23
.LBB51_30:
	s_endpgm
	.section	.rodata,"a",@progbits
	.p2align	6, 0x0
	.amdhsa_kernel _ZN9rocsparseL30csrmvn_lrb_short_rows_2_kernelIli21rocsparse_complex_numIfES2_S2_S2_EEvbT_PT0_S5_jNS_24const_host_device_scalarIT4_EEPKS3_PKS4_PKT1_PKT2_S8_PT3_21rocsparse_index_base_b
		.amdhsa_group_segment_fixed_size 8192
		.amdhsa_private_segment_fixed_size 0
		.amdhsa_kernarg_size 104
		.amdhsa_user_sgpr_count 2
		.amdhsa_user_sgpr_dispatch_ptr 0
		.amdhsa_user_sgpr_queue_ptr 0
		.amdhsa_user_sgpr_kernarg_segment_ptr 1
		.amdhsa_user_sgpr_dispatch_id 0
		.amdhsa_user_sgpr_kernarg_preload_length 0
		.amdhsa_user_sgpr_kernarg_preload_offset 0
		.amdhsa_user_sgpr_private_segment_size 0
		.amdhsa_wavefront_size32 1
		.amdhsa_uses_dynamic_stack 0
		.amdhsa_enable_private_segment 0
		.amdhsa_system_sgpr_workgroup_id_x 1
		.amdhsa_system_sgpr_workgroup_id_y 0
		.amdhsa_system_sgpr_workgroup_id_z 0
		.amdhsa_system_sgpr_workgroup_info 0
		.amdhsa_system_vgpr_workitem_id 0
		.amdhsa_next_free_vgpr 16
		.amdhsa_next_free_sgpr 23
		.amdhsa_named_barrier_count 0
		.amdhsa_reserve_vcc 1
		.amdhsa_float_round_mode_32 0
		.amdhsa_float_round_mode_16_64 0
		.amdhsa_float_denorm_mode_32 3
		.amdhsa_float_denorm_mode_16_64 3
		.amdhsa_fp16_overflow 0
		.amdhsa_memory_ordered 1
		.amdhsa_forward_progress 1
		.amdhsa_inst_pref_size 15
		.amdhsa_round_robin_scheduling 0
		.amdhsa_exception_fp_ieee_invalid_op 0
		.amdhsa_exception_fp_denorm_src 0
		.amdhsa_exception_fp_ieee_div_zero 0
		.amdhsa_exception_fp_ieee_overflow 0
		.amdhsa_exception_fp_ieee_underflow 0
		.amdhsa_exception_fp_ieee_inexact 0
		.amdhsa_exception_int_div_zero 0
	.end_amdhsa_kernel
	.section	.text._ZN9rocsparseL30csrmvn_lrb_short_rows_2_kernelIli21rocsparse_complex_numIfES2_S2_S2_EEvbT_PT0_S5_jNS_24const_host_device_scalarIT4_EEPKS3_PKS4_PKT1_PKT2_S8_PT3_21rocsparse_index_base_b,"axG",@progbits,_ZN9rocsparseL30csrmvn_lrb_short_rows_2_kernelIli21rocsparse_complex_numIfES2_S2_S2_EEvbT_PT0_S5_jNS_24const_host_device_scalarIT4_EEPKS3_PKS4_PKT1_PKT2_S8_PT3_21rocsparse_index_base_b,comdat
.Lfunc_end51:
	.size	_ZN9rocsparseL30csrmvn_lrb_short_rows_2_kernelIli21rocsparse_complex_numIfES2_S2_S2_EEvbT_PT0_S5_jNS_24const_host_device_scalarIT4_EEPKS3_PKS4_PKT1_PKT2_S8_PT3_21rocsparse_index_base_b, .Lfunc_end51-_ZN9rocsparseL30csrmvn_lrb_short_rows_2_kernelIli21rocsparse_complex_numIfES2_S2_S2_EEvbT_PT0_S5_jNS_24const_host_device_scalarIT4_EEPKS3_PKS4_PKT1_PKT2_S8_PT3_21rocsparse_index_base_b
                                        ; -- End function
	.set _ZN9rocsparseL30csrmvn_lrb_short_rows_2_kernelIli21rocsparse_complex_numIfES2_S2_S2_EEvbT_PT0_S5_jNS_24const_host_device_scalarIT4_EEPKS3_PKS4_PKT1_PKT2_S8_PT3_21rocsparse_index_base_b.num_vgpr, 16
	.set _ZN9rocsparseL30csrmvn_lrb_short_rows_2_kernelIli21rocsparse_complex_numIfES2_S2_S2_EEvbT_PT0_S5_jNS_24const_host_device_scalarIT4_EEPKS3_PKS4_PKT1_PKT2_S8_PT3_21rocsparse_index_base_b.num_agpr, 0
	.set _ZN9rocsparseL30csrmvn_lrb_short_rows_2_kernelIli21rocsparse_complex_numIfES2_S2_S2_EEvbT_PT0_S5_jNS_24const_host_device_scalarIT4_EEPKS3_PKS4_PKT1_PKT2_S8_PT3_21rocsparse_index_base_b.numbered_sgpr, 23
	.set _ZN9rocsparseL30csrmvn_lrb_short_rows_2_kernelIli21rocsparse_complex_numIfES2_S2_S2_EEvbT_PT0_S5_jNS_24const_host_device_scalarIT4_EEPKS3_PKS4_PKT1_PKT2_S8_PT3_21rocsparse_index_base_b.num_named_barrier, 0
	.set _ZN9rocsparseL30csrmvn_lrb_short_rows_2_kernelIli21rocsparse_complex_numIfES2_S2_S2_EEvbT_PT0_S5_jNS_24const_host_device_scalarIT4_EEPKS3_PKS4_PKT1_PKT2_S8_PT3_21rocsparse_index_base_b.private_seg_size, 0
	.set _ZN9rocsparseL30csrmvn_lrb_short_rows_2_kernelIli21rocsparse_complex_numIfES2_S2_S2_EEvbT_PT0_S5_jNS_24const_host_device_scalarIT4_EEPKS3_PKS4_PKT1_PKT2_S8_PT3_21rocsparse_index_base_b.uses_vcc, 1
	.set _ZN9rocsparseL30csrmvn_lrb_short_rows_2_kernelIli21rocsparse_complex_numIfES2_S2_S2_EEvbT_PT0_S5_jNS_24const_host_device_scalarIT4_EEPKS3_PKS4_PKT1_PKT2_S8_PT3_21rocsparse_index_base_b.uses_flat_scratch, 1
	.set _ZN9rocsparseL30csrmvn_lrb_short_rows_2_kernelIli21rocsparse_complex_numIfES2_S2_S2_EEvbT_PT0_S5_jNS_24const_host_device_scalarIT4_EEPKS3_PKS4_PKT1_PKT2_S8_PT3_21rocsparse_index_base_b.has_dyn_sized_stack, 0
	.set _ZN9rocsparseL30csrmvn_lrb_short_rows_2_kernelIli21rocsparse_complex_numIfES2_S2_S2_EEvbT_PT0_S5_jNS_24const_host_device_scalarIT4_EEPKS3_PKS4_PKT1_PKT2_S8_PT3_21rocsparse_index_base_b.has_recursion, 0
	.set _ZN9rocsparseL30csrmvn_lrb_short_rows_2_kernelIli21rocsparse_complex_numIfES2_S2_S2_EEvbT_PT0_S5_jNS_24const_host_device_scalarIT4_EEPKS3_PKS4_PKT1_PKT2_S8_PT3_21rocsparse_index_base_b.has_indirect_call, 0
	.section	.AMDGPU.csdata,"",@progbits
; Kernel info:
; codeLenInByte = 1824
; TotalNumSgprs: 25
; NumVgprs: 16
; ScratchSize: 0
; MemoryBound: 0
; FloatMode: 240
; IeeeMode: 1
; LDSByteSize: 8192 bytes/workgroup (compile time only)
; SGPRBlocks: 0
; VGPRBlocks: 0
; NumSGPRsForWavesPerEU: 25
; NumVGPRsForWavesPerEU: 16
; NamedBarCnt: 0
; Occupancy: 16
; WaveLimiterHint : 1
; COMPUTE_PGM_RSRC2:SCRATCH_EN: 0
; COMPUTE_PGM_RSRC2:USER_SGPR: 2
; COMPUTE_PGM_RSRC2:TRAP_HANDLER: 0
; COMPUTE_PGM_RSRC2:TGID_X_EN: 1
; COMPUTE_PGM_RSRC2:TGID_Y_EN: 0
; COMPUTE_PGM_RSRC2:TGID_Z_EN: 0
; COMPUTE_PGM_RSRC2:TIDIG_COMP_CNT: 0
	.section	.text._ZN9rocsparseL41csrmvn_lrb_medium_rows_warp_reduce_kernelILj256ELj32Eli21rocsparse_complex_numIfES2_S2_S2_EEvbT1_lPT2_S5_jNS_24const_host_device_scalarIT6_EEPKS3_PKS4_PKT3_PKT4_S8_PT5_21rocsparse_index_base_b,"axG",@progbits,_ZN9rocsparseL41csrmvn_lrb_medium_rows_warp_reduce_kernelILj256ELj32Eli21rocsparse_complex_numIfES2_S2_S2_EEvbT1_lPT2_S5_jNS_24const_host_device_scalarIT6_EEPKS3_PKS4_PKT3_PKT4_S8_PT5_21rocsparse_index_base_b,comdat
	.globl	_ZN9rocsparseL41csrmvn_lrb_medium_rows_warp_reduce_kernelILj256ELj32Eli21rocsparse_complex_numIfES2_S2_S2_EEvbT1_lPT2_S5_jNS_24const_host_device_scalarIT6_EEPKS3_PKS4_PKT3_PKT4_S8_PT5_21rocsparse_index_base_b ; -- Begin function _ZN9rocsparseL41csrmvn_lrb_medium_rows_warp_reduce_kernelILj256ELj32Eli21rocsparse_complex_numIfES2_S2_S2_EEvbT1_lPT2_S5_jNS_24const_host_device_scalarIT6_EEPKS3_PKS4_PKT3_PKT4_S8_PT5_21rocsparse_index_base_b
	.p2align	8
	.type	_ZN9rocsparseL41csrmvn_lrb_medium_rows_warp_reduce_kernelILj256ELj32Eli21rocsparse_complex_numIfES2_S2_S2_EEvbT1_lPT2_S5_jNS_24const_host_device_scalarIT6_EEPKS3_PKS4_PKT3_PKT4_S8_PT5_21rocsparse_index_base_b,@function
_ZN9rocsparseL41csrmvn_lrb_medium_rows_warp_reduce_kernelILj256ELj32Eli21rocsparse_complex_numIfES2_S2_S2_EEvbT1_lPT2_S5_jNS_24const_host_device_scalarIT6_EEPKS3_PKS4_PKT3_PKT4_S8_PT5_21rocsparse_index_base_b: ; @_ZN9rocsparseL41csrmvn_lrb_medium_rows_warp_reduce_kernelILj256ELj32Eli21rocsparse_complex_numIfES2_S2_S2_EEvbT1_lPT2_S5_jNS_24const_host_device_scalarIT6_EEPKS3_PKS4_PKT3_PKT4_S8_PT5_21rocsparse_index_base_b
; %bb.0:
	s_clause 0x2
	s_load_b64 s[6:7], s[0:1], 0x68
	s_load_b64 s[2:3], s[0:1], 0x30
	;; [unrolled: 1-line block ×3, first 2 shown]
	v_mov_b32_e32 v1, 0
	s_add_nc_u64 s[8:9], s[0:1], 48
	s_add_nc_u64 s[10:11], s[0:1], 0x58
	s_wait_kmcnt 0x0
	s_bitcmp1_b32 s7, 0
	s_cselect_b32 s3, s9, s3
	s_cselect_b32 s2, s8, s2
	;; [unrolled: 1-line block ×4, first 2 shown]
	s_clause 0x1
	flat_load_b64 v[6:7], v1, s[2:3]
	flat_load_b64 v[2:3], v1, s[4:5]
	s_wait_loadcnt_dscnt 0x101
	s_wait_xcnt 0x1
	v_cmp_neq_f32_e64 s2, 0, v6
	v_cmp_neq_f32_e64 s3, 0, v7
	s_wait_loadcnt_dscnt 0x0
	v_cmp_neq_f32_e64 s4, 1.0, v2
	v_cmp_neq_f32_e32 vcc_lo, 0, v3
	s_or_b32 s2, s2, s3
	s_or_b32 s3, s4, vcc_lo
	s_delay_alu instid0(SALU_CYCLE_1) | instskip(NEXT) | instid1(SALU_CYCLE_1)
	s_or_b32 s2, s2, s3
	s_and_saveexec_b32 s3, s2
	s_cbranch_execz .LBB52_10
; %bb.1:
	s_bfe_u32 s4, ttmp6, 0x4000c
	s_load_b64 s[2:3], s[0:1], 0x10
	s_add_co_i32 s4, s4, 1
	s_and_b32 s5, ttmp6, 15
	s_mul_i32 s4, ttmp9, s4
	s_getreg_b32 s7, hwreg(HW_REG_IB_STS2, 6, 4)
	v_lshrrev_b32_e32 v1, 5, v0
	s_add_co_i32 s5, s5, s4
	s_cmp_eq_u32 s7, 0
	s_cselect_b32 s4, ttmp9, s5
	s_delay_alu instid0(VALU_DEP_1) | instid1(SALU_CYCLE_1)
	v_lshl_or_b32 v4, s4, 3, v1
	s_delay_alu instid0(VALU_DEP_1) | instskip(SKIP_1) | instid1(VALU_DEP_1)
	v_ashrrev_i32_e32 v5, 31, v4
	s_wait_kmcnt 0x0
	v_cmp_gt_i64_e64 s2, s[2:3], v[4:5]
	s_and_b32 exec_lo, exec_lo, s2
	s_cbranch_execz .LBB52_10
; %bb.2:
	s_clause 0x1
	s_load_b128 s[8:11], s[0:1], 0x18
	s_load_b32 s2, s[0:1], 0x28
	v_and_b32_e32 v0, 31, v0
	s_mov_b32 s7, 0
	s_wait_kmcnt 0x0
	s_load_b32 s2, s[10:11], s2 offset:0x0 scale_offset
	s_wait_kmcnt 0x0
	v_add_nc_u32_e32 v1, s2, v4
	s_load_b64 s[2:3], s[0:1], 0x38
	global_load_b32 v4, v1, s[8:9] scale_offset
	s_wait_xcnt 0x0
	v_mov_b32_e32 v1, 0
	s_delay_alu instid0(VALU_DEP_1) | instskip(SKIP_3) | instid1(VALU_DEP_1)
	v_sub_nc_u64_e64 v[12:13], v[0:1], s[6:7]
	s_wait_loadcnt 0x0
	v_ashrrev_i32_e32 v5, 31, v4
	s_wait_kmcnt 0x0
	v_lshl_add_u64 v[8:9], v[4:5], 3, s[2:3]
	s_mov_b32 s3, exec_lo
	global_load_b128 v[8:11], v[8:9], off
	s_wait_loadcnt 0x0
	v_sub_nc_u64_e64 v[10:11], v[10:11], s[6:7]
	v_add_nc_u64_e32 v[12:13], v[8:9], v[12:13]
	v_dual_mov_b32 v9, v1 :: v_dual_mov_b32 v8, v1
	s_delay_alu instid0(VALU_DEP_2)
	v_cmpx_lt_i64_e64 v[12:13], v[10:11]
	s_cbranch_execz .LBB52_6
; %bb.3:
	s_clause 0x2
	s_load_b128 s[8:11], s[0:1], 0x40
	s_load_b32 s2, s[0:1], 0x0
	s_load_b64 s[4:5], s[0:1], 0x50
	v_dual_mov_b32 v9, 0 :: v_dual_mov_b32 v15, v6
	v_xor_b32_e32 v14, 0x80000000, v7
	s_delay_alu instid0(VALU_DEP_2)
	v_mov_b32_e32 v8, v9
	s_wait_kmcnt 0x0
	v_lshl_add_u64 v[16:17], v[12:13], 3, s[10:11]
	v_lshl_add_u64 v[18:19], v[12:13], 2, s[8:9]
	s_bitcmp1_b32 s2, 0
	s_cselect_b32 s8, -1, 0
	s_delay_alu instid0(VALU_DEP_2)
	v_add_nc_u64_e32 v[16:17], 4, v[16:17]
.LBB52_4:                               ; =>This Inner Loop Header: Depth=1
	global_load_b32 v1, v[18:19], off
	global_load_b64 v[20:21], v[16:17], off offset:-4
	v_add_nc_u64_e32 v[12:13], 32, v[12:13]
	s_wait_xcnt 0x0
	v_add_nc_u64_e32 v[16:17], 0x100, v[16:17]
	v_add_nc_u64_e32 v[18:19], 0x80, v[18:19]
	s_delay_alu instid0(VALU_DEP_3)
	v_cmp_ge_i64_e64 s2, v[12:13], v[10:11]
	s_or_b32 s7, s2, s7
	s_wait_loadcnt 0x1
	v_subrev_nc_u32_e32 v1, s6, v1
	s_wait_loadcnt 0x0
	v_cndmask_b32_e64 v24, v21, -v21, s8
	global_load_b64 v[22:23], v1, s[4:5] scale_offset
	v_pk_mul_f32 v[24:25], v[24:25], v[14:15] op_sel_hi:[0,1]
	s_delay_alu instid0(VALU_DEP_1) | instskip(SKIP_1) | instid1(VALU_DEP_1)
	v_pk_fma_f32 v[20:21], v[6:7], v[20:21], v[24:25] op_sel_hi:[1,0,1]
	s_wait_loadcnt 0x0
	v_pk_fma_f32 v[8:9], v[20:21], v[22:23], v[8:9] op_sel_hi:[1,0,1]
	s_delay_alu instid0(VALU_DEP_1)
	v_pk_fma_f32 v[8:9], v[20:21], v[22:23], v[8:9] op_sel:[1,1,0] op_sel_hi:[0,1,1] neg_lo:[1,0,0]
	s_and_not1_b32 exec_lo, exec_lo, s7
	s_cbranch_execnz .LBB52_4
; %bb.5:
	s_or_b32 exec_lo, exec_lo, s7
.LBB52_6:
	s_delay_alu instid0(SALU_CYCLE_1) | instskip(SKIP_2) | instid1(VALU_DEP_1)
	s_or_b32 exec_lo, exec_lo, s3
	v_mbcnt_lo_u32_b32 v1, -1, 0
	s_load_b64 s[2:3], s[0:1], 0x60
	v_xor_b32_e32 v10, 8, v1
	v_xor_b32_e32 v6, 16, v1
	s_wait_xcnt 0x0
	s_delay_alu instid0(VALU_DEP_1) | instskip(NEXT) | instid1(VALU_DEP_1)
	v_cmp_gt_i32_e64 s0, 32, v6
	v_cndmask_b32_e64 v6, v1, v6, s0
	v_cmp_gt_i32_e64 s0, 32, v10
	s_delay_alu instid0(VALU_DEP_2) | instskip(NEXT) | instid1(VALU_DEP_2)
	v_lshlrev_b32_e32 v7, 2, v6
	v_cndmask_b32_e64 v10, v1, v10, s0
	ds_bpermute_b32 v6, v7, v8
	ds_bpermute_b32 v7, v7, v9
	v_lshlrev_b32_e32 v10, 2, v10
	s_wait_dscnt 0x0
	v_pk_add_f32 v[6:7], v[8:9], v[6:7]
	ds_bpermute_b32 v8, v10, v6
	ds_bpermute_b32 v9, v10, v7
	v_xor_b32_e32 v10, 4, v1
	s_delay_alu instid0(VALU_DEP_1) | instskip(NEXT) | instid1(VALU_DEP_1)
	v_cmp_gt_i32_e64 s0, 32, v10
	v_cndmask_b32_e64 v10, v1, v10, s0
	s_delay_alu instid0(VALU_DEP_1)
	v_lshlrev_b32_e32 v10, 2, v10
	s_wait_dscnt 0x0
	v_pk_add_f32 v[6:7], v[6:7], v[8:9]
	ds_bpermute_b32 v8, v10, v6
	ds_bpermute_b32 v9, v10, v7
	v_xor_b32_e32 v10, 2, v1
	s_delay_alu instid0(VALU_DEP_1) | instskip(NEXT) | instid1(VALU_DEP_1)
	v_cmp_gt_i32_e64 s0, 32, v10
	v_cndmask_b32_e64 v10, v1, v10, s0
	s_delay_alu instid0(VALU_DEP_1)
	v_lshlrev_b32_e32 v10, 2, v10
	s_wait_dscnt 0x0
	v_pk_add_f32 v[6:7], v[6:7], v[8:9]
	ds_bpermute_b32 v8, v10, v6
	ds_bpermute_b32 v9, v10, v7
	v_xor_b32_e32 v10, 1, v1
	s_delay_alu instid0(VALU_DEP_1) | instskip(NEXT) | instid1(VALU_DEP_1)
	v_cmp_gt_i32_e64 s0, 32, v10
	v_cndmask_b32_e64 v1, v1, v10, s0
	v_cmp_eq_u32_e64 s0, 31, v0
	s_delay_alu instid0(VALU_DEP_2)
	v_lshlrev_b32_e32 v1, 2, v1
	s_wait_dscnt 0x0
	v_pk_add_f32 v[6:7], v[6:7], v[8:9]
	ds_bpermute_b32 v8, v1, v6
	ds_bpermute_b32 v9, v1, v7
	s_and_b32 exec_lo, exec_lo, s0
	s_cbranch_execz .LBB52_10
; %bb.7:
	v_cmp_neq_f32_e64 s0, 0, v2
	s_wait_dscnt 0x0
	v_pk_add_f32 v[6:7], v[6:7], v[8:9]
	s_wait_kmcnt 0x0
	v_lshl_add_u64 v[0:1], v[4:5], 3, s[2:3]
	s_or_b32 s1, s0, vcc_lo
	s_delay_alu instid0(SALU_CYCLE_1)
	s_and_saveexec_b32 s0, s1
	s_cbranch_execz .LBB52_9
; %bb.8:
	global_load_b64 v[4:5], v[0:1], off
	v_xor_b32_e32 v8, 0x80000000, v3
	v_mov_b32_e32 v9, v2
	s_wait_loadcnt 0x0
	v_pk_fma_f32 v[6:7], v[2:3], v[4:5], v[6:7] op_sel_hi:[1,0,1]
	s_delay_alu instid0(VALU_DEP_1)
	v_pk_fma_f32 v[6:7], v[8:9], v[4:5], v[6:7] op_sel:[0,1,0]
.LBB52_9:
	s_or_b32 exec_lo, exec_lo, s0
	global_store_b64 v[0:1], v[6:7], off
.LBB52_10:
	s_endpgm
	.section	.rodata,"a",@progbits
	.p2align	6, 0x0
	.amdhsa_kernel _ZN9rocsparseL41csrmvn_lrb_medium_rows_warp_reduce_kernelILj256ELj32Eli21rocsparse_complex_numIfES2_S2_S2_EEvbT1_lPT2_S5_jNS_24const_host_device_scalarIT6_EEPKS3_PKS4_PKT3_PKT4_S8_PT5_21rocsparse_index_base_b
		.amdhsa_group_segment_fixed_size 0
		.amdhsa_private_segment_fixed_size 0
		.amdhsa_kernarg_size 112
		.amdhsa_user_sgpr_count 2
		.amdhsa_user_sgpr_dispatch_ptr 0
		.amdhsa_user_sgpr_queue_ptr 0
		.amdhsa_user_sgpr_kernarg_segment_ptr 1
		.amdhsa_user_sgpr_dispatch_id 0
		.amdhsa_user_sgpr_kernarg_preload_length 0
		.amdhsa_user_sgpr_kernarg_preload_offset 0
		.amdhsa_user_sgpr_private_segment_size 0
		.amdhsa_wavefront_size32 1
		.amdhsa_uses_dynamic_stack 0
		.amdhsa_enable_private_segment 0
		.amdhsa_system_sgpr_workgroup_id_x 1
		.amdhsa_system_sgpr_workgroup_id_y 0
		.amdhsa_system_sgpr_workgroup_id_z 0
		.amdhsa_system_sgpr_workgroup_info 0
		.amdhsa_system_vgpr_workitem_id 0
		.amdhsa_next_free_vgpr 26
		.amdhsa_next_free_sgpr 12
		.amdhsa_named_barrier_count 0
		.amdhsa_reserve_vcc 1
		.amdhsa_float_round_mode_32 0
		.amdhsa_float_round_mode_16_64 0
		.amdhsa_float_denorm_mode_32 3
		.amdhsa_float_denorm_mode_16_64 3
		.amdhsa_fp16_overflow 0
		.amdhsa_memory_ordered 1
		.amdhsa_forward_progress 1
		.amdhsa_inst_pref_size 9
		.amdhsa_round_robin_scheduling 0
		.amdhsa_exception_fp_ieee_invalid_op 0
		.amdhsa_exception_fp_denorm_src 0
		.amdhsa_exception_fp_ieee_div_zero 0
		.amdhsa_exception_fp_ieee_overflow 0
		.amdhsa_exception_fp_ieee_underflow 0
		.amdhsa_exception_fp_ieee_inexact 0
		.amdhsa_exception_int_div_zero 0
	.end_amdhsa_kernel
	.section	.text._ZN9rocsparseL41csrmvn_lrb_medium_rows_warp_reduce_kernelILj256ELj32Eli21rocsparse_complex_numIfES2_S2_S2_EEvbT1_lPT2_S5_jNS_24const_host_device_scalarIT6_EEPKS3_PKS4_PKT3_PKT4_S8_PT5_21rocsparse_index_base_b,"axG",@progbits,_ZN9rocsparseL41csrmvn_lrb_medium_rows_warp_reduce_kernelILj256ELj32Eli21rocsparse_complex_numIfES2_S2_S2_EEvbT1_lPT2_S5_jNS_24const_host_device_scalarIT6_EEPKS3_PKS4_PKT3_PKT4_S8_PT5_21rocsparse_index_base_b,comdat
.Lfunc_end52:
	.size	_ZN9rocsparseL41csrmvn_lrb_medium_rows_warp_reduce_kernelILj256ELj32Eli21rocsparse_complex_numIfES2_S2_S2_EEvbT1_lPT2_S5_jNS_24const_host_device_scalarIT6_EEPKS3_PKS4_PKT3_PKT4_S8_PT5_21rocsparse_index_base_b, .Lfunc_end52-_ZN9rocsparseL41csrmvn_lrb_medium_rows_warp_reduce_kernelILj256ELj32Eli21rocsparse_complex_numIfES2_S2_S2_EEvbT1_lPT2_S5_jNS_24const_host_device_scalarIT6_EEPKS3_PKS4_PKT3_PKT4_S8_PT5_21rocsparse_index_base_b
                                        ; -- End function
	.set _ZN9rocsparseL41csrmvn_lrb_medium_rows_warp_reduce_kernelILj256ELj32Eli21rocsparse_complex_numIfES2_S2_S2_EEvbT1_lPT2_S5_jNS_24const_host_device_scalarIT6_EEPKS3_PKS4_PKT3_PKT4_S8_PT5_21rocsparse_index_base_b.num_vgpr, 26
	.set _ZN9rocsparseL41csrmvn_lrb_medium_rows_warp_reduce_kernelILj256ELj32Eli21rocsparse_complex_numIfES2_S2_S2_EEvbT1_lPT2_S5_jNS_24const_host_device_scalarIT6_EEPKS3_PKS4_PKT3_PKT4_S8_PT5_21rocsparse_index_base_b.num_agpr, 0
	.set _ZN9rocsparseL41csrmvn_lrb_medium_rows_warp_reduce_kernelILj256ELj32Eli21rocsparse_complex_numIfES2_S2_S2_EEvbT1_lPT2_S5_jNS_24const_host_device_scalarIT6_EEPKS3_PKS4_PKT3_PKT4_S8_PT5_21rocsparse_index_base_b.numbered_sgpr, 12
	.set _ZN9rocsparseL41csrmvn_lrb_medium_rows_warp_reduce_kernelILj256ELj32Eli21rocsparse_complex_numIfES2_S2_S2_EEvbT1_lPT2_S5_jNS_24const_host_device_scalarIT6_EEPKS3_PKS4_PKT3_PKT4_S8_PT5_21rocsparse_index_base_b.num_named_barrier, 0
	.set _ZN9rocsparseL41csrmvn_lrb_medium_rows_warp_reduce_kernelILj256ELj32Eli21rocsparse_complex_numIfES2_S2_S2_EEvbT1_lPT2_S5_jNS_24const_host_device_scalarIT6_EEPKS3_PKS4_PKT3_PKT4_S8_PT5_21rocsparse_index_base_b.private_seg_size, 0
	.set _ZN9rocsparseL41csrmvn_lrb_medium_rows_warp_reduce_kernelILj256ELj32Eli21rocsparse_complex_numIfES2_S2_S2_EEvbT1_lPT2_S5_jNS_24const_host_device_scalarIT6_EEPKS3_PKS4_PKT3_PKT4_S8_PT5_21rocsparse_index_base_b.uses_vcc, 1
	.set _ZN9rocsparseL41csrmvn_lrb_medium_rows_warp_reduce_kernelILj256ELj32Eli21rocsparse_complex_numIfES2_S2_S2_EEvbT1_lPT2_S5_jNS_24const_host_device_scalarIT6_EEPKS3_PKS4_PKT3_PKT4_S8_PT5_21rocsparse_index_base_b.uses_flat_scratch, 1
	.set _ZN9rocsparseL41csrmvn_lrb_medium_rows_warp_reduce_kernelILj256ELj32Eli21rocsparse_complex_numIfES2_S2_S2_EEvbT1_lPT2_S5_jNS_24const_host_device_scalarIT6_EEPKS3_PKS4_PKT3_PKT4_S8_PT5_21rocsparse_index_base_b.has_dyn_sized_stack, 0
	.set _ZN9rocsparseL41csrmvn_lrb_medium_rows_warp_reduce_kernelILj256ELj32Eli21rocsparse_complex_numIfES2_S2_S2_EEvbT1_lPT2_S5_jNS_24const_host_device_scalarIT6_EEPKS3_PKS4_PKT3_PKT4_S8_PT5_21rocsparse_index_base_b.has_recursion, 0
	.set _ZN9rocsparseL41csrmvn_lrb_medium_rows_warp_reduce_kernelILj256ELj32Eli21rocsparse_complex_numIfES2_S2_S2_EEvbT1_lPT2_S5_jNS_24const_host_device_scalarIT6_EEPKS3_PKS4_PKT3_PKT4_S8_PT5_21rocsparse_index_base_b.has_indirect_call, 0
	.section	.AMDGPU.csdata,"",@progbits
; Kernel info:
; codeLenInByte = 1096
; TotalNumSgprs: 14
; NumVgprs: 26
; ScratchSize: 0
; MemoryBound: 0
; FloatMode: 240
; IeeeMode: 1
; LDSByteSize: 0 bytes/workgroup (compile time only)
; SGPRBlocks: 0
; VGPRBlocks: 1
; NumSGPRsForWavesPerEU: 14
; NumVGPRsForWavesPerEU: 26
; NamedBarCnt: 0
; Occupancy: 16
; WaveLimiterHint : 1
; COMPUTE_PGM_RSRC2:SCRATCH_EN: 0
; COMPUTE_PGM_RSRC2:USER_SGPR: 2
; COMPUTE_PGM_RSRC2:TRAP_HANDLER: 0
; COMPUTE_PGM_RSRC2:TGID_X_EN: 1
; COMPUTE_PGM_RSRC2:TGID_Y_EN: 0
; COMPUTE_PGM_RSRC2:TGID_Z_EN: 0
; COMPUTE_PGM_RSRC2:TIDIG_COMP_CNT: 0
	.section	.text._ZN9rocsparseL41csrmvn_lrb_medium_rows_warp_reduce_kernelILj256ELj64Eli21rocsparse_complex_numIfES2_S2_S2_EEvbT1_lPT2_S5_jNS_24const_host_device_scalarIT6_EEPKS3_PKS4_PKT3_PKT4_S8_PT5_21rocsparse_index_base_b,"axG",@progbits,_ZN9rocsparseL41csrmvn_lrb_medium_rows_warp_reduce_kernelILj256ELj64Eli21rocsparse_complex_numIfES2_S2_S2_EEvbT1_lPT2_S5_jNS_24const_host_device_scalarIT6_EEPKS3_PKS4_PKT3_PKT4_S8_PT5_21rocsparse_index_base_b,comdat
	.globl	_ZN9rocsparseL41csrmvn_lrb_medium_rows_warp_reduce_kernelILj256ELj64Eli21rocsparse_complex_numIfES2_S2_S2_EEvbT1_lPT2_S5_jNS_24const_host_device_scalarIT6_EEPKS3_PKS4_PKT3_PKT4_S8_PT5_21rocsparse_index_base_b ; -- Begin function _ZN9rocsparseL41csrmvn_lrb_medium_rows_warp_reduce_kernelILj256ELj64Eli21rocsparse_complex_numIfES2_S2_S2_EEvbT1_lPT2_S5_jNS_24const_host_device_scalarIT6_EEPKS3_PKS4_PKT3_PKT4_S8_PT5_21rocsparse_index_base_b
	.p2align	8
	.type	_ZN9rocsparseL41csrmvn_lrb_medium_rows_warp_reduce_kernelILj256ELj64Eli21rocsparse_complex_numIfES2_S2_S2_EEvbT1_lPT2_S5_jNS_24const_host_device_scalarIT6_EEPKS3_PKS4_PKT3_PKT4_S8_PT5_21rocsparse_index_base_b,@function
_ZN9rocsparseL41csrmvn_lrb_medium_rows_warp_reduce_kernelILj256ELj64Eli21rocsparse_complex_numIfES2_S2_S2_EEvbT1_lPT2_S5_jNS_24const_host_device_scalarIT6_EEPKS3_PKS4_PKT3_PKT4_S8_PT5_21rocsparse_index_base_b: ; @_ZN9rocsparseL41csrmvn_lrb_medium_rows_warp_reduce_kernelILj256ELj64Eli21rocsparse_complex_numIfES2_S2_S2_EEvbT1_lPT2_S5_jNS_24const_host_device_scalarIT6_EEPKS3_PKS4_PKT3_PKT4_S8_PT5_21rocsparse_index_base_b
; %bb.0:
	s_clause 0x2
	s_load_b64 s[6:7], s[0:1], 0x68
	s_load_b64 s[2:3], s[0:1], 0x30
	;; [unrolled: 1-line block ×3, first 2 shown]
	v_mov_b32_e32 v1, 0
	s_add_nc_u64 s[8:9], s[0:1], 48
	s_add_nc_u64 s[10:11], s[0:1], 0x58
	s_wait_kmcnt 0x0
	s_bitcmp1_b32 s7, 0
	s_cselect_b32 s3, s9, s3
	s_cselect_b32 s2, s8, s2
	;; [unrolled: 1-line block ×4, first 2 shown]
	s_clause 0x1
	flat_load_b64 v[6:7], v1, s[2:3]
	flat_load_b64 v[2:3], v1, s[4:5]
	s_wait_loadcnt_dscnt 0x101
	s_wait_xcnt 0x1
	v_cmp_neq_f32_e64 s2, 0, v6
	v_cmp_neq_f32_e64 s3, 0, v7
	s_wait_loadcnt_dscnt 0x0
	v_cmp_neq_f32_e64 s4, 1.0, v2
	v_cmp_neq_f32_e32 vcc_lo, 0, v3
	s_or_b32 s2, s2, s3
	s_or_b32 s3, s4, vcc_lo
	s_delay_alu instid0(SALU_CYCLE_1) | instskip(NEXT) | instid1(SALU_CYCLE_1)
	s_or_b32 s2, s2, s3
	s_and_saveexec_b32 s3, s2
	s_cbranch_execz .LBB53_10
; %bb.1:
	s_bfe_u32 s4, ttmp6, 0x4000c
	s_load_b64 s[2:3], s[0:1], 0x10
	s_add_co_i32 s4, s4, 1
	s_and_b32 s5, ttmp6, 15
	s_mul_i32 s4, ttmp9, s4
	s_getreg_b32 s7, hwreg(HW_REG_IB_STS2, 6, 4)
	v_lshrrev_b32_e32 v1, 6, v0
	s_add_co_i32 s5, s5, s4
	s_cmp_eq_u32 s7, 0
	s_cselect_b32 s4, ttmp9, s5
	s_delay_alu instid0(VALU_DEP_1) | instid1(SALU_CYCLE_1)
	v_lshl_or_b32 v4, s4, 2, v1
	s_delay_alu instid0(VALU_DEP_1) | instskip(SKIP_1) | instid1(VALU_DEP_1)
	v_ashrrev_i32_e32 v5, 31, v4
	s_wait_kmcnt 0x0
	v_cmp_gt_i64_e64 s2, s[2:3], v[4:5]
	s_and_b32 exec_lo, exec_lo, s2
	s_cbranch_execz .LBB53_10
; %bb.2:
	s_clause 0x1
	s_load_b128 s[8:11], s[0:1], 0x18
	s_load_b32 s2, s[0:1], 0x28
	v_and_b32_e32 v0, 63, v0
	s_mov_b32 s7, 0
	s_wait_kmcnt 0x0
	s_load_b32 s2, s[10:11], s2 offset:0x0 scale_offset
	s_wait_kmcnt 0x0
	v_add_nc_u32_e32 v1, s2, v4
	s_load_b64 s[2:3], s[0:1], 0x38
	global_load_b32 v4, v1, s[8:9] scale_offset
	s_wait_xcnt 0x0
	v_mov_b32_e32 v1, 0
	s_delay_alu instid0(VALU_DEP_1) | instskip(SKIP_3) | instid1(VALU_DEP_1)
	v_sub_nc_u64_e64 v[12:13], v[0:1], s[6:7]
	s_wait_loadcnt 0x0
	v_ashrrev_i32_e32 v5, 31, v4
	s_wait_kmcnt 0x0
	v_lshl_add_u64 v[8:9], v[4:5], 3, s[2:3]
	s_mov_b32 s3, exec_lo
	global_load_b128 v[8:11], v[8:9], off
	s_wait_loadcnt 0x0
	v_sub_nc_u64_e64 v[10:11], v[10:11], s[6:7]
	v_add_nc_u64_e32 v[12:13], v[8:9], v[12:13]
	v_dual_mov_b32 v9, v1 :: v_dual_mov_b32 v8, v1
	s_delay_alu instid0(VALU_DEP_2)
	v_cmpx_lt_i64_e64 v[12:13], v[10:11]
	s_cbranch_execz .LBB53_6
; %bb.3:
	s_clause 0x2
	s_load_b128 s[8:11], s[0:1], 0x40
	s_load_b32 s2, s[0:1], 0x0
	s_load_b64 s[4:5], s[0:1], 0x50
	v_dual_mov_b32 v8, 0 :: v_dual_mov_b32 v15, v6
	v_xor_b32_e32 v14, 0x80000000, v7
	s_delay_alu instid0(VALU_DEP_2)
	v_mov_b32_e32 v9, v8
	s_wait_kmcnt 0x0
	v_lshl_add_u64 v[16:17], v[12:13], 3, s[10:11]
	v_lshl_add_u64 v[18:19], v[12:13], 2, s[8:9]
	s_bitcmp1_b32 s2, 0
	s_cselect_b32 s8, -1, 0
	s_delay_alu instid0(VALU_DEP_2)
	v_add_nc_u64_e32 v[16:17], 4, v[16:17]
.LBB53_4:                               ; =>This Inner Loop Header: Depth=1
	global_load_b32 v1, v[18:19], off
	global_load_b64 v[20:21], v[16:17], off offset:-4
	v_add_nc_u64_e32 v[12:13], 64, v[12:13]
	s_wait_xcnt 0x0
	v_add_nc_u64_e32 v[16:17], 0x200, v[16:17]
	v_add_nc_u64_e32 v[18:19], 0x100, v[18:19]
	s_delay_alu instid0(VALU_DEP_3)
	v_cmp_ge_i64_e64 s2, v[12:13], v[10:11]
	s_or_b32 s7, s2, s7
	s_wait_loadcnt 0x1
	v_subrev_nc_u32_e32 v1, s6, v1
	s_wait_loadcnt 0x0
	v_cndmask_b32_e64 v24, v21, -v21, s8
	global_load_b64 v[22:23], v1, s[4:5] scale_offset
	v_pk_mul_f32 v[24:25], v[24:25], v[14:15] op_sel_hi:[0,1]
	s_delay_alu instid0(VALU_DEP_1) | instskip(SKIP_1) | instid1(VALU_DEP_1)
	v_pk_fma_f32 v[20:21], v[6:7], v[20:21], v[24:25] op_sel_hi:[1,0,1]
	s_wait_loadcnt 0x0
	v_pk_fma_f32 v[8:9], v[20:21], v[22:23], v[8:9] op_sel_hi:[1,0,1]
	s_delay_alu instid0(VALU_DEP_1)
	v_pk_fma_f32 v[8:9], v[20:21], v[22:23], v[8:9] op_sel:[1,1,0] op_sel_hi:[0,1,1] neg_lo:[1,0,0]
	s_and_not1_b32 exec_lo, exec_lo, s7
	s_cbranch_execnz .LBB53_4
; %bb.5:
	s_or_b32 exec_lo, exec_lo, s7
.LBB53_6:
	s_delay_alu instid0(SALU_CYCLE_1) | instskip(SKIP_2) | instid1(VALU_DEP_1)
	s_or_b32 exec_lo, exec_lo, s3
	v_mbcnt_lo_u32_b32 v1, -1, 0
	s_load_b64 s[2:3], s[0:1], 0x60
	v_xor_b32_e32 v10, 16, v1
	v_or_b32_e32 v6, 32, v1
	s_wait_xcnt 0x0
	s_delay_alu instid0(VALU_DEP_1) | instskip(NEXT) | instid1(VALU_DEP_1)
	v_cmp_gt_i32_e64 s0, 32, v6
	v_cndmask_b32_e64 v6, v1, v6, s0
	v_cmp_gt_i32_e64 s0, 32, v10
	s_delay_alu instid0(VALU_DEP_2) | instskip(NEXT) | instid1(VALU_DEP_2)
	v_lshlrev_b32_e32 v7, 2, v6
	v_cndmask_b32_e64 v10, v1, v10, s0
	ds_bpermute_b32 v6, v7, v8
	ds_bpermute_b32 v7, v7, v9
	v_lshlrev_b32_e32 v10, 2, v10
	s_wait_dscnt 0x0
	v_pk_add_f32 v[6:7], v[8:9], v[6:7]
	ds_bpermute_b32 v8, v10, v6
	ds_bpermute_b32 v9, v10, v7
	v_xor_b32_e32 v10, 8, v1
	s_delay_alu instid0(VALU_DEP_1) | instskip(NEXT) | instid1(VALU_DEP_1)
	v_cmp_gt_i32_e64 s0, 32, v10
	v_cndmask_b32_e64 v10, v1, v10, s0
	s_delay_alu instid0(VALU_DEP_1)
	v_lshlrev_b32_e32 v10, 2, v10
	s_wait_dscnt 0x0
	v_pk_add_f32 v[6:7], v[6:7], v[8:9]
	ds_bpermute_b32 v8, v10, v6
	ds_bpermute_b32 v9, v10, v7
	v_xor_b32_e32 v10, 4, v1
	s_delay_alu instid0(VALU_DEP_1) | instskip(NEXT) | instid1(VALU_DEP_1)
	v_cmp_gt_i32_e64 s0, 32, v10
	v_cndmask_b32_e64 v10, v1, v10, s0
	s_delay_alu instid0(VALU_DEP_1)
	;; [unrolled: 10-line block ×3, first 2 shown]
	v_lshlrev_b32_e32 v10, 2, v10
	s_wait_dscnt 0x0
	v_pk_add_f32 v[6:7], v[6:7], v[8:9]
	ds_bpermute_b32 v8, v10, v6
	ds_bpermute_b32 v9, v10, v7
	v_xor_b32_e32 v10, 1, v1
	s_delay_alu instid0(VALU_DEP_1) | instskip(NEXT) | instid1(VALU_DEP_1)
	v_cmp_gt_i32_e64 s0, 32, v10
	v_cndmask_b32_e64 v1, v1, v10, s0
	v_cmp_eq_u32_e64 s0, 63, v0
	s_delay_alu instid0(VALU_DEP_2)
	v_lshlrev_b32_e32 v1, 2, v1
	s_wait_dscnt 0x0
	v_pk_add_f32 v[6:7], v[6:7], v[8:9]
	ds_bpermute_b32 v8, v1, v6
	ds_bpermute_b32 v9, v1, v7
	s_and_b32 exec_lo, exec_lo, s0
	s_cbranch_execz .LBB53_10
; %bb.7:
	v_cmp_neq_f32_e64 s0, 0, v2
	s_wait_dscnt 0x0
	v_pk_add_f32 v[6:7], v[6:7], v[8:9]
	s_wait_kmcnt 0x0
	v_lshl_add_u64 v[0:1], v[4:5], 3, s[2:3]
	s_or_b32 s1, s0, vcc_lo
	s_delay_alu instid0(SALU_CYCLE_1)
	s_and_saveexec_b32 s0, s1
	s_cbranch_execz .LBB53_9
; %bb.8:
	global_load_b64 v[4:5], v[0:1], off
	v_xor_b32_e32 v8, 0x80000000, v3
	v_mov_b32_e32 v9, v2
	s_wait_loadcnt 0x0
	v_pk_fma_f32 v[6:7], v[2:3], v[4:5], v[6:7] op_sel_hi:[1,0,1]
	s_delay_alu instid0(VALU_DEP_1)
	v_pk_fma_f32 v[6:7], v[8:9], v[4:5], v[6:7] op_sel:[0,1,0]
.LBB53_9:
	s_or_b32 exec_lo, exec_lo, s0
	global_store_b64 v[0:1], v[6:7], off
.LBB53_10:
	s_endpgm
	.section	.rodata,"a",@progbits
	.p2align	6, 0x0
	.amdhsa_kernel _ZN9rocsparseL41csrmvn_lrb_medium_rows_warp_reduce_kernelILj256ELj64Eli21rocsparse_complex_numIfES2_S2_S2_EEvbT1_lPT2_S5_jNS_24const_host_device_scalarIT6_EEPKS3_PKS4_PKT3_PKT4_S8_PT5_21rocsparse_index_base_b
		.amdhsa_group_segment_fixed_size 0
		.amdhsa_private_segment_fixed_size 0
		.amdhsa_kernarg_size 112
		.amdhsa_user_sgpr_count 2
		.amdhsa_user_sgpr_dispatch_ptr 0
		.amdhsa_user_sgpr_queue_ptr 0
		.amdhsa_user_sgpr_kernarg_segment_ptr 1
		.amdhsa_user_sgpr_dispatch_id 0
		.amdhsa_user_sgpr_kernarg_preload_length 0
		.amdhsa_user_sgpr_kernarg_preload_offset 0
		.amdhsa_user_sgpr_private_segment_size 0
		.amdhsa_wavefront_size32 1
		.amdhsa_uses_dynamic_stack 0
		.amdhsa_enable_private_segment 0
		.amdhsa_system_sgpr_workgroup_id_x 1
		.amdhsa_system_sgpr_workgroup_id_y 0
		.amdhsa_system_sgpr_workgroup_id_z 0
		.amdhsa_system_sgpr_workgroup_info 0
		.amdhsa_system_vgpr_workitem_id 0
		.amdhsa_next_free_vgpr 26
		.amdhsa_next_free_sgpr 12
		.amdhsa_named_barrier_count 0
		.amdhsa_reserve_vcc 1
		.amdhsa_float_round_mode_32 0
		.amdhsa_float_round_mode_16_64 0
		.amdhsa_float_denorm_mode_32 3
		.amdhsa_float_denorm_mode_16_64 3
		.amdhsa_fp16_overflow 0
		.amdhsa_memory_ordered 1
		.amdhsa_forward_progress 1
		.amdhsa_inst_pref_size 9
		.amdhsa_round_robin_scheduling 0
		.amdhsa_exception_fp_ieee_invalid_op 0
		.amdhsa_exception_fp_denorm_src 0
		.amdhsa_exception_fp_ieee_div_zero 0
		.amdhsa_exception_fp_ieee_overflow 0
		.amdhsa_exception_fp_ieee_underflow 0
		.amdhsa_exception_fp_ieee_inexact 0
		.amdhsa_exception_int_div_zero 0
	.end_amdhsa_kernel
	.section	.text._ZN9rocsparseL41csrmvn_lrb_medium_rows_warp_reduce_kernelILj256ELj64Eli21rocsparse_complex_numIfES2_S2_S2_EEvbT1_lPT2_S5_jNS_24const_host_device_scalarIT6_EEPKS3_PKS4_PKT3_PKT4_S8_PT5_21rocsparse_index_base_b,"axG",@progbits,_ZN9rocsparseL41csrmvn_lrb_medium_rows_warp_reduce_kernelILj256ELj64Eli21rocsparse_complex_numIfES2_S2_S2_EEvbT1_lPT2_S5_jNS_24const_host_device_scalarIT6_EEPKS3_PKS4_PKT3_PKT4_S8_PT5_21rocsparse_index_base_b,comdat
.Lfunc_end53:
	.size	_ZN9rocsparseL41csrmvn_lrb_medium_rows_warp_reduce_kernelILj256ELj64Eli21rocsparse_complex_numIfES2_S2_S2_EEvbT1_lPT2_S5_jNS_24const_host_device_scalarIT6_EEPKS3_PKS4_PKT3_PKT4_S8_PT5_21rocsparse_index_base_b, .Lfunc_end53-_ZN9rocsparseL41csrmvn_lrb_medium_rows_warp_reduce_kernelILj256ELj64Eli21rocsparse_complex_numIfES2_S2_S2_EEvbT1_lPT2_S5_jNS_24const_host_device_scalarIT6_EEPKS3_PKS4_PKT3_PKT4_S8_PT5_21rocsparse_index_base_b
                                        ; -- End function
	.set _ZN9rocsparseL41csrmvn_lrb_medium_rows_warp_reduce_kernelILj256ELj64Eli21rocsparse_complex_numIfES2_S2_S2_EEvbT1_lPT2_S5_jNS_24const_host_device_scalarIT6_EEPKS3_PKS4_PKT3_PKT4_S8_PT5_21rocsparse_index_base_b.num_vgpr, 26
	.set _ZN9rocsparseL41csrmvn_lrb_medium_rows_warp_reduce_kernelILj256ELj64Eli21rocsparse_complex_numIfES2_S2_S2_EEvbT1_lPT2_S5_jNS_24const_host_device_scalarIT6_EEPKS3_PKS4_PKT3_PKT4_S8_PT5_21rocsparse_index_base_b.num_agpr, 0
	.set _ZN9rocsparseL41csrmvn_lrb_medium_rows_warp_reduce_kernelILj256ELj64Eli21rocsparse_complex_numIfES2_S2_S2_EEvbT1_lPT2_S5_jNS_24const_host_device_scalarIT6_EEPKS3_PKS4_PKT3_PKT4_S8_PT5_21rocsparse_index_base_b.numbered_sgpr, 12
	.set _ZN9rocsparseL41csrmvn_lrb_medium_rows_warp_reduce_kernelILj256ELj64Eli21rocsparse_complex_numIfES2_S2_S2_EEvbT1_lPT2_S5_jNS_24const_host_device_scalarIT6_EEPKS3_PKS4_PKT3_PKT4_S8_PT5_21rocsparse_index_base_b.num_named_barrier, 0
	.set _ZN9rocsparseL41csrmvn_lrb_medium_rows_warp_reduce_kernelILj256ELj64Eli21rocsparse_complex_numIfES2_S2_S2_EEvbT1_lPT2_S5_jNS_24const_host_device_scalarIT6_EEPKS3_PKS4_PKT3_PKT4_S8_PT5_21rocsparse_index_base_b.private_seg_size, 0
	.set _ZN9rocsparseL41csrmvn_lrb_medium_rows_warp_reduce_kernelILj256ELj64Eli21rocsparse_complex_numIfES2_S2_S2_EEvbT1_lPT2_S5_jNS_24const_host_device_scalarIT6_EEPKS3_PKS4_PKT3_PKT4_S8_PT5_21rocsparse_index_base_b.uses_vcc, 1
	.set _ZN9rocsparseL41csrmvn_lrb_medium_rows_warp_reduce_kernelILj256ELj64Eli21rocsparse_complex_numIfES2_S2_S2_EEvbT1_lPT2_S5_jNS_24const_host_device_scalarIT6_EEPKS3_PKS4_PKT3_PKT4_S8_PT5_21rocsparse_index_base_b.uses_flat_scratch, 1
	.set _ZN9rocsparseL41csrmvn_lrb_medium_rows_warp_reduce_kernelILj256ELj64Eli21rocsparse_complex_numIfES2_S2_S2_EEvbT1_lPT2_S5_jNS_24const_host_device_scalarIT6_EEPKS3_PKS4_PKT3_PKT4_S8_PT5_21rocsparse_index_base_b.has_dyn_sized_stack, 0
	.set _ZN9rocsparseL41csrmvn_lrb_medium_rows_warp_reduce_kernelILj256ELj64Eli21rocsparse_complex_numIfES2_S2_S2_EEvbT1_lPT2_S5_jNS_24const_host_device_scalarIT6_EEPKS3_PKS4_PKT3_PKT4_S8_PT5_21rocsparse_index_base_b.has_recursion, 0
	.set _ZN9rocsparseL41csrmvn_lrb_medium_rows_warp_reduce_kernelILj256ELj64Eli21rocsparse_complex_numIfES2_S2_S2_EEvbT1_lPT2_S5_jNS_24const_host_device_scalarIT6_EEPKS3_PKS4_PKT3_PKT4_S8_PT5_21rocsparse_index_base_b.has_indirect_call, 0
	.section	.AMDGPU.csdata,"",@progbits
; Kernel info:
; codeLenInByte = 1152
; TotalNumSgprs: 14
; NumVgprs: 26
; ScratchSize: 0
; MemoryBound: 0
; FloatMode: 240
; IeeeMode: 1
; LDSByteSize: 0 bytes/workgroup (compile time only)
; SGPRBlocks: 0
; VGPRBlocks: 1
; NumSGPRsForWavesPerEU: 14
; NumVGPRsForWavesPerEU: 26
; NamedBarCnt: 0
; Occupancy: 16
; WaveLimiterHint : 1
; COMPUTE_PGM_RSRC2:SCRATCH_EN: 0
; COMPUTE_PGM_RSRC2:USER_SGPR: 2
; COMPUTE_PGM_RSRC2:TRAP_HANDLER: 0
; COMPUTE_PGM_RSRC2:TGID_X_EN: 1
; COMPUTE_PGM_RSRC2:TGID_Y_EN: 0
; COMPUTE_PGM_RSRC2:TGID_Z_EN: 0
; COMPUTE_PGM_RSRC2:TIDIG_COMP_CNT: 0
	.section	.text._ZN9rocsparseL29csrmvn_lrb_medium_rows_kernelILj256Eli21rocsparse_complex_numIfES2_S2_S2_EEvbT0_PT1_S5_jNS_24const_host_device_scalarIT5_EEPKS3_PKS4_PKT2_PKT3_S8_PT4_21rocsparse_index_base_b,"axG",@progbits,_ZN9rocsparseL29csrmvn_lrb_medium_rows_kernelILj256Eli21rocsparse_complex_numIfES2_S2_S2_EEvbT0_PT1_S5_jNS_24const_host_device_scalarIT5_EEPKS3_PKS4_PKT2_PKT3_S8_PT4_21rocsparse_index_base_b,comdat
	.globl	_ZN9rocsparseL29csrmvn_lrb_medium_rows_kernelILj256Eli21rocsparse_complex_numIfES2_S2_S2_EEvbT0_PT1_S5_jNS_24const_host_device_scalarIT5_EEPKS3_PKS4_PKT2_PKT3_S8_PT4_21rocsparse_index_base_b ; -- Begin function _ZN9rocsparseL29csrmvn_lrb_medium_rows_kernelILj256Eli21rocsparse_complex_numIfES2_S2_S2_EEvbT0_PT1_S5_jNS_24const_host_device_scalarIT5_EEPKS3_PKS4_PKT2_PKT3_S8_PT4_21rocsparse_index_base_b
	.p2align	8
	.type	_ZN9rocsparseL29csrmvn_lrb_medium_rows_kernelILj256Eli21rocsparse_complex_numIfES2_S2_S2_EEvbT0_PT1_S5_jNS_24const_host_device_scalarIT5_EEPKS3_PKS4_PKT2_PKT3_S8_PT4_21rocsparse_index_base_b,@function
_ZN9rocsparseL29csrmvn_lrb_medium_rows_kernelILj256Eli21rocsparse_complex_numIfES2_S2_S2_EEvbT0_PT1_S5_jNS_24const_host_device_scalarIT5_EEPKS3_PKS4_PKT2_PKT3_S8_PT4_21rocsparse_index_base_b: ; @_ZN9rocsparseL29csrmvn_lrb_medium_rows_kernelILj256Eli21rocsparse_complex_numIfES2_S2_S2_EEvbT0_PT1_S5_jNS_24const_host_device_scalarIT5_EEPKS3_PKS4_PKT2_PKT3_S8_PT4_21rocsparse_index_base_b
; %bb.0:
	s_clause 0x2
	s_load_b64 s[6:7], s[0:1], 0x60
	s_load_b64 s[2:3], s[0:1], 0x28
	;; [unrolled: 1-line block ×3, first 2 shown]
	v_mov_b32_e32 v5, 0
	s_add_nc_u64 s[8:9], s[0:1], 40
	s_add_nc_u64 s[10:11], s[0:1], 0x50
	s_wait_kmcnt 0x0
	s_bitcmp1_b32 s7, 0
	s_mov_b32 s7, 0
	s_cselect_b32 s3, s9, s3
	s_cselect_b32 s2, s8, s2
	;; [unrolled: 1-line block ×4, first 2 shown]
	s_clause 0x1
	flat_load_b64 v[6:7], v5, s[2:3]
	flat_load_b64 v[2:3], v5, s[4:5]
	s_wait_loadcnt_dscnt 0x101
	s_wait_xcnt 0x1
	v_cmp_neq_f32_e64 s2, 0, v6
	v_cmp_neq_f32_e64 s3, 0, v7
	s_wait_loadcnt_dscnt 0x0
	v_cmp_neq_f32_e64 s4, 1.0, v2
	v_cmp_neq_f32_e32 vcc_lo, 0, v3
	s_or_b32 s2, s2, s3
	s_or_b32 s3, s4, vcc_lo
	s_delay_alu instid0(SALU_CYCLE_1) | instskip(NEXT) | instid1(SALU_CYCLE_1)
	s_or_b32 s2, s2, s3
	s_and_saveexec_b32 s3, s2
	s_cbranch_execz .LBB54_25
; %bb.1:
	s_clause 0x1
	s_load_b128 s[8:11], s[0:1], 0x10
	s_load_b32 s2, s[0:1], 0x20
	s_bfe_u32 s3, ttmp6, 0x4000c
	s_and_b32 s4, ttmp6, 15
	s_add_co_i32 s3, s3, 1
	s_getreg_b32 s5, hwreg(HW_REG_IB_STS2, 6, 4)
	s_mul_i32 s3, ttmp9, s3
	v_dual_mov_b32 v1, v5 :: v_dual_mov_b32 v4, 0
	s_add_co_i32 s4, s4, s3
	s_cmp_eq_u32 s5, 0
	s_cselect_b32 s3, ttmp9, s4
	s_delay_alu instid0(VALU_DEP_1) | instskip(SKIP_4) | instid1(SALU_CYCLE_1)
	v_sub_nc_u64_e64 v[8:9], v[0:1], s[6:7]
	s_wait_kmcnt 0x0
	s_load_b32 s2, s[10:11], s2 offset:0x0 scale_offset
	s_wait_kmcnt 0x0
	s_add_co_i32 s2, s2, s3
	s_ashr_i32 s3, s2, 31
	s_delay_alu instid0(SALU_CYCLE_1) | instskip(NEXT) | instid1(SALU_CYCLE_1)
	s_lshl_b64 s[2:3], s[2:3], 2
	s_add_nc_u64 s[2:3], s[8:9], s[2:3]
	s_load_b32 s4, s[2:3], 0x0
	s_load_b64 s[8:9], s[0:1], 0x30
	s_wait_kmcnt 0x0
	s_ashr_i32 s5, s4, 31
	s_delay_alu instid0(SALU_CYCLE_1) | instskip(NEXT) | instid1(SALU_CYCLE_1)
	s_lshl_b64 s[4:5], s[4:5], 3
	s_add_nc_u64 s[2:3], s[8:9], s[4:5]
	s_load_b128 s[8:11], s[2:3], 0x0
	s_wait_xcnt 0x0
	s_mov_b32 s3, exec_lo
	s_wait_kmcnt 0x0
	v_add_nc_u64_e32 v[8:9], s[8:9], v[8:9]
	s_sub_nc_u64 s[8:9], s[10:11], s[6:7]
	s_delay_alu instid0(VALU_DEP_1) | instid1(SALU_CYCLE_1)
	v_cmpx_gt_i64_e64 s[8:9], v[8:9]
	s_cbranch_execz .LBB54_5
; %bb.2:
	s_clause 0x2
	s_load_b128 s[12:15], s[0:1], 0x38
	s_load_b32 s2, s[0:1], 0x0
	s_load_b64 s[10:11], s[0:1], 0x48
	v_dual_mov_b32 v4, 0 :: v_dual_mov_b32 v11, v6
	v_xor_b32_e32 v10, 0x80000000, v7
	s_delay_alu instid0(VALU_DEP_2)
	v_mov_b32_e32 v5, v4
	s_wait_kmcnt 0x0
	v_lshl_add_u64 v[12:13], v[8:9], 3, s[14:15]
	v_lshl_add_u64 v[14:15], v[8:9], 2, s[12:13]
	s_bitcmp1_b32 s2, 0
	s_cselect_b32 s12, -1, 0
	s_delay_alu instid0(VALU_DEP_2)
	v_add_nc_u64_e32 v[12:13], 4, v[12:13]
.LBB54_3:                               ; =>This Inner Loop Header: Depth=1
	global_load_b32 v1, v[14:15], off
	global_load_b64 v[16:17], v[12:13], off offset:-4
	v_add_nc_u64_e32 v[8:9], 0x100, v[8:9]
	s_wait_xcnt 0x0
	v_add_nc_u64_e32 v[12:13], 0x800, v[12:13]
	v_add_nc_u64_e32 v[14:15], 0x400, v[14:15]
	s_delay_alu instid0(VALU_DEP_3)
	v_cmp_le_i64_e64 s2, s[8:9], v[8:9]
	s_or_b32 s7, s2, s7
	s_wait_loadcnt 0x1
	v_subrev_nc_u32_e32 v1, s6, v1
	s_wait_loadcnt 0x0
	v_cndmask_b32_e64 v20, v17, -v17, s12
	global_load_b64 v[18:19], v1, s[10:11] scale_offset
	v_pk_mul_f32 v[20:21], v[20:21], v[10:11] op_sel_hi:[0,1]
	s_delay_alu instid0(VALU_DEP_1) | instskip(SKIP_1) | instid1(VALU_DEP_1)
	v_pk_fma_f32 v[16:17], v[6:7], v[16:17], v[20:21] op_sel_hi:[1,0,1]
	s_wait_loadcnt 0x0
	v_pk_fma_f32 v[4:5], v[16:17], v[18:19], v[4:5] op_sel_hi:[1,0,1]
	s_delay_alu instid0(VALU_DEP_1)
	v_pk_fma_f32 v[4:5], v[16:17], v[18:19], v[4:5] op_sel:[1,1,0] op_sel_hi:[0,1,1] neg_lo:[1,0,0]
	s_and_not1_b32 exec_lo, exec_lo, s7
	s_cbranch_execnz .LBB54_3
; %bb.4:
	s_or_b32 exec_lo, exec_lo, s7
.LBB54_5:
	s_delay_alu instid0(SALU_CYCLE_1)
	s_or_b32 exec_lo, exec_lo, s3
	s_load_b64 s[2:3], s[0:1], 0x58
	v_lshlrev_b32_e32 v1, 3, v0
	s_wait_xcnt 0x0
	s_mov_b32 s1, exec_lo
	ds_store_b64 v1, v[4:5]
	s_wait_dscnt 0x0
	s_barrier_signal -1
	s_barrier_wait -1
	v_cmpx_gt_u32_e32 0x80, v0
	s_cbranch_execz .LBB54_7
; %bb.6:
	ds_load_2addr_stride64_b64 v[4:7], v1 offset1:2
	s_wait_dscnt 0x0
	v_pk_add_f32 v[4:5], v[6:7], v[4:5]
	ds_store_b64 v1, v[4:5]
.LBB54_7:
	s_or_b32 exec_lo, exec_lo, s1
	s_delay_alu instid0(SALU_CYCLE_1)
	s_mov_b32 s1, exec_lo
	s_wait_dscnt 0x0
	s_barrier_signal -1
	s_barrier_wait -1
	v_cmpx_gt_u32_e32 64, v0
	s_cbranch_execz .LBB54_9
; %bb.8:
	ds_load_2addr_stride64_b64 v[4:7], v1 offset1:1
	s_wait_dscnt 0x0
	v_pk_add_f32 v[4:5], v[6:7], v[4:5]
	ds_store_b64 v1, v[4:5]
.LBB54_9:
	s_or_b32 exec_lo, exec_lo, s1
	s_delay_alu instid0(SALU_CYCLE_1)
	s_mov_b32 s1, exec_lo
	s_wait_dscnt 0x0
	s_barrier_signal -1
	s_barrier_wait -1
	v_cmpx_gt_u32_e32 32, v0
	s_cbranch_execz .LBB54_11
; %bb.10:
	ds_load_2addr_b64 v[4:7], v1 offset1:32
	s_wait_dscnt 0x0
	v_pk_add_f32 v[4:5], v[6:7], v[4:5]
	ds_store_b64 v1, v[4:5]
.LBB54_11:
	s_or_b32 exec_lo, exec_lo, s1
	s_delay_alu instid0(SALU_CYCLE_1)
	s_mov_b32 s1, exec_lo
	s_wait_dscnt 0x0
	s_barrier_signal -1
	s_barrier_wait -1
	v_cmpx_gt_u32_e32 16, v0
	s_cbranch_execz .LBB54_13
; %bb.12:
	ds_load_2addr_b64 v[4:7], v1 offset1:16
	s_wait_dscnt 0x0
	v_pk_add_f32 v[4:5], v[6:7], v[4:5]
	ds_store_b64 v1, v[4:5]
.LBB54_13:
	;; [unrolled: 14-line block ×5, first 2 shown]
	s_or_b32 exec_lo, exec_lo, s1
	v_cmp_eq_u32_e64 s0, 0, v0
	s_wait_dscnt 0x0
	s_barrier_signal -1
	s_barrier_wait -1
	s_and_saveexec_b32 s1, s0
	s_cbranch_execz .LBB54_21
; %bb.20:
	v_mov_b32_e32 v8, 0
	ds_load_2addr_b64 v[4:7], v8 offset1:1
	s_wait_dscnt 0x0
	v_pk_add_f32 v[0:1], v[6:7], v[4:5]
	ds_store_b64 v8, v[0:1]
.LBB54_21:
	s_or_b32 exec_lo, exec_lo, s1
	s_wait_dscnt 0x0
	s_barrier_signal -1
	s_barrier_wait -1
	s_and_b32 exec_lo, exec_lo, s0
	s_cbranch_execz .LBB54_25
; %bb.22:
	v_mov_b32_e32 v4, 0
	v_cmp_neq_f32_e64 s0, 0, v2
	ds_load_b64 v[0:1], v4
	s_or_b32 s1, s0, vcc_lo
	s_delay_alu instid0(SALU_CYCLE_1)
	s_and_saveexec_b32 s0, s1
	s_cbranch_execz .LBB54_24
; %bb.23:
	s_wait_kmcnt 0x0
	s_add_nc_u64 s[6:7], s[2:3], s[4:5]
	v_xor_b32_e32 v6, 0x80000000, v3
	s_load_b64 s[8:9], s[6:7], 0x0
	v_mov_b32_e32 v7, v2
	s_wait_dscnt 0x0
	s_wait_kmcnt 0x0
	v_pk_fma_f32 v[0:1], v[2:3], s[8:9], v[0:1] op_sel_hi:[1,0,1]
	v_mov_b64_e32 v[2:3], s[8:9]
	s_delay_alu instid0(VALU_DEP_1)
	v_pk_fma_f32 v[0:1], v[6:7], v[2:3], v[0:1] op_sel:[0,1,0]
.LBB54_24:
	s_or_b32 exec_lo, exec_lo, s0
	s_wait_kmcnt 0x0
	s_add_nc_u64 s[0:1], s[2:3], s[4:5]
	s_wait_dscnt 0x0
	global_store_b64 v4, v[0:1], s[0:1]
.LBB54_25:
	s_endpgm
	.section	.rodata,"a",@progbits
	.p2align	6, 0x0
	.amdhsa_kernel _ZN9rocsparseL29csrmvn_lrb_medium_rows_kernelILj256Eli21rocsparse_complex_numIfES2_S2_S2_EEvbT0_PT1_S5_jNS_24const_host_device_scalarIT5_EEPKS3_PKS4_PKT2_PKT3_S8_PT4_21rocsparse_index_base_b
		.amdhsa_group_segment_fixed_size 2048
		.amdhsa_private_segment_fixed_size 0
		.amdhsa_kernarg_size 104
		.amdhsa_user_sgpr_count 2
		.amdhsa_user_sgpr_dispatch_ptr 0
		.amdhsa_user_sgpr_queue_ptr 0
		.amdhsa_user_sgpr_kernarg_segment_ptr 1
		.amdhsa_user_sgpr_dispatch_id 0
		.amdhsa_user_sgpr_kernarg_preload_length 0
		.amdhsa_user_sgpr_kernarg_preload_offset 0
		.amdhsa_user_sgpr_private_segment_size 0
		.amdhsa_wavefront_size32 1
		.amdhsa_uses_dynamic_stack 0
		.amdhsa_enable_private_segment 0
		.amdhsa_system_sgpr_workgroup_id_x 1
		.amdhsa_system_sgpr_workgroup_id_y 0
		.amdhsa_system_sgpr_workgroup_id_z 0
		.amdhsa_system_sgpr_workgroup_info 0
		.amdhsa_system_vgpr_workitem_id 0
		.amdhsa_next_free_vgpr 22
		.amdhsa_next_free_sgpr 16
		.amdhsa_named_barrier_count 0
		.amdhsa_reserve_vcc 1
		.amdhsa_float_round_mode_32 0
		.amdhsa_float_round_mode_16_64 0
		.amdhsa_float_denorm_mode_32 3
		.amdhsa_float_denorm_mode_16_64 3
		.amdhsa_fp16_overflow 0
		.amdhsa_memory_ordered 1
		.amdhsa_forward_progress 1
		.amdhsa_inst_pref_size 10
		.amdhsa_round_robin_scheduling 0
		.amdhsa_exception_fp_ieee_invalid_op 0
		.amdhsa_exception_fp_denorm_src 0
		.amdhsa_exception_fp_ieee_div_zero 0
		.amdhsa_exception_fp_ieee_overflow 0
		.amdhsa_exception_fp_ieee_underflow 0
		.amdhsa_exception_fp_ieee_inexact 0
		.amdhsa_exception_int_div_zero 0
	.end_amdhsa_kernel
	.section	.text._ZN9rocsparseL29csrmvn_lrb_medium_rows_kernelILj256Eli21rocsparse_complex_numIfES2_S2_S2_EEvbT0_PT1_S5_jNS_24const_host_device_scalarIT5_EEPKS3_PKS4_PKT2_PKT3_S8_PT4_21rocsparse_index_base_b,"axG",@progbits,_ZN9rocsparseL29csrmvn_lrb_medium_rows_kernelILj256Eli21rocsparse_complex_numIfES2_S2_S2_EEvbT0_PT1_S5_jNS_24const_host_device_scalarIT5_EEPKS3_PKS4_PKT2_PKT3_S8_PT4_21rocsparse_index_base_b,comdat
.Lfunc_end54:
	.size	_ZN9rocsparseL29csrmvn_lrb_medium_rows_kernelILj256Eli21rocsparse_complex_numIfES2_S2_S2_EEvbT0_PT1_S5_jNS_24const_host_device_scalarIT5_EEPKS3_PKS4_PKT2_PKT3_S8_PT4_21rocsparse_index_base_b, .Lfunc_end54-_ZN9rocsparseL29csrmvn_lrb_medium_rows_kernelILj256Eli21rocsparse_complex_numIfES2_S2_S2_EEvbT0_PT1_S5_jNS_24const_host_device_scalarIT5_EEPKS3_PKS4_PKT2_PKT3_S8_PT4_21rocsparse_index_base_b
                                        ; -- End function
	.set _ZN9rocsparseL29csrmvn_lrb_medium_rows_kernelILj256Eli21rocsparse_complex_numIfES2_S2_S2_EEvbT0_PT1_S5_jNS_24const_host_device_scalarIT5_EEPKS3_PKS4_PKT2_PKT3_S8_PT4_21rocsparse_index_base_b.num_vgpr, 22
	.set _ZN9rocsparseL29csrmvn_lrb_medium_rows_kernelILj256Eli21rocsparse_complex_numIfES2_S2_S2_EEvbT0_PT1_S5_jNS_24const_host_device_scalarIT5_EEPKS3_PKS4_PKT2_PKT3_S8_PT4_21rocsparse_index_base_b.num_agpr, 0
	.set _ZN9rocsparseL29csrmvn_lrb_medium_rows_kernelILj256Eli21rocsparse_complex_numIfES2_S2_S2_EEvbT0_PT1_S5_jNS_24const_host_device_scalarIT5_EEPKS3_PKS4_PKT2_PKT3_S8_PT4_21rocsparse_index_base_b.numbered_sgpr, 16
	.set _ZN9rocsparseL29csrmvn_lrb_medium_rows_kernelILj256Eli21rocsparse_complex_numIfES2_S2_S2_EEvbT0_PT1_S5_jNS_24const_host_device_scalarIT5_EEPKS3_PKS4_PKT2_PKT3_S8_PT4_21rocsparse_index_base_b.num_named_barrier, 0
	.set _ZN9rocsparseL29csrmvn_lrb_medium_rows_kernelILj256Eli21rocsparse_complex_numIfES2_S2_S2_EEvbT0_PT1_S5_jNS_24const_host_device_scalarIT5_EEPKS3_PKS4_PKT2_PKT3_S8_PT4_21rocsparse_index_base_b.private_seg_size, 0
	.set _ZN9rocsparseL29csrmvn_lrb_medium_rows_kernelILj256Eli21rocsparse_complex_numIfES2_S2_S2_EEvbT0_PT1_S5_jNS_24const_host_device_scalarIT5_EEPKS3_PKS4_PKT2_PKT3_S8_PT4_21rocsparse_index_base_b.uses_vcc, 1
	.set _ZN9rocsparseL29csrmvn_lrb_medium_rows_kernelILj256Eli21rocsparse_complex_numIfES2_S2_S2_EEvbT0_PT1_S5_jNS_24const_host_device_scalarIT5_EEPKS3_PKS4_PKT2_PKT3_S8_PT4_21rocsparse_index_base_b.uses_flat_scratch, 1
	.set _ZN9rocsparseL29csrmvn_lrb_medium_rows_kernelILj256Eli21rocsparse_complex_numIfES2_S2_S2_EEvbT0_PT1_S5_jNS_24const_host_device_scalarIT5_EEPKS3_PKS4_PKT2_PKT3_S8_PT4_21rocsparse_index_base_b.has_dyn_sized_stack, 0
	.set _ZN9rocsparseL29csrmvn_lrb_medium_rows_kernelILj256Eli21rocsparse_complex_numIfES2_S2_S2_EEvbT0_PT1_S5_jNS_24const_host_device_scalarIT5_EEPKS3_PKS4_PKT2_PKT3_S8_PT4_21rocsparse_index_base_b.has_recursion, 0
	.set _ZN9rocsparseL29csrmvn_lrb_medium_rows_kernelILj256Eli21rocsparse_complex_numIfES2_S2_S2_EEvbT0_PT1_S5_jNS_24const_host_device_scalarIT5_EEPKS3_PKS4_PKT2_PKT3_S8_PT4_21rocsparse_index_base_b.has_indirect_call, 0
	.section	.AMDGPU.csdata,"",@progbits
; Kernel info:
; codeLenInByte = 1264
; TotalNumSgprs: 18
; NumVgprs: 22
; ScratchSize: 0
; MemoryBound: 0
; FloatMode: 240
; IeeeMode: 1
; LDSByteSize: 2048 bytes/workgroup (compile time only)
; SGPRBlocks: 0
; VGPRBlocks: 1
; NumSGPRsForWavesPerEU: 18
; NumVGPRsForWavesPerEU: 22
; NamedBarCnt: 0
; Occupancy: 16
; WaveLimiterHint : 1
; COMPUTE_PGM_RSRC2:SCRATCH_EN: 0
; COMPUTE_PGM_RSRC2:USER_SGPR: 2
; COMPUTE_PGM_RSRC2:TRAP_HANDLER: 0
; COMPUTE_PGM_RSRC2:TGID_X_EN: 1
; COMPUTE_PGM_RSRC2:TGID_Y_EN: 0
; COMPUTE_PGM_RSRC2:TGID_Z_EN: 0
; COMPUTE_PGM_RSRC2:TIDIG_COMP_CNT: 0
	.section	.text._ZN9rocsparseL27csrmvn_lrb_long_rows_kernelIli21rocsparse_complex_numIfES2_S2_S2_EEvbT_PjPT0_S6_jNS_24const_host_device_scalarIT4_EEPKS3_PKS5_PKT1_PKT2_S9_PT3_21rocsparse_index_base_b,"axG",@progbits,_ZN9rocsparseL27csrmvn_lrb_long_rows_kernelIli21rocsparse_complex_numIfES2_S2_S2_EEvbT_PjPT0_S6_jNS_24const_host_device_scalarIT4_EEPKS3_PKS5_PKT1_PKT2_S9_PT3_21rocsparse_index_base_b,comdat
	.globl	_ZN9rocsparseL27csrmvn_lrb_long_rows_kernelIli21rocsparse_complex_numIfES2_S2_S2_EEvbT_PjPT0_S6_jNS_24const_host_device_scalarIT4_EEPKS3_PKS5_PKT1_PKT2_S9_PT3_21rocsparse_index_base_b ; -- Begin function _ZN9rocsparseL27csrmvn_lrb_long_rows_kernelIli21rocsparse_complex_numIfES2_S2_S2_EEvbT_PjPT0_S6_jNS_24const_host_device_scalarIT4_EEPKS3_PKS5_PKT1_PKT2_S9_PT3_21rocsparse_index_base_b
	.p2align	8
	.type	_ZN9rocsparseL27csrmvn_lrb_long_rows_kernelIli21rocsparse_complex_numIfES2_S2_S2_EEvbT_PjPT0_S6_jNS_24const_host_device_scalarIT4_EEPKS3_PKS5_PKT1_PKT2_S9_PT3_21rocsparse_index_base_b,@function
_ZN9rocsparseL27csrmvn_lrb_long_rows_kernelIli21rocsparse_complex_numIfES2_S2_S2_EEvbT_PjPT0_S6_jNS_24const_host_device_scalarIT4_EEPKS3_PKS5_PKT1_PKT2_S9_PT3_21rocsparse_index_base_b: ; @_ZN9rocsparseL27csrmvn_lrb_long_rows_kernelIli21rocsparse_complex_numIfES2_S2_S2_EEvbT_PjPT0_S6_jNS_24const_host_device_scalarIT4_EEPKS3_PKS5_PKT1_PKT2_S9_PT3_21rocsparse_index_base_b
; %bb.0:
	s_clause 0x2
	s_load_b64 s[16:17], s[0:1], 0x68
	s_load_b64 s[2:3], s[0:1], 0x30
	;; [unrolled: 1-line block ×3, first 2 shown]
	v_mov_b32_e32 v1, 0
	s_add_nc_u64 s[6:7], s[0:1], 48
	s_wait_kmcnt 0x0
	s_bitcmp1_b32 s17, 0
	s_cselect_b32 s3, s7, s3
	s_cselect_b32 s2, s6, s2
	flat_load_b64 v[2:3], v1, s[2:3]
	s_wait_xcnt 0x0
	s_add_nc_u64 s[2:3], s[0:1], 0x58
	s_delay_alu instid0(SALU_CYCLE_1)
	s_cselect_b32 s3, s3, s5
	s_cselect_b32 s2, s2, s4
	flat_load_b64 v[4:5], v1, s[2:3]
	s_wait_loadcnt_dscnt 0x101
	v_cmp_eq_f32_e32 vcc_lo, 0, v2
	s_wait_xcnt 0x0
	v_cmp_eq_f32_e64 s2, 0, v3
	s_and_b32 s4, vcc_lo, s2
	s_mov_b32 s2, -1
	s_and_saveexec_b32 s3, s4
	s_cbranch_execz .LBB55_2
; %bb.1:
	s_wait_loadcnt_dscnt 0x0
	v_cmp_neq_f32_e32 vcc_lo, 1.0, v4
	v_cmp_neq_f32_e64 s2, 0, v5
	s_or_b32 s2, vcc_lo, s2
	s_delay_alu instid0(SALU_CYCLE_1)
	s_or_not1_b32 s2, s2, exec_lo
.LBB55_2:
	s_or_b32 exec_lo, exec_lo, s3
	s_and_saveexec_b32 s3, s2
	s_cbranch_execz .LBB55_38
; %bb.3:
	s_load_b96 s[4:6], s[0:1], 0x20
	s_bfe_u32 s8, ttmp6, 0x4000c
	s_and_b32 s7, ttmp6, 15
	s_add_co_i32 s8, s8, 1
	s_getreg_b32 s9, hwreg(HW_REG_IB_STS2, 6, 4)
	s_mul_i32 s8, ttmp9, s8
	v_mov_b64_e32 v[6:7], 0
	s_add_co_i32 s7, s7, s8
	s_wait_kmcnt 0x0
	s_lshl_b32 s2, -1, s6
	s_load_b32 s8, s[4:5], s6 offset:0x0 scale_offset
	s_not_b32 s2, s2
	s_delay_alu instid0(SALU_CYCLE_1) | instskip(NEXT) | instid1(SALU_CYCLE_1)
	s_mul_hi_u32 s2, s2, 0x2aaaaaab
	s_lshr_b32 s2, s2, 7
	s_delay_alu instid0(SALU_CYCLE_1) | instskip(SKIP_2) | instid1(SALU_CYCLE_3)
	s_add_co_i32 s17, s2, 1
	s_not_b32 s2, s2
	s_cvt_f32_u32 s3, s17
	v_rcp_iflag_f32_e32 v1, s3
	v_nop
	s_delay_alu instid0(TRANS32_DEP_1) | instskip(SKIP_1) | instid1(SALU_CYCLE_3)
	v_readfirstlane_b32 s3, v1
	s_mul_f32 s3, s3, 0x4f7ffffe
	s_cvt_u32_f32 s3, s3
	s_delay_alu instid0(SALU_CYCLE_3) | instskip(NEXT) | instid1(SALU_CYCLE_1)
	s_mul_i32 s2, s2, s3
	s_mul_hi_u32 s2, s3, s2
	s_delay_alu instid0(SALU_CYCLE_1)
	s_add_co_i32 s3, s3, s2
	s_cmp_eq_u32 s9, 0
	s_cselect_b32 s18, ttmp9, s7
	s_wait_xcnt 0x0
	s_load_b128 s[4:7], s[0:1], 0x10
	s_mul_hi_u32 s2, s18, s3
	s_delay_alu instid0(SALU_CYCLE_1) | instskip(SKIP_2) | instid1(SALU_CYCLE_1)
	s_mul_i32 s3, s2, s17
	s_add_co_i32 s9, s2, 1
	s_sub_co_i32 s3, s18, s3
	s_sub_co_i32 s10, s3, s17
	s_cmp_ge_u32 s3, s17
	s_cselect_b32 s2, s9, s2
	s_cselect_b32 s3, s10, s3
	s_add_co_i32 s9, s2, 1
	s_cmp_ge_u32 s3, s17
	s_cselect_b32 s20, s9, s2
	s_ashr_i32 s19, s18, 31
	s_wait_kmcnt 0x0
	s_add_co_i32 s2, s20, s8
	s_delay_alu instid0(SALU_CYCLE_1) | instskip(NEXT) | instid1(SALU_CYCLE_1)
	s_ashr_i32 s3, s2, 31
	s_lshl_b64 s[2:3], s[2:3], 2
	s_delay_alu instid0(SALU_CYCLE_1)
	s_add_nc_u64 s[6:7], s[6:7], s[2:3]
	s_load_b32 s8, s[6:7], 0x0
	s_clause 0x1
	s_load_b64 s[10:11], s[0:1], 0x38
	s_load_b64 s[2:3], s[0:1], 0x60
	s_wait_kmcnt 0x0
	s_ashr_i32 s9, s8, 31
	s_delay_alu instid0(SALU_CYCLE_1)
	s_lshl_b64 s[6:7], s[8:9], 3
	s_lshl_b64 s[8:9], s[18:19], 2
	s_add_nc_u64 s[14:15], s[10:11], s[6:7]
	s_add_nc_u64 s[12:13], s[4:5], s[8:9]
	s_load_b128 s[8:11], s[14:15], 0x0
	s_load_b32 s22, s[12:13], 0x0
	s_wait_xcnt 0x0
	s_mul_i32 s14, s20, s17
	s_mov_b32 s19, 0
	s_sub_co_i32 s15, s18, s14
	s_mov_b32 s17, exec_lo
	v_or_b32_e32 v1, s15, v0
	s_delay_alu instid0(VALU_DEP_1)
	v_cmpx_eq_u32_e32 0, v1
	s_cbranch_execz .LBB55_7
; %bb.4:
	s_add_nc_u64 s[24:25], s[2:3], s[6:7]
	s_wait_loadcnt_dscnt 0x0
	v_add_f32_e32 v7, -1.0, v4
	s_load_b64 s[20:21], s[24:25], 0x0
	v_xor_b32_e32 v6, 0x80000000, v5
	s_mov_b32 s18, exec_lo
	s_mov_b32 s23, exec_lo
	v_mbcnt_lo_u32_b32 v1, s18, 0
	v_mov_b32_e32 v4, v7
	global_wb scope:SCOPE_DEV
	s_wait_storecnt 0x0
	global_inv scope:SCOPE_DEV
	s_wait_kmcnt 0x0
	v_mov_b64_e32 v[8:9], s[20:21]
	s_delay_alu instid0(VALU_DEP_1)
	v_pk_mul_f32 v[6:7], v[8:9], v[6:7] op_sel:[1,0]
	v_cmpx_eq_u32_e32 0, v1
	s_cbranch_execz .LBB55_6
; %bb.5:
	s_bcnt1_i32_b32 s18, s18
	s_delay_alu instid0(SALU_CYCLE_1) | instskip(NEXT) | instid1(SALU_CYCLE_1)
	s_and_b32 s18, s18, 1
	v_dual_mov_b32 v1, s14 :: v_dual_mov_b32 v8, s18
	global_atomic_xor_b32 v1, v8, s[4:5] scale_offset scope:SCOPE_DEV
.LBB55_6:
	s_wait_xcnt 0x0
	s_or_b32 exec_lo, exec_lo, s23
	v_pk_fma_f32 v[6:7], v[4:5], s[20:21], v[6:7] op_sel_hi:[1,0,1]
.LBB55_7:
	s_or_b32 exec_lo, exec_lo, s17
	s_mul_i32 s18, s15, 3
	s_mov_b32 s17, s19
	s_lshl_b64 s[18:19], s[18:19], 8
	s_wait_kmcnt 0x0
	s_sub_nc_u64 s[8:9], s[8:9], s[16:17]
	s_sub_nc_u64 s[10:11], s[10:11], s[16:17]
	s_add_nc_u64 s[8:9], s[8:9], s[18:19]
	v_mov_b32_e32 v1, 0
	s_add_nc_u64 s[18:19], s[8:9], 0x300
	s_wait_loadcnt_dscnt 0x0
	v_min_i64 v[4:5], s[18:19], s[10:11]
	s_mov_b32 s10, exec_lo
	v_add_nc_u64_e32 v[8:9], s[8:9], v[0:1]
	s_delay_alu instid0(VALU_DEP_1)
	v_cmpx_lt_i64_e64 v[8:9], v[4:5]
	s_cbranch_execz .LBB55_11
; %bb.8:
	s_clause 0x2
	s_load_b128 s[24:27], s[0:1], 0x40
	s_load_b32 s11, s[0:1], 0x0
	s_load_b64 s[8:9], s[0:1], 0x50
	v_xor_b32_e32 v10, 0x80000000, v3
	v_mov_b32_e32 v11, v2
	s_wait_xcnt 0x0
	s_mov_b32 s0, 0
	s_wait_kmcnt 0x0
	v_lshl_add_u64 v[12:13], v[8:9], 3, s[26:27]
	v_lshl_add_u64 v[14:15], v[8:9], 2, s[24:25]
	s_bitcmp1_b32 s11, 0
	s_cselect_b32 s1, -1, 0
	s_delay_alu instid0(VALU_DEP_2)
	v_add_nc_u64_e32 v[12:13], 4, v[12:13]
.LBB55_9:                               ; =>This Inner Loop Header: Depth=1
	global_load_b32 v1, v[14:15], off
	global_load_b64 v[16:17], v[12:13], off offset:-4
	v_add_nc_u64_e32 v[8:9], 0x100, v[8:9]
	s_wait_xcnt 0x0
	v_add_nc_u64_e32 v[12:13], 0x800, v[12:13]
	v_add_nc_u64_e32 v[14:15], 0x400, v[14:15]
	s_delay_alu instid0(VALU_DEP_3)
	v_cmp_ge_i64_e32 vcc_lo, v[8:9], v[4:5]
	s_or_b32 s0, vcc_lo, s0
	s_wait_loadcnt 0x1
	v_subrev_nc_u32_e32 v1, s16, v1
	s_wait_loadcnt 0x0
	v_cndmask_b32_e64 v20, v17, -v17, s1
	global_load_b64 v[18:19], v1, s[8:9] scale_offset
	v_pk_mul_f32 v[20:21], v[20:21], v[10:11] op_sel_hi:[0,1]
	s_delay_alu instid0(VALU_DEP_1) | instskip(SKIP_1) | instid1(VALU_DEP_1)
	v_pk_fma_f32 v[16:17], v[2:3], v[16:17], v[20:21] op_sel_hi:[1,0,1]
	s_wait_loadcnt 0x0
	v_pk_fma_f32 v[6:7], v[16:17], v[18:19], v[6:7] op_sel_hi:[1,0,1]
	s_delay_alu instid0(VALU_DEP_1)
	v_pk_fma_f32 v[6:7], v[16:17], v[18:19], v[6:7] op_sel:[1,1,0] op_sel_hi:[0,1,1] neg_lo:[1,0,0]
	s_wait_xcnt 0x0
	s_and_not1_b32 exec_lo, exec_lo, s0
	s_cbranch_execnz .LBB55_9
; %bb.10:
	s_or_b32 exec_lo, exec_lo, s0
.LBB55_11:
	s_delay_alu instid0(SALU_CYCLE_1)
	s_or_b32 exec_lo, exec_lo, s10
	v_lshlrev_b32_e32 v1, 3, v0
	s_mov_b32 s0, exec_lo
	ds_store_b64 v1, v[6:7]
	s_wait_storecnt_dscnt 0x0
	s_barrier_signal -1
	s_barrier_wait -1
	v_cmpx_gt_u32_e32 0x80, v0
	s_cbranch_execz .LBB55_13
; %bb.12:
	ds_load_2addr_stride64_b64 v[2:5], v1 offset1:2
	s_wait_dscnt 0x0
	v_pk_add_f32 v[2:3], v[4:5], v[2:3]
	ds_store_b64 v1, v[2:3]
.LBB55_13:
	s_or_b32 exec_lo, exec_lo, s0
	s_delay_alu instid0(SALU_CYCLE_1)
	s_mov_b32 s0, exec_lo
	s_wait_dscnt 0x0
	s_barrier_signal -1
	s_barrier_wait -1
	v_cmpx_gt_u32_e32 64, v0
	s_cbranch_execz .LBB55_15
; %bb.14:
	ds_load_2addr_stride64_b64 v[2:5], v1 offset1:1
	s_wait_dscnt 0x0
	v_pk_add_f32 v[2:3], v[4:5], v[2:3]
	ds_store_b64 v1, v[2:3]
.LBB55_15:
	s_or_b32 exec_lo, exec_lo, s0
	s_delay_alu instid0(SALU_CYCLE_1)
	s_mov_b32 s0, exec_lo
	s_wait_dscnt 0x0
	s_barrier_signal -1
	s_barrier_wait -1
	v_cmpx_gt_u32_e32 32, v0
	s_cbranch_execz .LBB55_17
; %bb.16:
	ds_load_2addr_b64 v[2:5], v1 offset1:32
	s_wait_dscnt 0x0
	v_pk_add_f32 v[2:3], v[4:5], v[2:3]
	ds_store_b64 v1, v[2:3]
.LBB55_17:
	s_or_b32 exec_lo, exec_lo, s0
	s_delay_alu instid0(SALU_CYCLE_1)
	s_mov_b32 s0, exec_lo
	s_wait_dscnt 0x0
	s_barrier_signal -1
	s_barrier_wait -1
	v_cmpx_gt_u32_e32 16, v0
	s_cbranch_execz .LBB55_19
; %bb.18:
	ds_load_2addr_b64 v[2:5], v1 offset1:16
	s_wait_dscnt 0x0
	v_pk_add_f32 v[2:3], v[4:5], v[2:3]
	ds_store_b64 v1, v[2:3]
.LBB55_19:
	;; [unrolled: 14-line block ×5, first 2 shown]
	s_or_b32 exec_lo, exec_lo, s0
	v_cmp_eq_u32_e32 vcc_lo, 0, v0
	s_wait_dscnt 0x0
	s_barrier_signal -1
	s_barrier_wait -1
	s_and_saveexec_b32 s0, vcc_lo
	s_cbranch_execz .LBB55_27
; %bb.26:
	v_mov_b32_e32 v4, 0
	ds_load_2addr_b64 v[0:3], v4 offset1:1
	s_wait_dscnt 0x0
	v_pk_add_f32 v[0:1], v[2:3], v[0:1]
	ds_store_b64 v4, v[0:1]
.LBB55_27:
	s_or_b32 exec_lo, exec_lo, s0
	s_wait_dscnt 0x0
	s_barrier_signal -1
	s_barrier_wait -1
	s_and_b32 exec_lo, exec_lo, vcc_lo
	s_cbranch_execz .LBB55_38
; %bb.28:
	s_cmp_eq_u32 s15, 0
	s_cbranch_scc1 .LBB55_34
; %bb.29:
	s_ashr_i32 s15, s14, 31
	v_mov_b32_e32 v0, 0
	s_lshl_b64 s[0:1], s[14:15], 2
	s_delay_alu instid0(SALU_CYCLE_1)
	s_add_nc_u64 s[0:1], s[4:5], s[0:1]
	s_branch .LBB55_31
.LBB55_30:                              ;   in Loop: Header=BB55_31 Depth=1
	s_wait_xcnt 0x0
	s_or_b32 exec_lo, exec_lo, s4
	s_wait_loadcnt 0x0
	v_readfirstlane_b32 s4, v1
	s_cmp_eq_u32 s4, s22
	s_cbranch_scc0 .LBB55_33
.LBB55_31:                              ; =>This Inner Loop Header: Depth=1
	v_mbcnt_lo_u32_b32 v1, exec_lo, 0
	s_delay_alu instid0(VALU_DEP_1)
	v_cmp_eq_u32_e32 vcc_lo, 0, v1
                                        ; implicit-def: $vgpr1
	s_and_saveexec_b32 s4, vcc_lo
	s_cbranch_execz .LBB55_30
; %bb.32:                               ;   in Loop: Header=BB55_31 Depth=1
	global_load_b32 v1, v0, s[0:1] scope:SCOPE_DEV
	s_branch .LBB55_30
.LBB55_33:
	v_mov_b32_e32 v0, 0
	global_load_u16 v1, v0, s[12:13]
	s_wait_loadcnt 0x0
	v_xor_b32_e32 v1, 1, v1
	global_store_b16 v0, v1, s[12:13]
.LBB55_34:
	v_mov_b32_e32 v2, 0
	s_mov_b32 s4, exec_lo
	s_add_nc_u64 s[0:1], s[2:3], s[6:7]
	v_mbcnt_lo_u32_b32 v3, s4, 0
	s_mov_b32 s2, exec_lo
	s_wait_xcnt 0x0
	ds_load_b64 v[0:1], v2
	v_cmpx_eq_u32_e32 0, v3
	s_cbranch_execz .LBB55_36
; %bb.35:
	s_bcnt1_i32_b32 s3, s4
	s_delay_alu instid0(SALU_CYCLE_1) | instskip(SKIP_1) | instid1(VALU_DEP_1)
	v_cvt_f32_ubyte0_e32 v3, s3
	s_wait_dscnt 0x0
	v_mul_f32_e32 v0, v0, v3
	global_atomic_add_f32 v2, v0, s[0:1] scope:SCOPE_DEV
.LBB55_36:
	s_wait_xcnt 0x0
	s_or_b32 exec_lo, exec_lo, s2
	s_delay_alu instid0(SALU_CYCLE_1) | instskip(SKIP_2) | instid1(VALU_DEP_1)
	s_mov_b32 s2, exec_lo
	s_wait_dscnt 0x0
	v_mbcnt_lo_u32_b32 v0, s2, 0
	v_cmp_eq_u32_e32 vcc_lo, 0, v0
	s_and_b32 s3, exec_lo, vcc_lo
	s_delay_alu instid0(SALU_CYCLE_1)
	s_mov_b32 exec_lo, s3
	s_cbranch_execz .LBB55_38
; %bb.37:
	s_bcnt1_i32_b32 s2, s2
	s_delay_alu instid0(SALU_CYCLE_1) | instskip(NEXT) | instid1(VALU_DEP_1)
	v_cvt_f32_ubyte0_e32 v0, s2
	v_dual_mul_f32 v0, v1, v0 :: v_dual_mov_b32 v1, 0
	global_atomic_add_f32 v1, v0, s[0:1] offset:4 scope:SCOPE_DEV
.LBB55_38:
	s_endpgm
	.section	.rodata,"a",@progbits
	.p2align	6, 0x0
	.amdhsa_kernel _ZN9rocsparseL27csrmvn_lrb_long_rows_kernelIli21rocsparse_complex_numIfES2_S2_S2_EEvbT_PjPT0_S6_jNS_24const_host_device_scalarIT4_EEPKS3_PKS5_PKT1_PKT2_S9_PT3_21rocsparse_index_base_b
		.amdhsa_group_segment_fixed_size 2048
		.amdhsa_private_segment_fixed_size 0
		.amdhsa_kernarg_size 112
		.amdhsa_user_sgpr_count 2
		.amdhsa_user_sgpr_dispatch_ptr 0
		.amdhsa_user_sgpr_queue_ptr 0
		.amdhsa_user_sgpr_kernarg_segment_ptr 1
		.amdhsa_user_sgpr_dispatch_id 0
		.amdhsa_user_sgpr_kernarg_preload_length 0
		.amdhsa_user_sgpr_kernarg_preload_offset 0
		.amdhsa_user_sgpr_private_segment_size 0
		.amdhsa_wavefront_size32 1
		.amdhsa_uses_dynamic_stack 0
		.amdhsa_enable_private_segment 0
		.amdhsa_system_sgpr_workgroup_id_x 1
		.amdhsa_system_sgpr_workgroup_id_y 0
		.amdhsa_system_sgpr_workgroup_id_z 0
		.amdhsa_system_sgpr_workgroup_info 0
		.amdhsa_system_vgpr_workitem_id 0
		.amdhsa_next_free_vgpr 22
		.amdhsa_next_free_sgpr 28
		.amdhsa_named_barrier_count 0
		.amdhsa_reserve_vcc 1
		.amdhsa_float_round_mode_32 0
		.amdhsa_float_round_mode_16_64 0
		.amdhsa_float_denorm_mode_32 3
		.amdhsa_float_denorm_mode_16_64 3
		.amdhsa_fp16_overflow 0
		.amdhsa_memory_ordered 1
		.amdhsa_forward_progress 1
		.amdhsa_inst_pref_size 15
		.amdhsa_round_robin_scheduling 0
		.amdhsa_exception_fp_ieee_invalid_op 0
		.amdhsa_exception_fp_denorm_src 0
		.amdhsa_exception_fp_ieee_div_zero 0
		.amdhsa_exception_fp_ieee_overflow 0
		.amdhsa_exception_fp_ieee_underflow 0
		.amdhsa_exception_fp_ieee_inexact 0
		.amdhsa_exception_int_div_zero 0
	.end_amdhsa_kernel
	.section	.text._ZN9rocsparseL27csrmvn_lrb_long_rows_kernelIli21rocsparse_complex_numIfES2_S2_S2_EEvbT_PjPT0_S6_jNS_24const_host_device_scalarIT4_EEPKS3_PKS5_PKT1_PKT2_S9_PT3_21rocsparse_index_base_b,"axG",@progbits,_ZN9rocsparseL27csrmvn_lrb_long_rows_kernelIli21rocsparse_complex_numIfES2_S2_S2_EEvbT_PjPT0_S6_jNS_24const_host_device_scalarIT4_EEPKS3_PKS5_PKT1_PKT2_S9_PT3_21rocsparse_index_base_b,comdat
.Lfunc_end55:
	.size	_ZN9rocsparseL27csrmvn_lrb_long_rows_kernelIli21rocsparse_complex_numIfES2_S2_S2_EEvbT_PjPT0_S6_jNS_24const_host_device_scalarIT4_EEPKS3_PKS5_PKT1_PKT2_S9_PT3_21rocsparse_index_base_b, .Lfunc_end55-_ZN9rocsparseL27csrmvn_lrb_long_rows_kernelIli21rocsparse_complex_numIfES2_S2_S2_EEvbT_PjPT0_S6_jNS_24const_host_device_scalarIT4_EEPKS3_PKS5_PKT1_PKT2_S9_PT3_21rocsparse_index_base_b
                                        ; -- End function
	.set _ZN9rocsparseL27csrmvn_lrb_long_rows_kernelIli21rocsparse_complex_numIfES2_S2_S2_EEvbT_PjPT0_S6_jNS_24const_host_device_scalarIT4_EEPKS3_PKS5_PKT1_PKT2_S9_PT3_21rocsparse_index_base_b.num_vgpr, 22
	.set _ZN9rocsparseL27csrmvn_lrb_long_rows_kernelIli21rocsparse_complex_numIfES2_S2_S2_EEvbT_PjPT0_S6_jNS_24const_host_device_scalarIT4_EEPKS3_PKS5_PKT1_PKT2_S9_PT3_21rocsparse_index_base_b.num_agpr, 0
	.set _ZN9rocsparseL27csrmvn_lrb_long_rows_kernelIli21rocsparse_complex_numIfES2_S2_S2_EEvbT_PjPT0_S6_jNS_24const_host_device_scalarIT4_EEPKS3_PKS5_PKT1_PKT2_S9_PT3_21rocsparse_index_base_b.numbered_sgpr, 28
	.set _ZN9rocsparseL27csrmvn_lrb_long_rows_kernelIli21rocsparse_complex_numIfES2_S2_S2_EEvbT_PjPT0_S6_jNS_24const_host_device_scalarIT4_EEPKS3_PKS5_PKT1_PKT2_S9_PT3_21rocsparse_index_base_b.num_named_barrier, 0
	.set _ZN9rocsparseL27csrmvn_lrb_long_rows_kernelIli21rocsparse_complex_numIfES2_S2_S2_EEvbT_PjPT0_S6_jNS_24const_host_device_scalarIT4_EEPKS3_PKS5_PKT1_PKT2_S9_PT3_21rocsparse_index_base_b.private_seg_size, 0
	.set _ZN9rocsparseL27csrmvn_lrb_long_rows_kernelIli21rocsparse_complex_numIfES2_S2_S2_EEvbT_PjPT0_S6_jNS_24const_host_device_scalarIT4_EEPKS3_PKS5_PKT1_PKT2_S9_PT3_21rocsparse_index_base_b.uses_vcc, 1
	.set _ZN9rocsparseL27csrmvn_lrb_long_rows_kernelIli21rocsparse_complex_numIfES2_S2_S2_EEvbT_PjPT0_S6_jNS_24const_host_device_scalarIT4_EEPKS3_PKS5_PKT1_PKT2_S9_PT3_21rocsparse_index_base_b.uses_flat_scratch, 0
	.set _ZN9rocsparseL27csrmvn_lrb_long_rows_kernelIli21rocsparse_complex_numIfES2_S2_S2_EEvbT_PjPT0_S6_jNS_24const_host_device_scalarIT4_EEPKS3_PKS5_PKT1_PKT2_S9_PT3_21rocsparse_index_base_b.has_dyn_sized_stack, 0
	.set _ZN9rocsparseL27csrmvn_lrb_long_rows_kernelIli21rocsparse_complex_numIfES2_S2_S2_EEvbT_PjPT0_S6_jNS_24const_host_device_scalarIT4_EEPKS3_PKS5_PKT1_PKT2_S9_PT3_21rocsparse_index_base_b.has_recursion, 0
	.set _ZN9rocsparseL27csrmvn_lrb_long_rows_kernelIli21rocsparse_complex_numIfES2_S2_S2_EEvbT_PjPT0_S6_jNS_24const_host_device_scalarIT4_EEPKS3_PKS5_PKT1_PKT2_S9_PT3_21rocsparse_index_base_b.has_indirect_call, 0
	.section	.AMDGPU.csdata,"",@progbits
; Kernel info:
; codeLenInByte = 1808
; TotalNumSgprs: 30
; NumVgprs: 22
; ScratchSize: 0
; MemoryBound: 0
; FloatMode: 240
; IeeeMode: 1
; LDSByteSize: 2048 bytes/workgroup (compile time only)
; SGPRBlocks: 0
; VGPRBlocks: 1
; NumSGPRsForWavesPerEU: 30
; NumVGPRsForWavesPerEU: 22
; NamedBarCnt: 0
; Occupancy: 16
; WaveLimiterHint : 1
; COMPUTE_PGM_RSRC2:SCRATCH_EN: 0
; COMPUTE_PGM_RSRC2:USER_SGPR: 2
; COMPUTE_PGM_RSRC2:TRAP_HANDLER: 0
; COMPUTE_PGM_RSRC2:TGID_X_EN: 1
; COMPUTE_PGM_RSRC2:TGID_Y_EN: 0
; COMPUTE_PGM_RSRC2:TGID_Z_EN: 0
; COMPUTE_PGM_RSRC2:TIDIG_COMP_CNT: 0
	.section	.text._ZN9rocsparseL28csrmvn_lrb_short_rows_kernelIll21rocsparse_complex_numIfES2_S2_S2_EEvbT_PT0_S5_jNS_24const_host_device_scalarIT4_EEPKS3_PKS4_PKT1_PKT2_S8_PT3_21rocsparse_index_base_b,"axG",@progbits,_ZN9rocsparseL28csrmvn_lrb_short_rows_kernelIll21rocsparse_complex_numIfES2_S2_S2_EEvbT_PT0_S5_jNS_24const_host_device_scalarIT4_EEPKS3_PKS4_PKT1_PKT2_S8_PT3_21rocsparse_index_base_b,comdat
	.globl	_ZN9rocsparseL28csrmvn_lrb_short_rows_kernelIll21rocsparse_complex_numIfES2_S2_S2_EEvbT_PT0_S5_jNS_24const_host_device_scalarIT4_EEPKS3_PKS4_PKT1_PKT2_S8_PT3_21rocsparse_index_base_b ; -- Begin function _ZN9rocsparseL28csrmvn_lrb_short_rows_kernelIll21rocsparse_complex_numIfES2_S2_S2_EEvbT_PT0_S5_jNS_24const_host_device_scalarIT4_EEPKS3_PKS4_PKT1_PKT2_S8_PT3_21rocsparse_index_base_b
	.p2align	8
	.type	_ZN9rocsparseL28csrmvn_lrb_short_rows_kernelIll21rocsparse_complex_numIfES2_S2_S2_EEvbT_PT0_S5_jNS_24const_host_device_scalarIT4_EEPKS3_PKS4_PKT1_PKT2_S8_PT3_21rocsparse_index_base_b,@function
_ZN9rocsparseL28csrmvn_lrb_short_rows_kernelIll21rocsparse_complex_numIfES2_S2_S2_EEvbT_PT0_S5_jNS_24const_host_device_scalarIT4_EEPKS3_PKS4_PKT1_PKT2_S8_PT3_21rocsparse_index_base_b: ; @_ZN9rocsparseL28csrmvn_lrb_short_rows_kernelIll21rocsparse_complex_numIfES2_S2_S2_EEvbT_PT0_S5_jNS_24const_host_device_scalarIT4_EEPKS3_PKS4_PKT1_PKT2_S8_PT3_21rocsparse_index_base_b
; %bb.0:
	s_clause 0x2
	s_load_b64 s[16:17], s[0:1], 0x60
	s_load_b64 s[2:3], s[0:1], 0x28
	;; [unrolled: 1-line block ×3, first 2 shown]
	v_mov_b32_e32 v1, 0
	s_add_nc_u64 s[6:7], s[0:1], 40
	s_add_nc_u64 s[8:9], s[0:1], 0x50
	s_wait_kmcnt 0x0
	s_bitcmp1_b32 s17, 0
	s_cselect_b32 s3, s7, s3
	s_cselect_b32 s2, s6, s2
	;; [unrolled: 1-line block ×4, first 2 shown]
	s_clause 0x1
	flat_load_b64 v[8:9], v1, s[2:3]
	flat_load_b64 v[6:7], v1, s[4:5]
	s_wait_loadcnt_dscnt 0x101
	s_wait_xcnt 0x1
	v_cmp_neq_f32_e64 s2, 0, v8
	v_cmp_neq_f32_e64 s3, 0, v9
	s_wait_loadcnt_dscnt 0x0
	v_cmp_neq_f32_e64 s4, 1.0, v6
	v_cmp_neq_f32_e32 vcc_lo, 0, v7
	s_or_b32 s2, s2, s3
	s_mov_b32 s3, 0
	s_or_b32 s4, s4, vcc_lo
	s_delay_alu instid0(SALU_CYCLE_1) | instskip(NEXT) | instid1(SALU_CYCLE_1)
	s_or_b32 s2, s2, s4
	s_and_saveexec_b32 s4, s2
	s_cbranch_execz .LBB56_15
; %bb.1:
	s_clause 0x1
	s_load_b32 s22, s[0:1], 0x20
	s_load_b128 s[12:15], s[0:1], 0x10
	s_getreg_b32 s5, hwreg(HW_REG_IB_STS2, 6, 4)
	s_wait_kmcnt 0x0
	s_add_co_i32 s2, s22, 1
	s_delay_alu instid0(SALU_CYCLE_1) | instskip(NEXT) | instid1(SALU_CYCLE_1)
	s_lshl_b64 s[2:3], s[2:3], 3
	s_add_nc_u64 s[2:3], s[14:15], s[2:3]
	s_clause 0x1
	s_load_b64 s[18:19], s[14:15], s22 offset:0x0 scale_offset
	s_load_b32 s4, s[2:3], 0x0
	s_wait_xcnt 0x0
	s_bfe_u32 s2, ttmp6, 0x4000c
	s_and_b32 s3, ttmp6, 15
	s_add_co_i32 s2, s2, 1
	s_delay_alu instid0(SALU_CYCLE_1) | instskip(NEXT) | instid1(SALU_CYCLE_1)
	s_mul_i32 s2, ttmp9, s2
	s_add_co_i32 s3, s3, s2
	s_wait_kmcnt 0x0
	s_sub_co_i32 s4, s4, s18
	s_cmp_eq_u32 s5, 0
	s_cselect_b32 s2, ttmp9, s3
	s_delay_alu instid0(SALU_CYCLE_1) | instskip(NEXT) | instid1(SALU_CYCLE_1)
	s_lshl_b32 s14, s2, 8
	s_add_co_i32 s2, s14, 0x100
	s_delay_alu instid0(SALU_CYCLE_1)
	s_min_u32 s3, s4, s2
	s_cmp_gt_u32 s22, 23
	s_cbranch_scc1 .LBB56_9
; %bb.2:
	s_clause 0x1
	s_load_b32 s2, s[0:1], 0x0
	s_load_b256 s[4:11], s[0:1], 0x30
	s_lshl_b32 s15, 0x100, s22
	v_bfe_u32 v10, v0, 0, s22
	v_dual_mov_b32 v11, 0 :: v_dual_mov_b32 v13, v8
	v_xor_b32_e32 v12, 0x80000000, v9
	v_lshl_add_u32 v1, v0, 3, 0
	s_mov_b32 s17, 0
	s_delay_alu instid0(SALU_CYCLE_1) | instskip(SKIP_4) | instid1(SALU_CYCLE_1)
	s_mov_b32 s24, s17
	s_wait_kmcnt 0x0
	s_bitcmp1_b32 s2, 0
	s_cselect_b32 s23, -1, 0
	s_lshl_b64 s[20:21], s[18:19], 3
	s_add_nc_u64 s[20:21], s[12:13], s[20:21]
	s_branch .LBB56_4
.LBB56_3:                               ;   in Loop: Header=BB56_4 Depth=1
	s_or_b32 exec_lo, exec_lo, s25
	v_add_nc_u32_e32 v1, 0x800, v1
	s_addk_co_i32 s24, 0x100
	s_delay_alu instid0(SALU_CYCLE_1)
	s_cmp_ge_u32 s24, s15
	s_cbranch_scc1 .LBB56_9
.LBB56_4:                               ; =>This Inner Loop Header: Depth=1
	v_add_nc_u32_e32 v2, s24, v0
	s_mov_b32 s25, exec_lo
	s_delay_alu instid0(VALU_DEP_1) | instskip(NEXT) | instid1(VALU_DEP_1)
	v_lshrrev_b32_e32 v2, s22, v2
	v_add_nc_u32_e32 v2, s14, v2
	s_delay_alu instid0(VALU_DEP_1)
	v_cmpx_gt_u32_e64 s3, v2
	s_cbranch_execz .LBB56_3
; %bb.5:                                ;   in Loop: Header=BB56_4 Depth=1
	global_load_b64 v[2:3], v2, s[20:21] scale_offset
	s_wait_loadcnt 0x0
	s_wait_xcnt 0x0
	v_lshl_add_u64 v[2:3], v[2:3], 3, s[4:5]
	global_load_b128 v[2:5], v[2:3], off
	s_wait_loadcnt 0x0
	v_sub_nc_u64_e32 v[4:5], v[4:5], v[2:3]
	s_delay_alu instid0(VALU_DEP_1) | instskip(SKIP_2) | instid1(SALU_CYCLE_1)
	v_cmp_le_i64_e64 s2, v[4:5], v[10:11]
	s_wait_xcnt 0x0
	s_and_saveexec_b32 s26, s2
	s_xor_b32 s2, exec_lo, s26
; %bb.6:                                ;   in Loop: Header=BB56_4 Depth=1
	ds_store_2addr_b32 v1, v11, v11 offset1:1
                                        ; implicit-def: $vgpr2_vgpr3
; %bb.7:                                ;   in Loop: Header=BB56_4 Depth=1
	s_and_not1_saveexec_b32 s2, s2
	s_cbranch_execz .LBB56_3
; %bb.8:                                ;   in Loop: Header=BB56_4 Depth=1
	v_sub_nc_u64_e64 v[2:3], v[2:3], s[16:17]
	s_delay_alu instid0(VALU_DEP_1) | instskip(NEXT) | instid1(VALU_DEP_1)
	v_add_nc_u64_e32 v[2:3], v[2:3], v[10:11]
	v_lshlrev_b64_e32 v[2:3], 3, v[2:3]
	s_delay_alu instid0(VALU_DEP_1)
	v_add_nc_u64_e32 v[4:5], s[6:7], v[2:3]
	v_add_nc_u64_e32 v[2:3], s[8:9], v[2:3]
	global_load_b64 v[4:5], v[4:5], off
	global_load_b64 v[2:3], v[2:3], off
	s_wait_loadcnt 0x1
	s_wait_xcnt 0x1
	v_sub_nc_u64_e64 v[4:5], v[4:5], s[16:17]
	s_wait_loadcnt 0x0
	v_cndmask_b32_e64 v14, v3, -v3, s23
	s_delay_alu instid0(VALU_DEP_1) | instskip(NEXT) | instid1(VALU_DEP_3)
	v_pk_mul_f32 v[14:15], v[14:15], v[12:13] op_sel_hi:[0,1]
	v_lshl_add_u64 v[4:5], v[4:5], 3, s[10:11]
	s_delay_alu instid0(VALU_DEP_2) | instskip(SKIP_3) | instid1(VALU_DEP_1)
	v_pk_fma_f32 v[2:3], v[8:9], v[2:3], v[14:15] op_sel_hi:[1,0,1]
	global_load_b64 v[4:5], v[4:5], off
	s_wait_loadcnt 0x0
	v_pk_mul_f32 v[14:15], v[4:5], v[2:3] op_sel:[1,1] op_sel_hi:[1,0] neg_lo:[0,1]
	v_pk_fma_f32 v[2:3], v[2:3], v[4:5], v[14:15] op_sel_hi:[1,0,1]
	ds_store_2addr_b32 v1, v2, v3 offset1:1
	s_branch .LBB56_3
.LBB56_9:
	s_sub_co_i32 s2, s3, s14
	s_wait_dscnt 0x0
	v_cmp_gt_u32_e64 s2, s2, v0
	s_barrier_signal -1
	s_barrier_wait -1
	s_and_b32 exec_lo, exec_lo, s2
	s_cbranch_execz .LBB56_15
; %bb.10:
	s_lshl_b64 s[2:3], s[18:19], 3
	s_mov_b32 s15, 0
	s_add_nc_u64 s[2:3], s[12:13], s[2:3]
	s_lshl_b64 s[4:5], s[14:15], 3
	v_lshlrev_b32_e32 v1, s22, v0
	s_add_nc_u64 s[2:3], s[2:3], s[4:5]
	global_load_b64 v[2:3], v0, s[2:3] scale_offset
	s_wait_xcnt 0x0
	s_load_b64 s[2:3], s[0:1], 0x58
	v_mov_b32_e32 v0, 0
	v_lshl_add_u32 v4, v1, 3, 0
	s_wait_xcnt 0x0
	s_mov_b32 s0, 1
	s_delay_alu instid0(VALU_DEP_2)
	v_mov_b32_e32 v1, v0
.LBB56_11:                              ; =>This Inner Loop Header: Depth=1
	ds_load_2addr_b32 v[8:9], v4 offset1:1
	v_add_nc_u32_e32 v4, 8, v4
	s_lshr_b32 s1, s0, s22
	s_add_co_i32 s0, s0, 1
	s_cmp_lg_u32 s1, 0
	s_wait_dscnt 0x0
	v_pk_add_f32 v[0:1], v[0:1], v[8:9]
	s_cbranch_scc0 .LBB56_11
; %bb.12:
	v_cmp_neq_f32_e64 s0, 0, v6
	s_wait_loadcnt 0x0
	s_wait_kmcnt 0x0
	v_lshl_add_u64 v[2:3], v[2:3], 3, s[2:3]
	s_or_b32 s1, s0, vcc_lo
	s_delay_alu instid0(SALU_CYCLE_1)
	s_and_saveexec_b32 s0, s1
	s_cbranch_execz .LBB56_14
; %bb.13:
	global_load_b64 v[4:5], v[2:3], off
	v_xor_b32_e32 v8, 0x80000000, v7
	v_mov_b32_e32 v9, v6
	s_wait_loadcnt 0x0
	v_pk_fma_f32 v[0:1], v[6:7], v[4:5], v[0:1] op_sel_hi:[1,0,1]
	s_delay_alu instid0(VALU_DEP_1)
	v_pk_fma_f32 v[0:1], v[8:9], v[4:5], v[0:1] op_sel:[0,1,0]
.LBB56_14:
	s_or_b32 exec_lo, exec_lo, s0
	global_store_b64 v[2:3], v[0:1], off
.LBB56_15:
	s_endpgm
	.section	.rodata,"a",@progbits
	.p2align	6, 0x0
	.amdhsa_kernel _ZN9rocsparseL28csrmvn_lrb_short_rows_kernelIll21rocsparse_complex_numIfES2_S2_S2_EEvbT_PT0_S5_jNS_24const_host_device_scalarIT4_EEPKS3_PKS4_PKT1_PKT2_S8_PT3_21rocsparse_index_base_b
		.amdhsa_group_segment_fixed_size 0
		.amdhsa_private_segment_fixed_size 0
		.amdhsa_kernarg_size 104
		.amdhsa_user_sgpr_count 2
		.amdhsa_user_sgpr_dispatch_ptr 0
		.amdhsa_user_sgpr_queue_ptr 0
		.amdhsa_user_sgpr_kernarg_segment_ptr 1
		.amdhsa_user_sgpr_dispatch_id 0
		.amdhsa_user_sgpr_kernarg_preload_length 0
		.amdhsa_user_sgpr_kernarg_preload_offset 0
		.amdhsa_user_sgpr_private_segment_size 0
		.amdhsa_wavefront_size32 1
		.amdhsa_uses_dynamic_stack 0
		.amdhsa_enable_private_segment 0
		.amdhsa_system_sgpr_workgroup_id_x 1
		.amdhsa_system_sgpr_workgroup_id_y 0
		.amdhsa_system_sgpr_workgroup_id_z 0
		.amdhsa_system_sgpr_workgroup_info 0
		.amdhsa_system_vgpr_workitem_id 0
		.amdhsa_next_free_vgpr 16
		.amdhsa_next_free_sgpr 27
		.amdhsa_named_barrier_count 0
		.amdhsa_reserve_vcc 1
		.amdhsa_float_round_mode_32 0
		.amdhsa_float_round_mode_16_64 0
		.amdhsa_float_denorm_mode_32 3
		.amdhsa_float_denorm_mode_16_64 3
		.amdhsa_fp16_overflow 0
		.amdhsa_memory_ordered 1
		.amdhsa_forward_progress 1
		.amdhsa_inst_pref_size 8
		.amdhsa_round_robin_scheduling 0
		.amdhsa_exception_fp_ieee_invalid_op 0
		.amdhsa_exception_fp_denorm_src 0
		.amdhsa_exception_fp_ieee_div_zero 0
		.amdhsa_exception_fp_ieee_overflow 0
		.amdhsa_exception_fp_ieee_underflow 0
		.amdhsa_exception_fp_ieee_inexact 0
		.amdhsa_exception_int_div_zero 0
	.end_amdhsa_kernel
	.section	.text._ZN9rocsparseL28csrmvn_lrb_short_rows_kernelIll21rocsparse_complex_numIfES2_S2_S2_EEvbT_PT0_S5_jNS_24const_host_device_scalarIT4_EEPKS3_PKS4_PKT1_PKT2_S8_PT3_21rocsparse_index_base_b,"axG",@progbits,_ZN9rocsparseL28csrmvn_lrb_short_rows_kernelIll21rocsparse_complex_numIfES2_S2_S2_EEvbT_PT0_S5_jNS_24const_host_device_scalarIT4_EEPKS3_PKS4_PKT1_PKT2_S8_PT3_21rocsparse_index_base_b,comdat
.Lfunc_end56:
	.size	_ZN9rocsparseL28csrmvn_lrb_short_rows_kernelIll21rocsparse_complex_numIfES2_S2_S2_EEvbT_PT0_S5_jNS_24const_host_device_scalarIT4_EEPKS3_PKS4_PKT1_PKT2_S8_PT3_21rocsparse_index_base_b, .Lfunc_end56-_ZN9rocsparseL28csrmvn_lrb_short_rows_kernelIll21rocsparse_complex_numIfES2_S2_S2_EEvbT_PT0_S5_jNS_24const_host_device_scalarIT4_EEPKS3_PKS4_PKT1_PKT2_S8_PT3_21rocsparse_index_base_b
                                        ; -- End function
	.set _ZN9rocsparseL28csrmvn_lrb_short_rows_kernelIll21rocsparse_complex_numIfES2_S2_S2_EEvbT_PT0_S5_jNS_24const_host_device_scalarIT4_EEPKS3_PKS4_PKT1_PKT2_S8_PT3_21rocsparse_index_base_b.num_vgpr, 16
	.set _ZN9rocsparseL28csrmvn_lrb_short_rows_kernelIll21rocsparse_complex_numIfES2_S2_S2_EEvbT_PT0_S5_jNS_24const_host_device_scalarIT4_EEPKS3_PKS4_PKT1_PKT2_S8_PT3_21rocsparse_index_base_b.num_agpr, 0
	.set _ZN9rocsparseL28csrmvn_lrb_short_rows_kernelIll21rocsparse_complex_numIfES2_S2_S2_EEvbT_PT0_S5_jNS_24const_host_device_scalarIT4_EEPKS3_PKS4_PKT1_PKT2_S8_PT3_21rocsparse_index_base_b.numbered_sgpr, 27
	.set _ZN9rocsparseL28csrmvn_lrb_short_rows_kernelIll21rocsparse_complex_numIfES2_S2_S2_EEvbT_PT0_S5_jNS_24const_host_device_scalarIT4_EEPKS3_PKS4_PKT1_PKT2_S8_PT3_21rocsparse_index_base_b.num_named_barrier, 0
	.set _ZN9rocsparseL28csrmvn_lrb_short_rows_kernelIll21rocsparse_complex_numIfES2_S2_S2_EEvbT_PT0_S5_jNS_24const_host_device_scalarIT4_EEPKS3_PKS4_PKT1_PKT2_S8_PT3_21rocsparse_index_base_b.private_seg_size, 0
	.set _ZN9rocsparseL28csrmvn_lrb_short_rows_kernelIll21rocsparse_complex_numIfES2_S2_S2_EEvbT_PT0_S5_jNS_24const_host_device_scalarIT4_EEPKS3_PKS4_PKT1_PKT2_S8_PT3_21rocsparse_index_base_b.uses_vcc, 1
	.set _ZN9rocsparseL28csrmvn_lrb_short_rows_kernelIll21rocsparse_complex_numIfES2_S2_S2_EEvbT_PT0_S5_jNS_24const_host_device_scalarIT4_EEPKS3_PKS4_PKT1_PKT2_S8_PT3_21rocsparse_index_base_b.uses_flat_scratch, 1
	.set _ZN9rocsparseL28csrmvn_lrb_short_rows_kernelIll21rocsparse_complex_numIfES2_S2_S2_EEvbT_PT0_S5_jNS_24const_host_device_scalarIT4_EEPKS3_PKS4_PKT1_PKT2_S8_PT3_21rocsparse_index_base_b.has_dyn_sized_stack, 0
	.set _ZN9rocsparseL28csrmvn_lrb_short_rows_kernelIll21rocsparse_complex_numIfES2_S2_S2_EEvbT_PT0_S5_jNS_24const_host_device_scalarIT4_EEPKS3_PKS4_PKT1_PKT2_S8_PT3_21rocsparse_index_base_b.has_recursion, 0
	.set _ZN9rocsparseL28csrmvn_lrb_short_rows_kernelIll21rocsparse_complex_numIfES2_S2_S2_EEvbT_PT0_S5_jNS_24const_host_device_scalarIT4_EEPKS3_PKS4_PKT1_PKT2_S8_PT3_21rocsparse_index_base_b.has_indirect_call, 0
	.section	.AMDGPU.csdata,"",@progbits
; Kernel info:
; codeLenInByte = 976
; TotalNumSgprs: 29
; NumVgprs: 16
; ScratchSize: 0
; MemoryBound: 0
; FloatMode: 240
; IeeeMode: 1
; LDSByteSize: 0 bytes/workgroup (compile time only)
; SGPRBlocks: 0
; VGPRBlocks: 0
; NumSGPRsForWavesPerEU: 29
; NumVGPRsForWavesPerEU: 16
; NamedBarCnt: 0
; Occupancy: 16
; WaveLimiterHint : 1
; COMPUTE_PGM_RSRC2:SCRATCH_EN: 0
; COMPUTE_PGM_RSRC2:USER_SGPR: 2
; COMPUTE_PGM_RSRC2:TRAP_HANDLER: 0
; COMPUTE_PGM_RSRC2:TGID_X_EN: 1
; COMPUTE_PGM_RSRC2:TGID_Y_EN: 0
; COMPUTE_PGM_RSRC2:TGID_Z_EN: 0
; COMPUTE_PGM_RSRC2:TIDIG_COMP_CNT: 0
	.section	.text._ZN9rocsparseL30csrmvn_lrb_short_rows_2_kernelIll21rocsparse_complex_numIfES2_S2_S2_EEvbT_PT0_S5_jNS_24const_host_device_scalarIT4_EEPKS3_PKS4_PKT1_PKT2_S8_PT3_21rocsparse_index_base_b,"axG",@progbits,_ZN9rocsparseL30csrmvn_lrb_short_rows_2_kernelIll21rocsparse_complex_numIfES2_S2_S2_EEvbT_PT0_S5_jNS_24const_host_device_scalarIT4_EEPKS3_PKS4_PKT1_PKT2_S8_PT3_21rocsparse_index_base_b,comdat
	.globl	_ZN9rocsparseL30csrmvn_lrb_short_rows_2_kernelIll21rocsparse_complex_numIfES2_S2_S2_EEvbT_PT0_S5_jNS_24const_host_device_scalarIT4_EEPKS3_PKS4_PKT1_PKT2_S8_PT3_21rocsparse_index_base_b ; -- Begin function _ZN9rocsparseL30csrmvn_lrb_short_rows_2_kernelIll21rocsparse_complex_numIfES2_S2_S2_EEvbT_PT0_S5_jNS_24const_host_device_scalarIT4_EEPKS3_PKS4_PKT1_PKT2_S8_PT3_21rocsparse_index_base_b
	.p2align	8
	.type	_ZN9rocsparseL30csrmvn_lrb_short_rows_2_kernelIll21rocsparse_complex_numIfES2_S2_S2_EEvbT_PT0_S5_jNS_24const_host_device_scalarIT4_EEPKS3_PKS4_PKT1_PKT2_S8_PT3_21rocsparse_index_base_b,@function
_ZN9rocsparseL30csrmvn_lrb_short_rows_2_kernelIll21rocsparse_complex_numIfES2_S2_S2_EEvbT_PT0_S5_jNS_24const_host_device_scalarIT4_EEPKS3_PKS4_PKT1_PKT2_S8_PT3_21rocsparse_index_base_b: ; @_ZN9rocsparseL30csrmvn_lrb_short_rows_2_kernelIll21rocsparse_complex_numIfES2_S2_S2_EEvbT_PT0_S5_jNS_24const_host_device_scalarIT4_EEPKS3_PKS4_PKT1_PKT2_S8_PT3_21rocsparse_index_base_b
; %bb.0:
	s_clause 0x2
	s_load_b64 s[16:17], s[0:1], 0x60
	s_load_b64 s[2:3], s[0:1], 0x28
	;; [unrolled: 1-line block ×3, first 2 shown]
	v_mov_b32_e32 v11, 0
	s_add_nc_u64 s[6:7], s[0:1], 40
	s_add_nc_u64 s[8:9], s[0:1], 0x50
	s_wait_kmcnt 0x0
	s_bitcmp1_b32 s17, 0
	s_mov_b32 s17, 0
	s_cselect_b32 s3, s7, s3
	s_cselect_b32 s2, s6, s2
	;; [unrolled: 1-line block ×4, first 2 shown]
	s_clause 0x1
	flat_load_b64 v[8:9], v11, s[2:3]
	flat_load_b64 v[6:7], v11, s[4:5]
	s_wait_loadcnt_dscnt 0x101
	s_wait_xcnt 0x1
	v_cmp_neq_f32_e64 s2, 0, v8
	v_cmp_neq_f32_e64 s3, 0, v9
	s_wait_loadcnt_dscnt 0x0
	v_cmp_neq_f32_e64 s4, 1.0, v6
	v_cmp_neq_f32_e32 vcc_lo, 0, v7
	s_or_b32 s2, s2, s3
	s_or_b32 s3, s4, vcc_lo
	s_delay_alu instid0(SALU_CYCLE_1) | instskip(NEXT) | instid1(SALU_CYCLE_1)
	s_or_b32 s2, s2, s3
	s_and_saveexec_b32 s3, s2
	s_cbranch_execz .LBB57_30
; %bb.1:
	s_clause 0x2
	s_load_b32 s18, s[0:1], 0x20
	s_load_b32 s2, s[0:1], 0x0
	s_load_b128 s[12:15], s[0:1], 0x10
	s_mov_b32 s5, s17
	s_wait_kmcnt 0x0
	v_lshrrev_b32_e32 v1, s18, v0
	s_bitcmp1_b32 s2, 0
	v_bfe_u32 v10, v0, 0, s18
	s_cselect_b32 s3, -1, 0
	s_add_co_i32 s4, s18, 1
	s_lshr_b32 s19, 0x400, s18
	s_lshl_b64 s[4:5], s[4:5], 3
	s_delay_alu instid0(SALU_CYCLE_1)
	s_add_nc_u64 s[20:21], s[14:15], s[4:5]
	s_clause 0x1
	s_load_b64 s[22:23], s[14:15], s18 offset:0x0 scale_offset
	s_load_b32 s2, s[20:21], 0x0
	s_load_b256 s[4:11], s[0:1], 0x30
	s_wait_xcnt 0x0
	s_bfe_u32 s15, ttmp6, 0x4000c
	s_and_b32 s20, ttmp6, 15
	s_add_co_i32 s15, s15, 1
	s_getreg_b32 s14, hwreg(HW_REG_IB_STS2, 6, 4)
	s_mul_i32 s15, ttmp9, s15
	s_delay_alu instid0(SALU_CYCLE_1)
	s_add_co_i32 s20, s20, s15
	s_wait_kmcnt 0x0
	s_sub_co_i32 s2, s2, s22
	s_cmp_eq_u32 s14, 0
	s_cselect_b32 s14, ttmp9, s20
	s_lshl_b64 s[22:23], s[22:23], 3
	s_mul_i32 s14, s19, s14
	s_add_nc_u64 s[12:13], s[12:13], s[22:23]
	v_add_nc_u32_e32 v1, s14, v1
	s_add_co_i32 s15, s14, s19
	s_delay_alu instid0(SALU_CYCLE_1) | instskip(SKIP_1) | instid1(VALU_DEP_1)
	s_min_u32 s20, s2, s15
	s_mov_b32 s15, exec_lo
	v_cmpx_gt_u32_e64 s20, v1
	s_cbranch_execz .LBB57_6
; %bb.2:
	global_load_b64 v[2:3], v1, s[12:13] scale_offset
	s_wait_loadcnt 0x0
	v_lshl_add_u64 v[2:3], v[2:3], 3, s[4:5]
	global_load_b128 v[2:5], v[2:3], off
	s_wait_loadcnt 0x0
	v_sub_nc_u64_e32 v[4:5], v[4:5], v[2:3]
	s_delay_alu instid0(VALU_DEP_1) | instskip(SKIP_1) | instid1(SALU_CYCLE_1)
	v_cmp_le_i64_e64 s2, v[4:5], v[10:11]
	s_and_saveexec_b32 s21, s2
	s_xor_b32 s2, exec_lo, s21
; %bb.3:
	v_mov_b64_e32 v[2:3], 0
	v_lshlrev_b32_e32 v1, 3, v0
	ds_store_b64 v1, v[2:3]
                                        ; implicit-def: $vgpr2_vgpr3
; %bb.4:
	s_and_not1_saveexec_b32 s2, s2
	s_cbranch_execz .LBB57_6
; %bb.5:
	v_sub_nc_u64_e64 v[2:3], v[2:3], s[16:17]
	v_xor_b32_e32 v14, 0x80000000, v9
	v_dual_lshlrev_b32 v1, 3, v0 :: v_dual_mov_b32 v15, v8
	s_delay_alu instid0(VALU_DEP_3) | instskip(NEXT) | instid1(VALU_DEP_1)
	v_add_nc_u64_e32 v[2:3], v[2:3], v[10:11]
	v_lshlrev_b64_e32 v[2:3], 3, v[2:3]
	s_delay_alu instid0(VALU_DEP_1)
	v_add_nc_u64_e32 v[4:5], s[6:7], v[2:3]
	v_add_nc_u64_e32 v[2:3], s[8:9], v[2:3]
	global_load_b64 v[4:5], v[4:5], off
	global_load_b64 v[2:3], v[2:3], off
	s_wait_loadcnt 0x1
	s_wait_xcnt 0x1
	v_sub_nc_u64_e64 v[4:5], v[4:5], s[16:17]
	s_wait_loadcnt 0x0
	v_cndmask_b32_e64 v12, v3, -v3, s3
	s_delay_alu instid0(VALU_DEP_1) | instskip(NEXT) | instid1(VALU_DEP_3)
	v_pk_mul_f32 v[12:13], v[12:13], v[14:15] op_sel_hi:[0,1]
	v_lshl_add_u64 v[4:5], v[4:5], 3, s[10:11]
	s_delay_alu instid0(VALU_DEP_2) | instskip(SKIP_3) | instid1(VALU_DEP_1)
	v_pk_fma_f32 v[2:3], v[8:9], v[2:3], v[12:13] op_sel_hi:[1,0,1]
	global_load_b64 v[4:5], v[4:5], off
	s_wait_loadcnt 0x0
	v_pk_mul_f32 v[12:13], v[4:5], v[2:3] op_sel:[1,1] op_sel_hi:[1,0] neg_lo:[0,1]
	v_pk_fma_f32 v[2:3], v[2:3], v[4:5], v[12:13] op_sel_hi:[1,0,1]
	ds_store_b64 v1, v[2:3]
.LBB57_6:
	s_or_b32 exec_lo, exec_lo, s15
	v_or_b32_e32 v1, 0x100, v0
	s_mov_b32 s15, exec_lo
	s_delay_alu instid0(VALU_DEP_1) | instskip(NEXT) | instid1(VALU_DEP_1)
	v_lshrrev_b32_e32 v1, s18, v1
	v_add_nc_u32_e32 v1, s14, v1
	s_delay_alu instid0(VALU_DEP_1)
	v_cmpx_gt_u32_e64 s20, v1
	s_cbranch_execz .LBB57_11
; %bb.7:
	global_load_b64 v[2:3], v1, s[12:13] scale_offset
	s_wait_loadcnt 0x0
	v_lshl_add_u64 v[2:3], v[2:3], 3, s[4:5]
	global_load_b128 v[2:5], v[2:3], off
	s_wait_loadcnt 0x0
	v_sub_nc_u64_e32 v[4:5], v[4:5], v[2:3]
	s_delay_alu instid0(VALU_DEP_1) | instskip(SKIP_1) | instid1(SALU_CYCLE_1)
	v_cmp_le_i64_e64 s2, v[4:5], v[10:11]
	s_and_saveexec_b32 s21, s2
	s_xor_b32 s2, exec_lo, s21
; %bb.8:
	v_mov_b64_e32 v[2:3], 0
	v_lshlrev_b32_e32 v1, 3, v0
	ds_store_b64 v1, v[2:3] offset:2048
                                        ; implicit-def: $vgpr2_vgpr3
; %bb.9:
	s_and_not1_saveexec_b32 s2, s2
	s_cbranch_execz .LBB57_11
; %bb.10:
	v_sub_nc_u64_e64 v[2:3], v[2:3], s[16:17]
	v_xor_b32_e32 v14, 0x80000000, v9
	v_dual_lshlrev_b32 v1, 3, v0 :: v_dual_mov_b32 v15, v8
	s_delay_alu instid0(VALU_DEP_3) | instskip(NEXT) | instid1(VALU_DEP_1)
	v_add_nc_u64_e32 v[2:3], v[2:3], v[10:11]
	v_lshlrev_b64_e32 v[2:3], 3, v[2:3]
	s_delay_alu instid0(VALU_DEP_1)
	v_add_nc_u64_e32 v[4:5], s[6:7], v[2:3]
	v_add_nc_u64_e32 v[2:3], s[8:9], v[2:3]
	global_load_b64 v[4:5], v[4:5], off
	global_load_b64 v[2:3], v[2:3], off
	s_wait_loadcnt 0x1
	s_wait_xcnt 0x1
	v_sub_nc_u64_e64 v[4:5], v[4:5], s[16:17]
	s_wait_loadcnt 0x0
	v_cndmask_b32_e64 v12, v3, -v3, s3
	s_delay_alu instid0(VALU_DEP_1) | instskip(NEXT) | instid1(VALU_DEP_3)
	v_pk_mul_f32 v[12:13], v[12:13], v[14:15] op_sel_hi:[0,1]
	v_lshl_add_u64 v[4:5], v[4:5], 3, s[10:11]
	s_delay_alu instid0(VALU_DEP_2) | instskip(SKIP_3) | instid1(VALU_DEP_1)
	v_pk_fma_f32 v[2:3], v[8:9], v[2:3], v[12:13] op_sel_hi:[1,0,1]
	global_load_b64 v[4:5], v[4:5], off
	s_wait_loadcnt 0x0
	v_pk_mul_f32 v[12:13], v[4:5], v[2:3] op_sel:[1,1] op_sel_hi:[1,0] neg_lo:[0,1]
	v_pk_fma_f32 v[2:3], v[2:3], v[4:5], v[12:13] op_sel_hi:[1,0,1]
	ds_store_b64 v1, v[2:3] offset:2048
.LBB57_11:
	s_or_b32 exec_lo, exec_lo, s15
	v_or_b32_e32 v1, 0x200, v0
	s_mov_b32 s15, exec_lo
	s_delay_alu instid0(VALU_DEP_1) | instskip(NEXT) | instid1(VALU_DEP_1)
	v_lshrrev_b32_e32 v1, s18, v1
	v_add_nc_u32_e32 v1, s14, v1
	s_delay_alu instid0(VALU_DEP_1)
	v_cmpx_gt_u32_e64 s20, v1
	s_cbranch_execz .LBB57_16
; %bb.12:
	global_load_b64 v[2:3], v1, s[12:13] scale_offset
	s_wait_loadcnt 0x0
	v_lshl_add_u64 v[2:3], v[2:3], 3, s[4:5]
	global_load_b128 v[2:5], v[2:3], off
	s_wait_loadcnt 0x0
	v_sub_nc_u64_e32 v[4:5], v[4:5], v[2:3]
	s_delay_alu instid0(VALU_DEP_1) | instskip(SKIP_1) | instid1(SALU_CYCLE_1)
	v_cmp_le_i64_e64 s2, v[4:5], v[10:11]
	s_and_saveexec_b32 s21, s2
	s_xor_b32 s2, exec_lo, s21
; %bb.13:
	v_mov_b64_e32 v[2:3], 0
	v_lshlrev_b32_e32 v1, 3, v0
	ds_store_b64 v1, v[2:3] offset:4096
                                        ; implicit-def: $vgpr2_vgpr3
; %bb.14:
	s_and_not1_saveexec_b32 s2, s2
	s_cbranch_execz .LBB57_16
; %bb.15:
	v_sub_nc_u64_e64 v[2:3], v[2:3], s[16:17]
	v_xor_b32_e32 v14, 0x80000000, v9
	v_dual_lshlrev_b32 v1, 3, v0 :: v_dual_mov_b32 v15, v8
	s_delay_alu instid0(VALU_DEP_3) | instskip(NEXT) | instid1(VALU_DEP_1)
	v_add_nc_u64_e32 v[2:3], v[2:3], v[10:11]
	v_lshlrev_b64_e32 v[2:3], 3, v[2:3]
	s_delay_alu instid0(VALU_DEP_1)
	v_add_nc_u64_e32 v[4:5], s[6:7], v[2:3]
	v_add_nc_u64_e32 v[2:3], s[8:9], v[2:3]
	global_load_b64 v[4:5], v[4:5], off
	global_load_b64 v[2:3], v[2:3], off
	s_wait_loadcnt 0x1
	s_wait_xcnt 0x1
	v_sub_nc_u64_e64 v[4:5], v[4:5], s[16:17]
	s_wait_loadcnt 0x0
	v_cndmask_b32_e64 v12, v3, -v3, s3
	s_delay_alu instid0(VALU_DEP_1) | instskip(NEXT) | instid1(VALU_DEP_3)
	v_pk_mul_f32 v[12:13], v[12:13], v[14:15] op_sel_hi:[0,1]
	v_lshl_add_u64 v[4:5], v[4:5], 3, s[10:11]
	s_delay_alu instid0(VALU_DEP_2) | instskip(SKIP_3) | instid1(VALU_DEP_1)
	v_pk_fma_f32 v[2:3], v[8:9], v[2:3], v[12:13] op_sel_hi:[1,0,1]
	global_load_b64 v[4:5], v[4:5], off
	s_wait_loadcnt 0x0
	v_pk_mul_f32 v[12:13], v[4:5], v[2:3] op_sel:[1,1] op_sel_hi:[1,0] neg_lo:[0,1]
	v_pk_fma_f32 v[2:3], v[2:3], v[4:5], v[12:13] op_sel_hi:[1,0,1]
	ds_store_b64 v1, v[2:3] offset:4096
.LBB57_16:
	s_or_b32 exec_lo, exec_lo, s15
	v_or_b32_e32 v1, 0x300, v0
	s_mov_b32 s15, exec_lo
	s_delay_alu instid0(VALU_DEP_1) | instskip(NEXT) | instid1(VALU_DEP_1)
	v_lshrrev_b32_e32 v1, s18, v1
	v_add_nc_u32_e32 v1, s14, v1
	s_delay_alu instid0(VALU_DEP_1)
	v_cmpx_gt_u32_e64 s20, v1
	s_cbranch_execz .LBB57_21
; %bb.17:
	global_load_b64 v[2:3], v1, s[12:13] scale_offset
	s_wait_xcnt 0x0
	v_lshlrev_b32_e32 v1, 3, v0
	s_wait_loadcnt 0x0
	v_lshl_add_u64 v[2:3], v[2:3], 3, s[4:5]
	global_load_b128 v[2:5], v[2:3], off
	s_wait_loadcnt 0x0
	v_sub_nc_u64_e32 v[4:5], v[4:5], v[2:3]
	s_delay_alu instid0(VALU_DEP_1) | instskip(SKIP_1) | instid1(SALU_CYCLE_1)
	v_cmp_le_i64_e64 s2, v[4:5], v[10:11]
	s_and_saveexec_b32 s4, s2
	s_xor_b32 s2, exec_lo, s4
; %bb.18:
	v_mov_b64_e32 v[2:3], 0
                                        ; implicit-def: $vgpr10_vgpr11
                                        ; implicit-def: $vgpr8_vgpr9
	ds_store_b64 v1, v[2:3] offset:6144
                                        ; implicit-def: $vgpr2_vgpr3
                                        ; implicit-def: $vgpr1
; %bb.19:
	s_and_not1_saveexec_b32 s2, s2
	s_cbranch_execz .LBB57_21
; %bb.20:
	v_sub_nc_u64_e64 v[2:3], v[2:3], s[16:17]
	v_xor_b32_e32 v12, 0x80000000, v9
	v_mov_b32_e32 v13, v8
	s_delay_alu instid0(VALU_DEP_3) | instskip(NEXT) | instid1(VALU_DEP_1)
	v_add_nc_u64_e32 v[2:3], v[2:3], v[10:11]
	v_lshlrev_b64_e32 v[2:3], 3, v[2:3]
	s_delay_alu instid0(VALU_DEP_1)
	v_add_nc_u64_e32 v[4:5], s[6:7], v[2:3]
	v_add_nc_u64_e32 v[2:3], s[8:9], v[2:3]
	global_load_b64 v[4:5], v[4:5], off
	global_load_b64 v[2:3], v[2:3], off
	s_wait_loadcnt 0x1
	s_wait_xcnt 0x1
	v_sub_nc_u64_e64 v[4:5], v[4:5], s[16:17]
	s_wait_loadcnt 0x0
	v_cndmask_b32_e64 v10, v3, -v3, s3
	s_delay_alu instid0(VALU_DEP_1) | instskip(NEXT) | instid1(VALU_DEP_3)
	v_pk_mul_f32 v[10:11], v[10:11], v[12:13] op_sel_hi:[0,1]
	v_lshl_add_u64 v[4:5], v[4:5], 3, s[10:11]
	s_delay_alu instid0(VALU_DEP_2) | instskip(SKIP_3) | instid1(VALU_DEP_1)
	v_pk_fma_f32 v[2:3], v[8:9], v[2:3], v[10:11] op_sel_hi:[1,0,1]
	global_load_b64 v[4:5], v[4:5], off
	s_wait_loadcnt 0x0
	v_pk_mul_f32 v[8:9], v[4:5], v[2:3] op_sel:[1,1] op_sel_hi:[1,0] neg_lo:[0,1]
	v_pk_fma_f32 v[2:3], v[2:3], v[4:5], v[8:9] op_sel_hi:[1,0,1]
	ds_store_b64 v1, v[2:3] offset:6144
.LBB57_21:
	s_or_b32 exec_lo, exec_lo, s15
	s_cmp_lt_u32 s18, 11
	s_wait_dscnt 0x0
	s_barrier_signal -1
	s_barrier_wait -1
	s_cbranch_scc0 .LBB57_30
; %bb.22:
	s_load_b64 s[2:3], s[0:1], 0x58
	s_wait_xcnt 0x0
	v_cmp_neq_f32_e64 s0, 0, v6
	s_mov_b32 s15, 0
	v_xor_b32_e32 v2, 0x80000000, v7
	v_mov_b32_e32 v3, v6
	s_lshl_b64 s[4:5], s[14:15], 3
	s_sub_co_i32 s1, s20, s14
	s_add_nc_u64 s[4:5], s[12:13], s[4:5]
	s_or_b32 s0, s0, vcc_lo
	s_branch .LBB57_25
.LBB57_23:                              ;   in Loop: Header=BB57_25 Depth=1
	s_wait_xcnt 0x0
	s_or_b32 exec_lo, exec_lo, s7
	global_store_b64 v[8:9], v[4:5], off
.LBB57_24:                              ;   in Loop: Header=BB57_25 Depth=1
	s_wait_xcnt 0x0
	s_or_b32 exec_lo, exec_lo, s6
	s_addk_co_i32 s15, 0x100
	s_delay_alu instid0(SALU_CYCLE_1)
	s_cmp_lt_u32 s15, s19
	s_cbranch_scc0 .LBB57_30
.LBB57_25:                              ; =>This Loop Header: Depth=1
                                        ;     Child Loop BB57_27 Depth 2
	v_add_nc_u32_e32 v1, s15, v0
	s_mov_b32 s6, exec_lo
	s_delay_alu instid0(VALU_DEP_1)
	v_cmpx_gt_u32_e64 s1, v1
	s_cbranch_execz .LBB57_24
; %bb.26:                               ;   in Loop: Header=BB57_25 Depth=1
	global_load_b64 v[8:9], v1, s[4:5] scale_offset
	s_wait_xcnt 0x0
	v_dual_mov_b32 v4, 0 :: v_dual_lshlrev_b32 v1, s18, v1
	s_mov_b32 s7, 1
	s_delay_alu instid0(VALU_DEP_1)
	v_dual_lshlrev_b32 v1, 3, v1 :: v_dual_mov_b32 v5, v4
.LBB57_27:                              ;   Parent Loop BB57_25 Depth=1
                                        ; =>  This Inner Loop Header: Depth=2
	ds_load_b64 v[10:11], v1
	v_add_nc_u32_e32 v1, 8, v1
	s_lshr_b32 s8, s7, s18
	s_add_co_i32 s7, s7, 1
	s_cmp_lg_u32 s8, 0
	s_wait_dscnt 0x0
	v_pk_add_f32 v[4:5], v[4:5], v[10:11]
	s_cbranch_scc0 .LBB57_27
; %bb.28:                               ;   in Loop: Header=BB57_25 Depth=1
	s_wait_loadcnt 0x0
	s_wait_kmcnt 0x0
	v_lshl_add_u64 v[8:9], v[8:9], 3, s[2:3]
	s_and_saveexec_b32 s7, s0
	s_cbranch_execz .LBB57_23
; %bb.29:                               ;   in Loop: Header=BB57_25 Depth=1
	global_load_b64 v[10:11], v[8:9], off
	s_wait_loadcnt 0x0
	v_pk_fma_f32 v[4:5], v[6:7], v[10:11], v[4:5] op_sel_hi:[1,0,1]
	s_delay_alu instid0(VALU_DEP_1)
	v_pk_fma_f32 v[4:5], v[2:3], v[10:11], v[4:5] op_sel:[0,1,0]
	s_branch .LBB57_23
.LBB57_30:
	s_endpgm
	.section	.rodata,"a",@progbits
	.p2align	6, 0x0
	.amdhsa_kernel _ZN9rocsparseL30csrmvn_lrb_short_rows_2_kernelIll21rocsparse_complex_numIfES2_S2_S2_EEvbT_PT0_S5_jNS_24const_host_device_scalarIT4_EEPKS3_PKS4_PKT1_PKT2_S8_PT3_21rocsparse_index_base_b
		.amdhsa_group_segment_fixed_size 8192
		.amdhsa_private_segment_fixed_size 0
		.amdhsa_kernarg_size 104
		.amdhsa_user_sgpr_count 2
		.amdhsa_user_sgpr_dispatch_ptr 0
		.amdhsa_user_sgpr_queue_ptr 0
		.amdhsa_user_sgpr_kernarg_segment_ptr 1
		.amdhsa_user_sgpr_dispatch_id 0
		.amdhsa_user_sgpr_kernarg_preload_length 0
		.amdhsa_user_sgpr_kernarg_preload_offset 0
		.amdhsa_user_sgpr_private_segment_size 0
		.amdhsa_wavefront_size32 1
		.amdhsa_uses_dynamic_stack 0
		.amdhsa_enable_private_segment 0
		.amdhsa_system_sgpr_workgroup_id_x 1
		.amdhsa_system_sgpr_workgroup_id_y 0
		.amdhsa_system_sgpr_workgroup_id_z 0
		.amdhsa_system_sgpr_workgroup_info 0
		.amdhsa_system_vgpr_workitem_id 0
		.amdhsa_next_free_vgpr 16
		.amdhsa_next_free_sgpr 24
		.amdhsa_named_barrier_count 0
		.amdhsa_reserve_vcc 1
		.amdhsa_float_round_mode_32 0
		.amdhsa_float_round_mode_16_64 0
		.amdhsa_float_denorm_mode_32 3
		.amdhsa_float_denorm_mode_16_64 3
		.amdhsa_fp16_overflow 0
		.amdhsa_memory_ordered 1
		.amdhsa_forward_progress 1
		.amdhsa_inst_pref_size 15
		.amdhsa_round_robin_scheduling 0
		.amdhsa_exception_fp_ieee_invalid_op 0
		.amdhsa_exception_fp_denorm_src 0
		.amdhsa_exception_fp_ieee_div_zero 0
		.amdhsa_exception_fp_ieee_overflow 0
		.amdhsa_exception_fp_ieee_underflow 0
		.amdhsa_exception_fp_ieee_inexact 0
		.amdhsa_exception_int_div_zero 0
	.end_amdhsa_kernel
	.section	.text._ZN9rocsparseL30csrmvn_lrb_short_rows_2_kernelIll21rocsparse_complex_numIfES2_S2_S2_EEvbT_PT0_S5_jNS_24const_host_device_scalarIT4_EEPKS3_PKS4_PKT1_PKT2_S8_PT3_21rocsparse_index_base_b,"axG",@progbits,_ZN9rocsparseL30csrmvn_lrb_short_rows_2_kernelIll21rocsparse_complex_numIfES2_S2_S2_EEvbT_PT0_S5_jNS_24const_host_device_scalarIT4_EEPKS3_PKS4_PKT1_PKT2_S8_PT3_21rocsparse_index_base_b,comdat
.Lfunc_end57:
	.size	_ZN9rocsparseL30csrmvn_lrb_short_rows_2_kernelIll21rocsparse_complex_numIfES2_S2_S2_EEvbT_PT0_S5_jNS_24const_host_device_scalarIT4_EEPKS3_PKS4_PKT1_PKT2_S8_PT3_21rocsparse_index_base_b, .Lfunc_end57-_ZN9rocsparseL30csrmvn_lrb_short_rows_2_kernelIll21rocsparse_complex_numIfES2_S2_S2_EEvbT_PT0_S5_jNS_24const_host_device_scalarIT4_EEPKS3_PKS4_PKT1_PKT2_S8_PT3_21rocsparse_index_base_b
                                        ; -- End function
	.set _ZN9rocsparseL30csrmvn_lrb_short_rows_2_kernelIll21rocsparse_complex_numIfES2_S2_S2_EEvbT_PT0_S5_jNS_24const_host_device_scalarIT4_EEPKS3_PKS4_PKT1_PKT2_S8_PT3_21rocsparse_index_base_b.num_vgpr, 16
	.set _ZN9rocsparseL30csrmvn_lrb_short_rows_2_kernelIll21rocsparse_complex_numIfES2_S2_S2_EEvbT_PT0_S5_jNS_24const_host_device_scalarIT4_EEPKS3_PKS4_PKT1_PKT2_S8_PT3_21rocsparse_index_base_b.num_agpr, 0
	.set _ZN9rocsparseL30csrmvn_lrb_short_rows_2_kernelIll21rocsparse_complex_numIfES2_S2_S2_EEvbT_PT0_S5_jNS_24const_host_device_scalarIT4_EEPKS3_PKS4_PKT1_PKT2_S8_PT3_21rocsparse_index_base_b.numbered_sgpr, 24
	.set _ZN9rocsparseL30csrmvn_lrb_short_rows_2_kernelIll21rocsparse_complex_numIfES2_S2_S2_EEvbT_PT0_S5_jNS_24const_host_device_scalarIT4_EEPKS3_PKS4_PKT1_PKT2_S8_PT3_21rocsparse_index_base_b.num_named_barrier, 0
	.set _ZN9rocsparseL30csrmvn_lrb_short_rows_2_kernelIll21rocsparse_complex_numIfES2_S2_S2_EEvbT_PT0_S5_jNS_24const_host_device_scalarIT4_EEPKS3_PKS4_PKT1_PKT2_S8_PT3_21rocsparse_index_base_b.private_seg_size, 0
	.set _ZN9rocsparseL30csrmvn_lrb_short_rows_2_kernelIll21rocsparse_complex_numIfES2_S2_S2_EEvbT_PT0_S5_jNS_24const_host_device_scalarIT4_EEPKS3_PKS4_PKT1_PKT2_S8_PT3_21rocsparse_index_base_b.uses_vcc, 1
	.set _ZN9rocsparseL30csrmvn_lrb_short_rows_2_kernelIll21rocsparse_complex_numIfES2_S2_S2_EEvbT_PT0_S5_jNS_24const_host_device_scalarIT4_EEPKS3_PKS4_PKT1_PKT2_S8_PT3_21rocsparse_index_base_b.uses_flat_scratch, 1
	.set _ZN9rocsparseL30csrmvn_lrb_short_rows_2_kernelIll21rocsparse_complex_numIfES2_S2_S2_EEvbT_PT0_S5_jNS_24const_host_device_scalarIT4_EEPKS3_PKS4_PKT1_PKT2_S8_PT3_21rocsparse_index_base_b.has_dyn_sized_stack, 0
	.set _ZN9rocsparseL30csrmvn_lrb_short_rows_2_kernelIll21rocsparse_complex_numIfES2_S2_S2_EEvbT_PT0_S5_jNS_24const_host_device_scalarIT4_EEPKS3_PKS4_PKT1_PKT2_S8_PT3_21rocsparse_index_base_b.has_recursion, 0
	.set _ZN9rocsparseL30csrmvn_lrb_short_rows_2_kernelIll21rocsparse_complex_numIfES2_S2_S2_EEvbT_PT0_S5_jNS_24const_host_device_scalarIT4_EEPKS3_PKS4_PKT1_PKT2_S8_PT3_21rocsparse_index_base_b.has_indirect_call, 0
	.section	.AMDGPU.csdata,"",@progbits
; Kernel info:
; codeLenInByte = 1852
; TotalNumSgprs: 26
; NumVgprs: 16
; ScratchSize: 0
; MemoryBound: 0
; FloatMode: 240
; IeeeMode: 1
; LDSByteSize: 8192 bytes/workgroup (compile time only)
; SGPRBlocks: 0
; VGPRBlocks: 0
; NumSGPRsForWavesPerEU: 26
; NumVGPRsForWavesPerEU: 16
; NamedBarCnt: 0
; Occupancy: 16
; WaveLimiterHint : 1
; COMPUTE_PGM_RSRC2:SCRATCH_EN: 0
; COMPUTE_PGM_RSRC2:USER_SGPR: 2
; COMPUTE_PGM_RSRC2:TRAP_HANDLER: 0
; COMPUTE_PGM_RSRC2:TGID_X_EN: 1
; COMPUTE_PGM_RSRC2:TGID_Y_EN: 0
; COMPUTE_PGM_RSRC2:TGID_Z_EN: 0
; COMPUTE_PGM_RSRC2:TIDIG_COMP_CNT: 0
	.section	.text._ZN9rocsparseL41csrmvn_lrb_medium_rows_warp_reduce_kernelILj256ELj32Ell21rocsparse_complex_numIfES2_S2_S2_EEvbT1_lPT2_S5_jNS_24const_host_device_scalarIT6_EEPKS3_PKS4_PKT3_PKT4_S8_PT5_21rocsparse_index_base_b,"axG",@progbits,_ZN9rocsparseL41csrmvn_lrb_medium_rows_warp_reduce_kernelILj256ELj32Ell21rocsparse_complex_numIfES2_S2_S2_EEvbT1_lPT2_S5_jNS_24const_host_device_scalarIT6_EEPKS3_PKS4_PKT3_PKT4_S8_PT5_21rocsparse_index_base_b,comdat
	.globl	_ZN9rocsparseL41csrmvn_lrb_medium_rows_warp_reduce_kernelILj256ELj32Ell21rocsparse_complex_numIfES2_S2_S2_EEvbT1_lPT2_S5_jNS_24const_host_device_scalarIT6_EEPKS3_PKS4_PKT3_PKT4_S8_PT5_21rocsparse_index_base_b ; -- Begin function _ZN9rocsparseL41csrmvn_lrb_medium_rows_warp_reduce_kernelILj256ELj32Ell21rocsparse_complex_numIfES2_S2_S2_EEvbT1_lPT2_S5_jNS_24const_host_device_scalarIT6_EEPKS3_PKS4_PKT3_PKT4_S8_PT5_21rocsparse_index_base_b
	.p2align	8
	.type	_ZN9rocsparseL41csrmvn_lrb_medium_rows_warp_reduce_kernelILj256ELj32Ell21rocsparse_complex_numIfES2_S2_S2_EEvbT1_lPT2_S5_jNS_24const_host_device_scalarIT6_EEPKS3_PKS4_PKT3_PKT4_S8_PT5_21rocsparse_index_base_b,@function
_ZN9rocsparseL41csrmvn_lrb_medium_rows_warp_reduce_kernelILj256ELj32Ell21rocsparse_complex_numIfES2_S2_S2_EEvbT1_lPT2_S5_jNS_24const_host_device_scalarIT6_EEPKS3_PKS4_PKT3_PKT4_S8_PT5_21rocsparse_index_base_b: ; @_ZN9rocsparseL41csrmvn_lrb_medium_rows_warp_reduce_kernelILj256ELj32Ell21rocsparse_complex_numIfES2_S2_S2_EEvbT1_lPT2_S5_jNS_24const_host_device_scalarIT6_EEPKS3_PKS4_PKT3_PKT4_S8_PT5_21rocsparse_index_base_b
; %bb.0:
	s_clause 0x2
	s_load_b64 s[6:7], s[0:1], 0x68
	s_load_b64 s[2:3], s[0:1], 0x30
	;; [unrolled: 1-line block ×3, first 2 shown]
	v_mov_b32_e32 v1, 0
	s_add_nc_u64 s[8:9], s[0:1], 48
	s_add_nc_u64 s[10:11], s[0:1], 0x58
	s_wait_kmcnt 0x0
	s_bitcmp1_b32 s7, 0
	s_cselect_b32 s3, s9, s3
	s_cselect_b32 s2, s8, s2
	;; [unrolled: 1-line block ×4, first 2 shown]
	s_clause 0x1
	flat_load_b64 v[6:7], v1, s[2:3]
	flat_load_b64 v[2:3], v1, s[4:5]
	s_wait_loadcnt_dscnt 0x101
	s_wait_xcnt 0x1
	v_cmp_neq_f32_e64 s2, 0, v6
	v_cmp_neq_f32_e64 s3, 0, v7
	s_wait_loadcnt_dscnt 0x0
	v_cmp_neq_f32_e64 s4, 1.0, v2
	v_cmp_neq_f32_e32 vcc_lo, 0, v3
	s_or_b32 s2, s2, s3
	s_or_b32 s3, s4, vcc_lo
	s_delay_alu instid0(SALU_CYCLE_1) | instskip(NEXT) | instid1(SALU_CYCLE_1)
	s_or_b32 s2, s2, s3
	s_and_saveexec_b32 s3, s2
	s_cbranch_execz .LBB58_10
; %bb.1:
	s_bfe_u32 s4, ttmp6, 0x4000c
	s_load_b64 s[2:3], s[0:1], 0x10
	s_add_co_i32 s4, s4, 1
	s_and_b32 s5, ttmp6, 15
	s_mul_i32 s4, ttmp9, s4
	s_getreg_b32 s7, hwreg(HW_REG_IB_STS2, 6, 4)
	v_lshrrev_b32_e32 v1, 5, v0
	s_add_co_i32 s5, s5, s4
	s_cmp_eq_u32 s7, 0
	s_cselect_b32 s4, ttmp9, s5
	s_delay_alu instid0(VALU_DEP_1) | instid1(SALU_CYCLE_1)
	v_lshl_or_b32 v4, s4, 3, v1
	s_delay_alu instid0(VALU_DEP_1) | instskip(SKIP_1) | instid1(VALU_DEP_1)
	v_ashrrev_i32_e32 v5, 31, v4
	s_wait_kmcnt 0x0
	v_cmp_gt_i64_e64 s2, s[2:3], v[4:5]
	s_and_b32 exec_lo, exec_lo, s2
	s_cbranch_execz .LBB58_10
; %bb.2:
	s_clause 0x1
	s_load_b128 s[8:11], s[0:1], 0x18
	s_load_b32 s2, s[0:1], 0x28
	v_dual_mov_b32 v1, 0 :: v_dual_bitop2_b32 v0, 31, v0 bitop3:0x40
	s_mov_b32 s7, 0
	s_delay_alu instid0(VALU_DEP_1) | instid1(SALU_CYCLE_1)
	v_sub_nc_u64_e64 v[12:13], v[0:1], s[6:7]
	s_wait_kmcnt 0x0
	s_load_b64 s[2:3], s[10:11], s2 offset:0x0 scale_offset
	s_wait_kmcnt 0x0
	s_lshl_b64 s[2:3], s[2:3], 3
	s_delay_alu instid0(SALU_CYCLE_1) | instskip(NEXT) | instid1(SALU_CYCLE_1)
	s_add_nc_u64 s[2:3], s[8:9], s[2:3]
	v_lshl_add_u64 v[4:5], v[4:5], 3, s[2:3]
	s_load_b64 s[2:3], s[0:1], 0x38
	global_load_b64 v[4:5], v[4:5], off
	s_wait_loadcnt 0x0
	s_wait_kmcnt 0x0
	v_lshl_add_u64 v[8:9], v[4:5], 3, s[2:3]
	s_mov_b32 s3, exec_lo
	global_load_b128 v[8:11], v[8:9], off
	s_wait_loadcnt 0x0
	v_sub_nc_u64_e64 v[10:11], v[10:11], s[6:7]
	v_add_nc_u64_e32 v[12:13], v[8:9], v[12:13]
	v_dual_mov_b32 v9, v1 :: v_dual_mov_b32 v8, v1
	s_delay_alu instid0(VALU_DEP_2)
	v_cmpx_lt_i64_e64 v[12:13], v[10:11]
	s_cbranch_execz .LBB58_6
; %bb.3:
	s_clause 0x1
	s_load_b128 s[8:11], s[0:1], 0x40
	s_load_b32 s2, s[0:1], 0x0
	v_lshlrev_b64_e32 v[18:19], 3, v[12:13]
	s_load_b64 s[4:5], s[0:1], 0x50
	v_dual_mov_b32 v9, 0 :: v_dual_mov_b32 v15, v6
	v_xor_b32_e32 v14, 0x80000000, v7
	s_delay_alu instid0(VALU_DEP_2) | instskip(SKIP_1) | instid1(VALU_DEP_4)
	v_mov_b32_e32 v8, v9
	s_wait_kmcnt 0x0
	v_add_nc_u64_e32 v[16:17], s[10:11], v[18:19]
	v_add_nc_u64_e32 v[18:19], s[8:9], v[18:19]
	s_bitcmp1_b32 s2, 0
	s_mov_b32 s8, s7
	s_cselect_b32 s9, -1, 0
	s_delay_alu instid0(VALU_DEP_2)
	v_add_nc_u64_e32 v[16:17], 4, v[16:17]
.LBB58_4:                               ; =>This Inner Loop Header: Depth=1
	global_load_b64 v[20:21], v[18:19], off
	global_load_b64 v[22:23], v[16:17], off offset:-4
	v_add_nc_u64_e32 v[12:13], 32, v[12:13]
	s_wait_xcnt 0x0
	v_add_nc_u64_e32 v[16:17], 0x100, v[16:17]
	v_add_nc_u64_e32 v[18:19], 0x100, v[18:19]
	s_delay_alu instid0(VALU_DEP_3)
	v_cmp_ge_i64_e64 s2, v[12:13], v[10:11]
	s_or_b32 s8, s2, s8
	s_wait_loadcnt 0x1
	v_sub_nc_u64_e64 v[20:21], v[20:21], s[6:7]
	s_wait_loadcnt 0x0
	v_cndmask_b32_e64 v24, v23, -v23, s9
	s_delay_alu instid0(VALU_DEP_1) | instskip(NEXT) | instid1(VALU_DEP_3)
	v_pk_mul_f32 v[24:25], v[24:25], v[14:15] op_sel_hi:[0,1]
	v_lshl_add_u64 v[20:21], v[20:21], 3, s[4:5]
	s_delay_alu instid0(VALU_DEP_2) | instskip(SKIP_3) | instid1(VALU_DEP_1)
	v_pk_fma_f32 v[22:23], v[6:7], v[22:23], v[24:25] op_sel_hi:[1,0,1]
	global_load_b64 v[20:21], v[20:21], off
	s_wait_loadcnt 0x0
	v_pk_fma_f32 v[8:9], v[22:23], v[20:21], v[8:9] op_sel_hi:[1,0,1]
	v_pk_fma_f32 v[8:9], v[22:23], v[20:21], v[8:9] op_sel:[1,1,0] op_sel_hi:[0,1,1] neg_lo:[1,0,0]
	s_and_not1_b32 exec_lo, exec_lo, s8
	s_cbranch_execnz .LBB58_4
; %bb.5:
	s_or_b32 exec_lo, exec_lo, s8
.LBB58_6:
	s_delay_alu instid0(SALU_CYCLE_1) | instskip(SKIP_2) | instid1(VALU_DEP_1)
	s_or_b32 exec_lo, exec_lo, s3
	v_mbcnt_lo_u32_b32 v1, -1, 0
	s_load_b64 s[2:3], s[0:1], 0x60
	v_xor_b32_e32 v10, 8, v1
	v_xor_b32_e32 v6, 16, v1
	s_wait_xcnt 0x0
	s_delay_alu instid0(VALU_DEP_1) | instskip(NEXT) | instid1(VALU_DEP_1)
	v_cmp_gt_i32_e64 s0, 32, v6
	v_cndmask_b32_e64 v6, v1, v6, s0
	v_cmp_gt_i32_e64 s0, 32, v10
	s_delay_alu instid0(VALU_DEP_2) | instskip(NEXT) | instid1(VALU_DEP_2)
	v_lshlrev_b32_e32 v7, 2, v6
	v_cndmask_b32_e64 v10, v1, v10, s0
	ds_bpermute_b32 v6, v7, v8
	ds_bpermute_b32 v7, v7, v9
	v_lshlrev_b32_e32 v10, 2, v10
	s_wait_dscnt 0x0
	v_pk_add_f32 v[6:7], v[8:9], v[6:7]
	ds_bpermute_b32 v8, v10, v6
	ds_bpermute_b32 v9, v10, v7
	v_xor_b32_e32 v10, 4, v1
	s_delay_alu instid0(VALU_DEP_1) | instskip(NEXT) | instid1(VALU_DEP_1)
	v_cmp_gt_i32_e64 s0, 32, v10
	v_cndmask_b32_e64 v10, v1, v10, s0
	s_delay_alu instid0(VALU_DEP_1)
	v_lshlrev_b32_e32 v10, 2, v10
	s_wait_dscnt 0x0
	v_pk_add_f32 v[6:7], v[6:7], v[8:9]
	ds_bpermute_b32 v8, v10, v6
	ds_bpermute_b32 v9, v10, v7
	v_xor_b32_e32 v10, 2, v1
	s_delay_alu instid0(VALU_DEP_1) | instskip(NEXT) | instid1(VALU_DEP_1)
	v_cmp_gt_i32_e64 s0, 32, v10
	v_cndmask_b32_e64 v10, v1, v10, s0
	s_delay_alu instid0(VALU_DEP_1)
	v_lshlrev_b32_e32 v10, 2, v10
	s_wait_dscnt 0x0
	v_pk_add_f32 v[6:7], v[6:7], v[8:9]
	ds_bpermute_b32 v8, v10, v6
	ds_bpermute_b32 v9, v10, v7
	v_xor_b32_e32 v10, 1, v1
	s_delay_alu instid0(VALU_DEP_1) | instskip(NEXT) | instid1(VALU_DEP_1)
	v_cmp_gt_i32_e64 s0, 32, v10
	v_cndmask_b32_e64 v1, v1, v10, s0
	v_cmp_eq_u32_e64 s0, 31, v0
	s_delay_alu instid0(VALU_DEP_2)
	v_lshlrev_b32_e32 v1, 2, v1
	s_wait_dscnt 0x0
	v_pk_add_f32 v[6:7], v[6:7], v[8:9]
	ds_bpermute_b32 v8, v1, v6
	ds_bpermute_b32 v9, v1, v7
	s_and_b32 exec_lo, exec_lo, s0
	s_cbranch_execz .LBB58_10
; %bb.7:
	v_cmp_neq_f32_e64 s0, 0, v2
	s_wait_dscnt 0x0
	v_pk_add_f32 v[6:7], v[6:7], v[8:9]
	s_wait_kmcnt 0x0
	v_lshl_add_u64 v[0:1], v[4:5], 3, s[2:3]
	s_or_b32 s1, s0, vcc_lo
	s_delay_alu instid0(SALU_CYCLE_1)
	s_and_saveexec_b32 s0, s1
	s_cbranch_execz .LBB58_9
; %bb.8:
	global_load_b64 v[4:5], v[0:1], off
	v_xor_b32_e32 v8, 0x80000000, v3
	v_mov_b32_e32 v9, v2
	s_wait_loadcnt 0x0
	v_pk_fma_f32 v[6:7], v[2:3], v[4:5], v[6:7] op_sel_hi:[1,0,1]
	s_delay_alu instid0(VALU_DEP_1)
	v_pk_fma_f32 v[6:7], v[8:9], v[4:5], v[6:7] op_sel:[0,1,0]
.LBB58_9:
	s_or_b32 exec_lo, exec_lo, s0
	global_store_b64 v[0:1], v[6:7], off
.LBB58_10:
	s_endpgm
	.section	.rodata,"a",@progbits
	.p2align	6, 0x0
	.amdhsa_kernel _ZN9rocsparseL41csrmvn_lrb_medium_rows_warp_reduce_kernelILj256ELj32Ell21rocsparse_complex_numIfES2_S2_S2_EEvbT1_lPT2_S5_jNS_24const_host_device_scalarIT6_EEPKS3_PKS4_PKT3_PKT4_S8_PT5_21rocsparse_index_base_b
		.amdhsa_group_segment_fixed_size 0
		.amdhsa_private_segment_fixed_size 0
		.amdhsa_kernarg_size 112
		.amdhsa_user_sgpr_count 2
		.amdhsa_user_sgpr_dispatch_ptr 0
		.amdhsa_user_sgpr_queue_ptr 0
		.amdhsa_user_sgpr_kernarg_segment_ptr 1
		.amdhsa_user_sgpr_dispatch_id 0
		.amdhsa_user_sgpr_kernarg_preload_length 0
		.amdhsa_user_sgpr_kernarg_preload_offset 0
		.amdhsa_user_sgpr_private_segment_size 0
		.amdhsa_wavefront_size32 1
		.amdhsa_uses_dynamic_stack 0
		.amdhsa_enable_private_segment 0
		.amdhsa_system_sgpr_workgroup_id_x 1
		.amdhsa_system_sgpr_workgroup_id_y 0
		.amdhsa_system_sgpr_workgroup_id_z 0
		.amdhsa_system_sgpr_workgroup_info 0
		.amdhsa_system_vgpr_workitem_id 0
		.amdhsa_next_free_vgpr 26
		.amdhsa_next_free_sgpr 12
		.amdhsa_named_barrier_count 0
		.amdhsa_reserve_vcc 1
		.amdhsa_float_round_mode_32 0
		.amdhsa_float_round_mode_16_64 0
		.amdhsa_float_denorm_mode_32 3
		.amdhsa_float_denorm_mode_16_64 3
		.amdhsa_fp16_overflow 0
		.amdhsa_memory_ordered 1
		.amdhsa_forward_progress 1
		.amdhsa_inst_pref_size 9
		.amdhsa_round_robin_scheduling 0
		.amdhsa_exception_fp_ieee_invalid_op 0
		.amdhsa_exception_fp_denorm_src 0
		.amdhsa_exception_fp_ieee_div_zero 0
		.amdhsa_exception_fp_ieee_overflow 0
		.amdhsa_exception_fp_ieee_underflow 0
		.amdhsa_exception_fp_ieee_inexact 0
		.amdhsa_exception_int_div_zero 0
	.end_amdhsa_kernel
	.section	.text._ZN9rocsparseL41csrmvn_lrb_medium_rows_warp_reduce_kernelILj256ELj32Ell21rocsparse_complex_numIfES2_S2_S2_EEvbT1_lPT2_S5_jNS_24const_host_device_scalarIT6_EEPKS3_PKS4_PKT3_PKT4_S8_PT5_21rocsparse_index_base_b,"axG",@progbits,_ZN9rocsparseL41csrmvn_lrb_medium_rows_warp_reduce_kernelILj256ELj32Ell21rocsparse_complex_numIfES2_S2_S2_EEvbT1_lPT2_S5_jNS_24const_host_device_scalarIT6_EEPKS3_PKS4_PKT3_PKT4_S8_PT5_21rocsparse_index_base_b,comdat
.Lfunc_end58:
	.size	_ZN9rocsparseL41csrmvn_lrb_medium_rows_warp_reduce_kernelILj256ELj32Ell21rocsparse_complex_numIfES2_S2_S2_EEvbT1_lPT2_S5_jNS_24const_host_device_scalarIT6_EEPKS3_PKS4_PKT3_PKT4_S8_PT5_21rocsparse_index_base_b, .Lfunc_end58-_ZN9rocsparseL41csrmvn_lrb_medium_rows_warp_reduce_kernelILj256ELj32Ell21rocsparse_complex_numIfES2_S2_S2_EEvbT1_lPT2_S5_jNS_24const_host_device_scalarIT6_EEPKS3_PKS4_PKT3_PKT4_S8_PT5_21rocsparse_index_base_b
                                        ; -- End function
	.set _ZN9rocsparseL41csrmvn_lrb_medium_rows_warp_reduce_kernelILj256ELj32Ell21rocsparse_complex_numIfES2_S2_S2_EEvbT1_lPT2_S5_jNS_24const_host_device_scalarIT6_EEPKS3_PKS4_PKT3_PKT4_S8_PT5_21rocsparse_index_base_b.num_vgpr, 26
	.set _ZN9rocsparseL41csrmvn_lrb_medium_rows_warp_reduce_kernelILj256ELj32Ell21rocsparse_complex_numIfES2_S2_S2_EEvbT1_lPT2_S5_jNS_24const_host_device_scalarIT6_EEPKS3_PKS4_PKT3_PKT4_S8_PT5_21rocsparse_index_base_b.num_agpr, 0
	.set _ZN9rocsparseL41csrmvn_lrb_medium_rows_warp_reduce_kernelILj256ELj32Ell21rocsparse_complex_numIfES2_S2_S2_EEvbT1_lPT2_S5_jNS_24const_host_device_scalarIT6_EEPKS3_PKS4_PKT3_PKT4_S8_PT5_21rocsparse_index_base_b.numbered_sgpr, 12
	.set _ZN9rocsparseL41csrmvn_lrb_medium_rows_warp_reduce_kernelILj256ELj32Ell21rocsparse_complex_numIfES2_S2_S2_EEvbT1_lPT2_S5_jNS_24const_host_device_scalarIT6_EEPKS3_PKS4_PKT3_PKT4_S8_PT5_21rocsparse_index_base_b.num_named_barrier, 0
	.set _ZN9rocsparseL41csrmvn_lrb_medium_rows_warp_reduce_kernelILj256ELj32Ell21rocsparse_complex_numIfES2_S2_S2_EEvbT1_lPT2_S5_jNS_24const_host_device_scalarIT6_EEPKS3_PKS4_PKT3_PKT4_S8_PT5_21rocsparse_index_base_b.private_seg_size, 0
	.set _ZN9rocsparseL41csrmvn_lrb_medium_rows_warp_reduce_kernelILj256ELj32Ell21rocsparse_complex_numIfES2_S2_S2_EEvbT1_lPT2_S5_jNS_24const_host_device_scalarIT6_EEPKS3_PKS4_PKT3_PKT4_S8_PT5_21rocsparse_index_base_b.uses_vcc, 1
	.set _ZN9rocsparseL41csrmvn_lrb_medium_rows_warp_reduce_kernelILj256ELj32Ell21rocsparse_complex_numIfES2_S2_S2_EEvbT1_lPT2_S5_jNS_24const_host_device_scalarIT6_EEPKS3_PKS4_PKT3_PKT4_S8_PT5_21rocsparse_index_base_b.uses_flat_scratch, 1
	.set _ZN9rocsparseL41csrmvn_lrb_medium_rows_warp_reduce_kernelILj256ELj32Ell21rocsparse_complex_numIfES2_S2_S2_EEvbT1_lPT2_S5_jNS_24const_host_device_scalarIT6_EEPKS3_PKS4_PKT3_PKT4_S8_PT5_21rocsparse_index_base_b.has_dyn_sized_stack, 0
	.set _ZN9rocsparseL41csrmvn_lrb_medium_rows_warp_reduce_kernelILj256ELj32Ell21rocsparse_complex_numIfES2_S2_S2_EEvbT1_lPT2_S5_jNS_24const_host_device_scalarIT6_EEPKS3_PKS4_PKT3_PKT4_S8_PT5_21rocsparse_index_base_b.has_recursion, 0
	.set _ZN9rocsparseL41csrmvn_lrb_medium_rows_warp_reduce_kernelILj256ELj32Ell21rocsparse_complex_numIfES2_S2_S2_EEvbT1_lPT2_S5_jNS_24const_host_device_scalarIT6_EEPKS3_PKS4_PKT3_PKT4_S8_PT5_21rocsparse_index_base_b.has_indirect_call, 0
	.section	.AMDGPU.csdata,"",@progbits
; Kernel info:
; codeLenInByte = 1120
; TotalNumSgprs: 14
; NumVgprs: 26
; ScratchSize: 0
; MemoryBound: 0
; FloatMode: 240
; IeeeMode: 1
; LDSByteSize: 0 bytes/workgroup (compile time only)
; SGPRBlocks: 0
; VGPRBlocks: 1
; NumSGPRsForWavesPerEU: 14
; NumVGPRsForWavesPerEU: 26
; NamedBarCnt: 0
; Occupancy: 16
; WaveLimiterHint : 1
; COMPUTE_PGM_RSRC2:SCRATCH_EN: 0
; COMPUTE_PGM_RSRC2:USER_SGPR: 2
; COMPUTE_PGM_RSRC2:TRAP_HANDLER: 0
; COMPUTE_PGM_RSRC2:TGID_X_EN: 1
; COMPUTE_PGM_RSRC2:TGID_Y_EN: 0
; COMPUTE_PGM_RSRC2:TGID_Z_EN: 0
; COMPUTE_PGM_RSRC2:TIDIG_COMP_CNT: 0
	.section	.text._ZN9rocsparseL41csrmvn_lrb_medium_rows_warp_reduce_kernelILj256ELj64Ell21rocsparse_complex_numIfES2_S2_S2_EEvbT1_lPT2_S5_jNS_24const_host_device_scalarIT6_EEPKS3_PKS4_PKT3_PKT4_S8_PT5_21rocsparse_index_base_b,"axG",@progbits,_ZN9rocsparseL41csrmvn_lrb_medium_rows_warp_reduce_kernelILj256ELj64Ell21rocsparse_complex_numIfES2_S2_S2_EEvbT1_lPT2_S5_jNS_24const_host_device_scalarIT6_EEPKS3_PKS4_PKT3_PKT4_S8_PT5_21rocsparse_index_base_b,comdat
	.globl	_ZN9rocsparseL41csrmvn_lrb_medium_rows_warp_reduce_kernelILj256ELj64Ell21rocsparse_complex_numIfES2_S2_S2_EEvbT1_lPT2_S5_jNS_24const_host_device_scalarIT6_EEPKS3_PKS4_PKT3_PKT4_S8_PT5_21rocsparse_index_base_b ; -- Begin function _ZN9rocsparseL41csrmvn_lrb_medium_rows_warp_reduce_kernelILj256ELj64Ell21rocsparse_complex_numIfES2_S2_S2_EEvbT1_lPT2_S5_jNS_24const_host_device_scalarIT6_EEPKS3_PKS4_PKT3_PKT4_S8_PT5_21rocsparse_index_base_b
	.p2align	8
	.type	_ZN9rocsparseL41csrmvn_lrb_medium_rows_warp_reduce_kernelILj256ELj64Ell21rocsparse_complex_numIfES2_S2_S2_EEvbT1_lPT2_S5_jNS_24const_host_device_scalarIT6_EEPKS3_PKS4_PKT3_PKT4_S8_PT5_21rocsparse_index_base_b,@function
_ZN9rocsparseL41csrmvn_lrb_medium_rows_warp_reduce_kernelILj256ELj64Ell21rocsparse_complex_numIfES2_S2_S2_EEvbT1_lPT2_S5_jNS_24const_host_device_scalarIT6_EEPKS3_PKS4_PKT3_PKT4_S8_PT5_21rocsparse_index_base_b: ; @_ZN9rocsparseL41csrmvn_lrb_medium_rows_warp_reduce_kernelILj256ELj64Ell21rocsparse_complex_numIfES2_S2_S2_EEvbT1_lPT2_S5_jNS_24const_host_device_scalarIT6_EEPKS3_PKS4_PKT3_PKT4_S8_PT5_21rocsparse_index_base_b
; %bb.0:
	s_clause 0x2
	s_load_b64 s[6:7], s[0:1], 0x68
	s_load_b64 s[2:3], s[0:1], 0x30
	;; [unrolled: 1-line block ×3, first 2 shown]
	v_mov_b32_e32 v1, 0
	s_add_nc_u64 s[8:9], s[0:1], 48
	s_add_nc_u64 s[10:11], s[0:1], 0x58
	s_wait_kmcnt 0x0
	s_bitcmp1_b32 s7, 0
	s_cselect_b32 s3, s9, s3
	s_cselect_b32 s2, s8, s2
	;; [unrolled: 1-line block ×4, first 2 shown]
	s_clause 0x1
	flat_load_b64 v[6:7], v1, s[2:3]
	flat_load_b64 v[2:3], v1, s[4:5]
	s_wait_loadcnt_dscnt 0x101
	s_wait_xcnt 0x1
	v_cmp_neq_f32_e64 s2, 0, v6
	v_cmp_neq_f32_e64 s3, 0, v7
	s_wait_loadcnt_dscnt 0x0
	v_cmp_neq_f32_e64 s4, 1.0, v2
	v_cmp_neq_f32_e32 vcc_lo, 0, v3
	s_or_b32 s2, s2, s3
	s_or_b32 s3, s4, vcc_lo
	s_delay_alu instid0(SALU_CYCLE_1) | instskip(NEXT) | instid1(SALU_CYCLE_1)
	s_or_b32 s2, s2, s3
	s_and_saveexec_b32 s3, s2
	s_cbranch_execz .LBB59_10
; %bb.1:
	s_bfe_u32 s4, ttmp6, 0x4000c
	s_load_b64 s[2:3], s[0:1], 0x10
	s_add_co_i32 s4, s4, 1
	s_and_b32 s5, ttmp6, 15
	s_mul_i32 s4, ttmp9, s4
	s_getreg_b32 s7, hwreg(HW_REG_IB_STS2, 6, 4)
	v_lshrrev_b32_e32 v1, 6, v0
	s_add_co_i32 s5, s5, s4
	s_cmp_eq_u32 s7, 0
	s_cselect_b32 s4, ttmp9, s5
	s_delay_alu instid0(VALU_DEP_1) | instid1(SALU_CYCLE_1)
	v_lshl_or_b32 v4, s4, 2, v1
	s_delay_alu instid0(VALU_DEP_1) | instskip(SKIP_1) | instid1(VALU_DEP_1)
	v_ashrrev_i32_e32 v5, 31, v4
	s_wait_kmcnt 0x0
	v_cmp_gt_i64_e64 s2, s[2:3], v[4:5]
	s_and_b32 exec_lo, exec_lo, s2
	s_cbranch_execz .LBB59_10
; %bb.2:
	s_clause 0x1
	s_load_b128 s[8:11], s[0:1], 0x18
	s_load_b32 s2, s[0:1], 0x28
	v_dual_mov_b32 v1, 0 :: v_dual_bitop2_b32 v0, 63, v0 bitop3:0x40
	s_mov_b32 s7, 0
	s_delay_alu instid0(VALU_DEP_1) | instid1(SALU_CYCLE_1)
	v_sub_nc_u64_e64 v[12:13], v[0:1], s[6:7]
	s_wait_kmcnt 0x0
	s_load_b64 s[2:3], s[10:11], s2 offset:0x0 scale_offset
	s_wait_kmcnt 0x0
	s_lshl_b64 s[2:3], s[2:3], 3
	s_delay_alu instid0(SALU_CYCLE_1) | instskip(NEXT) | instid1(SALU_CYCLE_1)
	s_add_nc_u64 s[2:3], s[8:9], s[2:3]
	v_lshl_add_u64 v[4:5], v[4:5], 3, s[2:3]
	s_load_b64 s[2:3], s[0:1], 0x38
	global_load_b64 v[4:5], v[4:5], off
	s_wait_loadcnt 0x0
	s_wait_kmcnt 0x0
	v_lshl_add_u64 v[8:9], v[4:5], 3, s[2:3]
	s_mov_b32 s3, exec_lo
	global_load_b128 v[8:11], v[8:9], off
	s_wait_loadcnt 0x0
	v_sub_nc_u64_e64 v[10:11], v[10:11], s[6:7]
	v_add_nc_u64_e32 v[12:13], v[8:9], v[12:13]
	v_dual_mov_b32 v9, v1 :: v_dual_mov_b32 v8, v1
	s_delay_alu instid0(VALU_DEP_2)
	v_cmpx_lt_i64_e64 v[12:13], v[10:11]
	s_cbranch_execz .LBB59_6
; %bb.3:
	s_clause 0x1
	s_load_b128 s[8:11], s[0:1], 0x40
	s_load_b32 s2, s[0:1], 0x0
	v_lshlrev_b64_e32 v[18:19], 3, v[12:13]
	s_load_b64 s[4:5], s[0:1], 0x50
	v_dual_mov_b32 v8, 0 :: v_dual_mov_b32 v15, v6
	v_xor_b32_e32 v14, 0x80000000, v7
	s_delay_alu instid0(VALU_DEP_2) | instskip(SKIP_1) | instid1(VALU_DEP_4)
	v_mov_b32_e32 v9, v8
	s_wait_kmcnt 0x0
	v_add_nc_u64_e32 v[16:17], s[10:11], v[18:19]
	v_add_nc_u64_e32 v[18:19], s[8:9], v[18:19]
	s_bitcmp1_b32 s2, 0
	s_mov_b32 s8, s7
	s_cselect_b32 s9, -1, 0
	s_delay_alu instid0(VALU_DEP_2)
	v_add_nc_u64_e32 v[16:17], 4, v[16:17]
.LBB59_4:                               ; =>This Inner Loop Header: Depth=1
	global_load_b64 v[20:21], v[18:19], off
	global_load_b64 v[22:23], v[16:17], off offset:-4
	v_add_nc_u64_e32 v[12:13], 64, v[12:13]
	s_wait_xcnt 0x0
	v_add_nc_u64_e32 v[16:17], 0x200, v[16:17]
	v_add_nc_u64_e32 v[18:19], 0x200, v[18:19]
	s_delay_alu instid0(VALU_DEP_3)
	v_cmp_ge_i64_e64 s2, v[12:13], v[10:11]
	s_or_b32 s8, s2, s8
	s_wait_loadcnt 0x1
	v_sub_nc_u64_e64 v[20:21], v[20:21], s[6:7]
	s_wait_loadcnt 0x0
	v_cndmask_b32_e64 v24, v23, -v23, s9
	s_delay_alu instid0(VALU_DEP_1) | instskip(NEXT) | instid1(VALU_DEP_3)
	v_pk_mul_f32 v[24:25], v[24:25], v[14:15] op_sel_hi:[0,1]
	v_lshl_add_u64 v[20:21], v[20:21], 3, s[4:5]
	s_delay_alu instid0(VALU_DEP_2) | instskip(SKIP_3) | instid1(VALU_DEP_1)
	v_pk_fma_f32 v[22:23], v[6:7], v[22:23], v[24:25] op_sel_hi:[1,0,1]
	global_load_b64 v[20:21], v[20:21], off
	s_wait_loadcnt 0x0
	v_pk_fma_f32 v[8:9], v[22:23], v[20:21], v[8:9] op_sel_hi:[1,0,1]
	v_pk_fma_f32 v[8:9], v[22:23], v[20:21], v[8:9] op_sel:[1,1,0] op_sel_hi:[0,1,1] neg_lo:[1,0,0]
	s_and_not1_b32 exec_lo, exec_lo, s8
	s_cbranch_execnz .LBB59_4
; %bb.5:
	s_or_b32 exec_lo, exec_lo, s8
.LBB59_6:
	s_delay_alu instid0(SALU_CYCLE_1) | instskip(SKIP_2) | instid1(VALU_DEP_1)
	s_or_b32 exec_lo, exec_lo, s3
	v_mbcnt_lo_u32_b32 v1, -1, 0
	s_load_b64 s[2:3], s[0:1], 0x60
	v_xor_b32_e32 v10, 16, v1
	v_or_b32_e32 v6, 32, v1
	s_wait_xcnt 0x0
	s_delay_alu instid0(VALU_DEP_1) | instskip(NEXT) | instid1(VALU_DEP_1)
	v_cmp_gt_i32_e64 s0, 32, v6
	v_cndmask_b32_e64 v6, v1, v6, s0
	v_cmp_gt_i32_e64 s0, 32, v10
	s_delay_alu instid0(VALU_DEP_2) | instskip(NEXT) | instid1(VALU_DEP_2)
	v_lshlrev_b32_e32 v7, 2, v6
	v_cndmask_b32_e64 v10, v1, v10, s0
	ds_bpermute_b32 v6, v7, v8
	ds_bpermute_b32 v7, v7, v9
	v_lshlrev_b32_e32 v10, 2, v10
	s_wait_dscnt 0x0
	v_pk_add_f32 v[6:7], v[8:9], v[6:7]
	ds_bpermute_b32 v8, v10, v6
	ds_bpermute_b32 v9, v10, v7
	v_xor_b32_e32 v10, 8, v1
	s_delay_alu instid0(VALU_DEP_1) | instskip(NEXT) | instid1(VALU_DEP_1)
	v_cmp_gt_i32_e64 s0, 32, v10
	v_cndmask_b32_e64 v10, v1, v10, s0
	s_delay_alu instid0(VALU_DEP_1)
	v_lshlrev_b32_e32 v10, 2, v10
	s_wait_dscnt 0x0
	v_pk_add_f32 v[6:7], v[6:7], v[8:9]
	ds_bpermute_b32 v8, v10, v6
	ds_bpermute_b32 v9, v10, v7
	v_xor_b32_e32 v10, 4, v1
	s_delay_alu instid0(VALU_DEP_1) | instskip(NEXT) | instid1(VALU_DEP_1)
	v_cmp_gt_i32_e64 s0, 32, v10
	v_cndmask_b32_e64 v10, v1, v10, s0
	s_delay_alu instid0(VALU_DEP_1)
	v_lshlrev_b32_e32 v10, 2, v10
	s_wait_dscnt 0x0
	v_pk_add_f32 v[6:7], v[6:7], v[8:9]
	ds_bpermute_b32 v8, v10, v6
	ds_bpermute_b32 v9, v10, v7
	v_xor_b32_e32 v10, 2, v1
	s_delay_alu instid0(VALU_DEP_1) | instskip(NEXT) | instid1(VALU_DEP_1)
	v_cmp_gt_i32_e64 s0, 32, v10
	v_cndmask_b32_e64 v10, v1, v10, s0
	s_delay_alu instid0(VALU_DEP_1)
	v_lshlrev_b32_e32 v10, 2, v10
	s_wait_dscnt 0x0
	v_pk_add_f32 v[6:7], v[6:7], v[8:9]
	ds_bpermute_b32 v8, v10, v6
	ds_bpermute_b32 v9, v10, v7
	v_xor_b32_e32 v10, 1, v1
	s_delay_alu instid0(VALU_DEP_1) | instskip(NEXT) | instid1(VALU_DEP_1)
	v_cmp_gt_i32_e64 s0, 32, v10
	v_cndmask_b32_e64 v1, v1, v10, s0
	v_cmp_eq_u32_e64 s0, 63, v0
	s_delay_alu instid0(VALU_DEP_2)
	v_lshlrev_b32_e32 v1, 2, v1
	s_wait_dscnt 0x0
	v_pk_add_f32 v[6:7], v[6:7], v[8:9]
	ds_bpermute_b32 v8, v1, v6
	ds_bpermute_b32 v9, v1, v7
	s_and_b32 exec_lo, exec_lo, s0
	s_cbranch_execz .LBB59_10
; %bb.7:
	v_cmp_neq_f32_e64 s0, 0, v2
	s_wait_dscnt 0x0
	v_pk_add_f32 v[6:7], v[6:7], v[8:9]
	s_wait_kmcnt 0x0
	v_lshl_add_u64 v[0:1], v[4:5], 3, s[2:3]
	s_or_b32 s1, s0, vcc_lo
	s_delay_alu instid0(SALU_CYCLE_1)
	s_and_saveexec_b32 s0, s1
	s_cbranch_execz .LBB59_9
; %bb.8:
	global_load_b64 v[4:5], v[0:1], off
	v_xor_b32_e32 v8, 0x80000000, v3
	v_mov_b32_e32 v9, v2
	s_wait_loadcnt 0x0
	v_pk_fma_f32 v[6:7], v[2:3], v[4:5], v[6:7] op_sel_hi:[1,0,1]
	s_delay_alu instid0(VALU_DEP_1)
	v_pk_fma_f32 v[6:7], v[8:9], v[4:5], v[6:7] op_sel:[0,1,0]
.LBB59_9:
	s_or_b32 exec_lo, exec_lo, s0
	global_store_b64 v[0:1], v[6:7], off
.LBB59_10:
	s_endpgm
	.section	.rodata,"a",@progbits
	.p2align	6, 0x0
	.amdhsa_kernel _ZN9rocsparseL41csrmvn_lrb_medium_rows_warp_reduce_kernelILj256ELj64Ell21rocsparse_complex_numIfES2_S2_S2_EEvbT1_lPT2_S5_jNS_24const_host_device_scalarIT6_EEPKS3_PKS4_PKT3_PKT4_S8_PT5_21rocsparse_index_base_b
		.amdhsa_group_segment_fixed_size 0
		.amdhsa_private_segment_fixed_size 0
		.amdhsa_kernarg_size 112
		.amdhsa_user_sgpr_count 2
		.amdhsa_user_sgpr_dispatch_ptr 0
		.amdhsa_user_sgpr_queue_ptr 0
		.amdhsa_user_sgpr_kernarg_segment_ptr 1
		.amdhsa_user_sgpr_dispatch_id 0
		.amdhsa_user_sgpr_kernarg_preload_length 0
		.amdhsa_user_sgpr_kernarg_preload_offset 0
		.amdhsa_user_sgpr_private_segment_size 0
		.amdhsa_wavefront_size32 1
		.amdhsa_uses_dynamic_stack 0
		.amdhsa_enable_private_segment 0
		.amdhsa_system_sgpr_workgroup_id_x 1
		.amdhsa_system_sgpr_workgroup_id_y 0
		.amdhsa_system_sgpr_workgroup_id_z 0
		.amdhsa_system_sgpr_workgroup_info 0
		.amdhsa_system_vgpr_workitem_id 0
		.amdhsa_next_free_vgpr 26
		.amdhsa_next_free_sgpr 12
		.amdhsa_named_barrier_count 0
		.amdhsa_reserve_vcc 1
		.amdhsa_float_round_mode_32 0
		.amdhsa_float_round_mode_16_64 0
		.amdhsa_float_denorm_mode_32 3
		.amdhsa_float_denorm_mode_16_64 3
		.amdhsa_fp16_overflow 0
		.amdhsa_memory_ordered 1
		.amdhsa_forward_progress 1
		.amdhsa_inst_pref_size 10
		.amdhsa_round_robin_scheduling 0
		.amdhsa_exception_fp_ieee_invalid_op 0
		.amdhsa_exception_fp_denorm_src 0
		.amdhsa_exception_fp_ieee_div_zero 0
		.amdhsa_exception_fp_ieee_overflow 0
		.amdhsa_exception_fp_ieee_underflow 0
		.amdhsa_exception_fp_ieee_inexact 0
		.amdhsa_exception_int_div_zero 0
	.end_amdhsa_kernel
	.section	.text._ZN9rocsparseL41csrmvn_lrb_medium_rows_warp_reduce_kernelILj256ELj64Ell21rocsparse_complex_numIfES2_S2_S2_EEvbT1_lPT2_S5_jNS_24const_host_device_scalarIT6_EEPKS3_PKS4_PKT3_PKT4_S8_PT5_21rocsparse_index_base_b,"axG",@progbits,_ZN9rocsparseL41csrmvn_lrb_medium_rows_warp_reduce_kernelILj256ELj64Ell21rocsparse_complex_numIfES2_S2_S2_EEvbT1_lPT2_S5_jNS_24const_host_device_scalarIT6_EEPKS3_PKS4_PKT3_PKT4_S8_PT5_21rocsparse_index_base_b,comdat
.Lfunc_end59:
	.size	_ZN9rocsparseL41csrmvn_lrb_medium_rows_warp_reduce_kernelILj256ELj64Ell21rocsparse_complex_numIfES2_S2_S2_EEvbT1_lPT2_S5_jNS_24const_host_device_scalarIT6_EEPKS3_PKS4_PKT3_PKT4_S8_PT5_21rocsparse_index_base_b, .Lfunc_end59-_ZN9rocsparseL41csrmvn_lrb_medium_rows_warp_reduce_kernelILj256ELj64Ell21rocsparse_complex_numIfES2_S2_S2_EEvbT1_lPT2_S5_jNS_24const_host_device_scalarIT6_EEPKS3_PKS4_PKT3_PKT4_S8_PT5_21rocsparse_index_base_b
                                        ; -- End function
	.set _ZN9rocsparseL41csrmvn_lrb_medium_rows_warp_reduce_kernelILj256ELj64Ell21rocsparse_complex_numIfES2_S2_S2_EEvbT1_lPT2_S5_jNS_24const_host_device_scalarIT6_EEPKS3_PKS4_PKT3_PKT4_S8_PT5_21rocsparse_index_base_b.num_vgpr, 26
	.set _ZN9rocsparseL41csrmvn_lrb_medium_rows_warp_reduce_kernelILj256ELj64Ell21rocsparse_complex_numIfES2_S2_S2_EEvbT1_lPT2_S5_jNS_24const_host_device_scalarIT6_EEPKS3_PKS4_PKT3_PKT4_S8_PT5_21rocsparse_index_base_b.num_agpr, 0
	.set _ZN9rocsparseL41csrmvn_lrb_medium_rows_warp_reduce_kernelILj256ELj64Ell21rocsparse_complex_numIfES2_S2_S2_EEvbT1_lPT2_S5_jNS_24const_host_device_scalarIT6_EEPKS3_PKS4_PKT3_PKT4_S8_PT5_21rocsparse_index_base_b.numbered_sgpr, 12
	.set _ZN9rocsparseL41csrmvn_lrb_medium_rows_warp_reduce_kernelILj256ELj64Ell21rocsparse_complex_numIfES2_S2_S2_EEvbT1_lPT2_S5_jNS_24const_host_device_scalarIT6_EEPKS3_PKS4_PKT3_PKT4_S8_PT5_21rocsparse_index_base_b.num_named_barrier, 0
	.set _ZN9rocsparseL41csrmvn_lrb_medium_rows_warp_reduce_kernelILj256ELj64Ell21rocsparse_complex_numIfES2_S2_S2_EEvbT1_lPT2_S5_jNS_24const_host_device_scalarIT6_EEPKS3_PKS4_PKT3_PKT4_S8_PT5_21rocsparse_index_base_b.private_seg_size, 0
	.set _ZN9rocsparseL41csrmvn_lrb_medium_rows_warp_reduce_kernelILj256ELj64Ell21rocsparse_complex_numIfES2_S2_S2_EEvbT1_lPT2_S5_jNS_24const_host_device_scalarIT6_EEPKS3_PKS4_PKT3_PKT4_S8_PT5_21rocsparse_index_base_b.uses_vcc, 1
	.set _ZN9rocsparseL41csrmvn_lrb_medium_rows_warp_reduce_kernelILj256ELj64Ell21rocsparse_complex_numIfES2_S2_S2_EEvbT1_lPT2_S5_jNS_24const_host_device_scalarIT6_EEPKS3_PKS4_PKT3_PKT4_S8_PT5_21rocsparse_index_base_b.uses_flat_scratch, 1
	.set _ZN9rocsparseL41csrmvn_lrb_medium_rows_warp_reduce_kernelILj256ELj64Ell21rocsparse_complex_numIfES2_S2_S2_EEvbT1_lPT2_S5_jNS_24const_host_device_scalarIT6_EEPKS3_PKS4_PKT3_PKT4_S8_PT5_21rocsparse_index_base_b.has_dyn_sized_stack, 0
	.set _ZN9rocsparseL41csrmvn_lrb_medium_rows_warp_reduce_kernelILj256ELj64Ell21rocsparse_complex_numIfES2_S2_S2_EEvbT1_lPT2_S5_jNS_24const_host_device_scalarIT6_EEPKS3_PKS4_PKT3_PKT4_S8_PT5_21rocsparse_index_base_b.has_recursion, 0
	.set _ZN9rocsparseL41csrmvn_lrb_medium_rows_warp_reduce_kernelILj256ELj64Ell21rocsparse_complex_numIfES2_S2_S2_EEvbT1_lPT2_S5_jNS_24const_host_device_scalarIT6_EEPKS3_PKS4_PKT3_PKT4_S8_PT5_21rocsparse_index_base_b.has_indirect_call, 0
	.section	.AMDGPU.csdata,"",@progbits
; Kernel info:
; codeLenInByte = 1176
; TotalNumSgprs: 14
; NumVgprs: 26
; ScratchSize: 0
; MemoryBound: 0
; FloatMode: 240
; IeeeMode: 1
; LDSByteSize: 0 bytes/workgroup (compile time only)
; SGPRBlocks: 0
; VGPRBlocks: 1
; NumSGPRsForWavesPerEU: 14
; NumVGPRsForWavesPerEU: 26
; NamedBarCnt: 0
; Occupancy: 16
; WaveLimiterHint : 1
; COMPUTE_PGM_RSRC2:SCRATCH_EN: 0
; COMPUTE_PGM_RSRC2:USER_SGPR: 2
; COMPUTE_PGM_RSRC2:TRAP_HANDLER: 0
; COMPUTE_PGM_RSRC2:TGID_X_EN: 1
; COMPUTE_PGM_RSRC2:TGID_Y_EN: 0
; COMPUTE_PGM_RSRC2:TGID_Z_EN: 0
; COMPUTE_PGM_RSRC2:TIDIG_COMP_CNT: 0
	.section	.text._ZN9rocsparseL29csrmvn_lrb_medium_rows_kernelILj256Ell21rocsparse_complex_numIfES2_S2_S2_EEvbT0_PT1_S5_jNS_24const_host_device_scalarIT5_EEPKS3_PKS4_PKT2_PKT3_S8_PT4_21rocsparse_index_base_b,"axG",@progbits,_ZN9rocsparseL29csrmvn_lrb_medium_rows_kernelILj256Ell21rocsparse_complex_numIfES2_S2_S2_EEvbT0_PT1_S5_jNS_24const_host_device_scalarIT5_EEPKS3_PKS4_PKT2_PKT3_S8_PT4_21rocsparse_index_base_b,comdat
	.globl	_ZN9rocsparseL29csrmvn_lrb_medium_rows_kernelILj256Ell21rocsparse_complex_numIfES2_S2_S2_EEvbT0_PT1_S5_jNS_24const_host_device_scalarIT5_EEPKS3_PKS4_PKT2_PKT3_S8_PT4_21rocsparse_index_base_b ; -- Begin function _ZN9rocsparseL29csrmvn_lrb_medium_rows_kernelILj256Ell21rocsparse_complex_numIfES2_S2_S2_EEvbT0_PT1_S5_jNS_24const_host_device_scalarIT5_EEPKS3_PKS4_PKT2_PKT3_S8_PT4_21rocsparse_index_base_b
	.p2align	8
	.type	_ZN9rocsparseL29csrmvn_lrb_medium_rows_kernelILj256Ell21rocsparse_complex_numIfES2_S2_S2_EEvbT0_PT1_S5_jNS_24const_host_device_scalarIT5_EEPKS3_PKS4_PKT2_PKT3_S8_PT4_21rocsparse_index_base_b,@function
_ZN9rocsparseL29csrmvn_lrb_medium_rows_kernelILj256Ell21rocsparse_complex_numIfES2_S2_S2_EEvbT0_PT1_S5_jNS_24const_host_device_scalarIT5_EEPKS3_PKS4_PKT2_PKT3_S8_PT4_21rocsparse_index_base_b: ; @_ZN9rocsparseL29csrmvn_lrb_medium_rows_kernelILj256Ell21rocsparse_complex_numIfES2_S2_S2_EEvbT0_PT1_S5_jNS_24const_host_device_scalarIT5_EEPKS3_PKS4_PKT2_PKT3_S8_PT4_21rocsparse_index_base_b
; %bb.0:
	s_clause 0x2
	s_load_b64 s[6:7], s[0:1], 0x60
	s_load_b64 s[2:3], s[0:1], 0x28
	;; [unrolled: 1-line block ×3, first 2 shown]
	v_mov_b32_e32 v5, 0
	s_add_nc_u64 s[8:9], s[0:1], 40
	s_add_nc_u64 s[10:11], s[0:1], 0x50
	s_wait_kmcnt 0x0
	s_bitcmp1_b32 s7, 0
	s_mov_b32 s7, 0
	s_cselect_b32 s3, s9, s3
	s_cselect_b32 s2, s8, s2
	;; [unrolled: 1-line block ×4, first 2 shown]
	s_clause 0x1
	flat_load_b64 v[6:7], v5, s[2:3]
	flat_load_b64 v[2:3], v5, s[4:5]
	s_wait_loadcnt_dscnt 0x101
	s_wait_xcnt 0x1
	v_cmp_neq_f32_e64 s2, 0, v6
	v_cmp_neq_f32_e64 s3, 0, v7
	s_wait_loadcnt_dscnt 0x0
	v_cmp_neq_f32_e64 s4, 1.0, v2
	v_cmp_neq_f32_e32 vcc_lo, 0, v3
	s_or_b32 s2, s2, s3
	s_or_b32 s3, s4, vcc_lo
	s_delay_alu instid0(SALU_CYCLE_1) | instskip(NEXT) | instid1(SALU_CYCLE_1)
	s_or_b32 s2, s2, s3
	s_and_saveexec_b32 s3, s2
	s_cbranch_execz .LBB60_25
; %bb.1:
	s_clause 0x1
	s_load_b128 s[8:11], s[0:1], 0x10
	s_load_b32 s2, s[0:1], 0x20
	s_bfe_u32 s4, ttmp6, 0x4000c
	s_and_b32 s5, ttmp6, 15
	s_add_co_i32 s4, s4, 1
	v_dual_mov_b32 v1, v5 :: v_dual_mov_b32 v4, 0
	s_mul_i32 s4, ttmp9, s4
	s_delay_alu instid0(SALU_CYCLE_1) | instskip(NEXT) | instid1(VALU_DEP_1)
	s_add_co_i32 s5, s5, s4
	v_sub_nc_u64_e64 v[8:9], v[0:1], s[6:7]
	s_wait_kmcnt 0x0
	s_load_b64 s[2:3], s[10:11], s2 offset:0x0 scale_offset
	s_wait_xcnt 0x0
	s_getreg_b32 s10, hwreg(HW_REG_IB_STS2, 6, 4)
	s_delay_alu instid0(SALU_CYCLE_1) | instskip(SKIP_1) | instid1(SALU_CYCLE_1)
	s_cmp_eq_u32 s10, 0
	s_cselect_b32 s4, ttmp9, s5
	s_ashr_i32 s5, s4, 31
	s_delay_alu instid0(SALU_CYCLE_1) | instskip(SKIP_2) | instid1(SALU_CYCLE_1)
	s_lshl_b64 s[4:5], s[4:5], 3
	s_wait_kmcnt 0x0
	s_lshl_b64 s[2:3], s[2:3], 3
	s_add_nc_u64 s[2:3], s[8:9], s[2:3]
	s_delay_alu instid0(SALU_CYCLE_1) | instskip(SKIP_4) | instid1(SALU_CYCLE_1)
	s_add_nc_u64 s[2:3], s[2:3], s[4:5]
	s_load_b64 s[4:5], s[2:3], 0x0
	s_load_b64 s[8:9], s[0:1], 0x30
	s_wait_kmcnt 0x0
	s_lshl_b64 s[4:5], s[4:5], 3
	s_add_nc_u64 s[2:3], s[8:9], s[4:5]
	s_load_b128 s[8:11], s[2:3], 0x0
	s_wait_xcnt 0x0
	s_mov_b32 s3, exec_lo
	s_wait_kmcnt 0x0
	v_add_nc_u64_e32 v[8:9], s[8:9], v[8:9]
	s_sub_nc_u64 s[8:9], s[10:11], s[6:7]
	s_delay_alu instid0(VALU_DEP_1) | instid1(SALU_CYCLE_1)
	v_cmpx_gt_i64_e64 s[8:9], v[8:9]
	s_cbranch_execz .LBB60_5
; %bb.2:
	s_clause 0x1
	s_load_b128 s[12:15], s[0:1], 0x38
	s_load_b32 s2, s[0:1], 0x0
	v_lshlrev_b64_e32 v[14:15], 3, v[8:9]
	s_load_b64 s[10:11], s[0:1], 0x48
	v_dual_mov_b32 v4, 0 :: v_dual_mov_b32 v11, v6
	v_xor_b32_e32 v10, 0x80000000, v7
	s_delay_alu instid0(VALU_DEP_2) | instskip(SKIP_1) | instid1(VALU_DEP_4)
	v_mov_b32_e32 v5, v4
	s_wait_kmcnt 0x0
	v_add_nc_u64_e32 v[12:13], s[14:15], v[14:15]
	v_add_nc_u64_e32 v[14:15], s[12:13], v[14:15]
	s_bitcmp1_b32 s2, 0
	s_mov_b32 s12, 0
	s_cselect_b32 s13, -1, 0
	s_delay_alu instid0(VALU_DEP_2)
	v_add_nc_u64_e32 v[12:13], 4, v[12:13]
.LBB60_3:                               ; =>This Inner Loop Header: Depth=1
	global_load_b64 v[16:17], v[14:15], off
	global_load_b64 v[18:19], v[12:13], off offset:-4
	v_add_nc_u64_e32 v[8:9], 0x100, v[8:9]
	s_wait_xcnt 0x0
	v_add_nc_u64_e32 v[12:13], 0x800, v[12:13]
	v_add_nc_u64_e32 v[14:15], 0x800, v[14:15]
	s_delay_alu instid0(VALU_DEP_3)
	v_cmp_le_i64_e64 s2, s[8:9], v[8:9]
	s_or_b32 s12, s2, s12
	s_wait_loadcnt 0x1
	v_sub_nc_u64_e64 v[16:17], v[16:17], s[6:7]
	s_wait_loadcnt 0x0
	v_cndmask_b32_e64 v20, v19, -v19, s13
	s_delay_alu instid0(VALU_DEP_1) | instskip(NEXT) | instid1(VALU_DEP_3)
	v_pk_mul_f32 v[20:21], v[20:21], v[10:11] op_sel_hi:[0,1]
	v_lshl_add_u64 v[16:17], v[16:17], 3, s[10:11]
	s_delay_alu instid0(VALU_DEP_2) | instskip(SKIP_3) | instid1(VALU_DEP_1)
	v_pk_fma_f32 v[18:19], v[6:7], v[18:19], v[20:21] op_sel_hi:[1,0,1]
	global_load_b64 v[16:17], v[16:17], off
	s_wait_loadcnt 0x0
	v_pk_fma_f32 v[4:5], v[18:19], v[16:17], v[4:5] op_sel_hi:[1,0,1]
	v_pk_fma_f32 v[4:5], v[18:19], v[16:17], v[4:5] op_sel:[1,1,0] op_sel_hi:[0,1,1] neg_lo:[1,0,0]
	s_and_not1_b32 exec_lo, exec_lo, s12
	s_cbranch_execnz .LBB60_3
; %bb.4:
	s_or_b32 exec_lo, exec_lo, s12
.LBB60_5:
	s_delay_alu instid0(SALU_CYCLE_1)
	s_or_b32 exec_lo, exec_lo, s3
	s_load_b64 s[2:3], s[0:1], 0x58
	v_lshlrev_b32_e32 v1, 3, v0
	s_wait_xcnt 0x0
	s_mov_b32 s1, exec_lo
	ds_store_b64 v1, v[4:5]
	s_wait_dscnt 0x0
	s_barrier_signal -1
	s_barrier_wait -1
	v_cmpx_gt_u32_e32 0x80, v0
	s_cbranch_execz .LBB60_7
; %bb.6:
	ds_load_2addr_stride64_b64 v[4:7], v1 offset1:2
	s_wait_dscnt 0x0
	v_pk_add_f32 v[4:5], v[6:7], v[4:5]
	ds_store_b64 v1, v[4:5]
.LBB60_7:
	s_or_b32 exec_lo, exec_lo, s1
	s_delay_alu instid0(SALU_CYCLE_1)
	s_mov_b32 s1, exec_lo
	s_wait_dscnt 0x0
	s_barrier_signal -1
	s_barrier_wait -1
	v_cmpx_gt_u32_e32 64, v0
	s_cbranch_execz .LBB60_9
; %bb.8:
	ds_load_2addr_stride64_b64 v[4:7], v1 offset1:1
	s_wait_dscnt 0x0
	v_pk_add_f32 v[4:5], v[6:7], v[4:5]
	ds_store_b64 v1, v[4:5]
.LBB60_9:
	s_or_b32 exec_lo, exec_lo, s1
	s_delay_alu instid0(SALU_CYCLE_1)
	s_mov_b32 s1, exec_lo
	s_wait_dscnt 0x0
	s_barrier_signal -1
	s_barrier_wait -1
	v_cmpx_gt_u32_e32 32, v0
	s_cbranch_execz .LBB60_11
; %bb.10:
	ds_load_2addr_b64 v[4:7], v1 offset1:32
	s_wait_dscnt 0x0
	v_pk_add_f32 v[4:5], v[6:7], v[4:5]
	ds_store_b64 v1, v[4:5]
.LBB60_11:
	s_or_b32 exec_lo, exec_lo, s1
	s_delay_alu instid0(SALU_CYCLE_1)
	s_mov_b32 s1, exec_lo
	s_wait_dscnt 0x0
	s_barrier_signal -1
	s_barrier_wait -1
	v_cmpx_gt_u32_e32 16, v0
	s_cbranch_execz .LBB60_13
; %bb.12:
	ds_load_2addr_b64 v[4:7], v1 offset1:16
	s_wait_dscnt 0x0
	v_pk_add_f32 v[4:5], v[6:7], v[4:5]
	ds_store_b64 v1, v[4:5]
.LBB60_13:
	;; [unrolled: 14-line block ×5, first 2 shown]
	s_or_b32 exec_lo, exec_lo, s1
	v_cmp_eq_u32_e64 s0, 0, v0
	s_wait_dscnt 0x0
	s_barrier_signal -1
	s_barrier_wait -1
	s_and_saveexec_b32 s1, s0
	s_cbranch_execz .LBB60_21
; %bb.20:
	v_mov_b32_e32 v8, 0
	ds_load_2addr_b64 v[4:7], v8 offset1:1
	s_wait_dscnt 0x0
	v_pk_add_f32 v[0:1], v[6:7], v[4:5]
	ds_store_b64 v8, v[0:1]
.LBB60_21:
	s_or_b32 exec_lo, exec_lo, s1
	s_wait_dscnt 0x0
	s_barrier_signal -1
	s_barrier_wait -1
	s_and_b32 exec_lo, exec_lo, s0
	s_cbranch_execz .LBB60_25
; %bb.22:
	v_mov_b32_e32 v4, 0
	v_cmp_neq_f32_e64 s0, 0, v2
	ds_load_b64 v[0:1], v4
	s_or_b32 s1, s0, vcc_lo
	s_delay_alu instid0(SALU_CYCLE_1)
	s_and_saveexec_b32 s0, s1
	s_cbranch_execz .LBB60_24
; %bb.23:
	s_wait_kmcnt 0x0
	s_add_nc_u64 s[6:7], s[2:3], s[4:5]
	v_xor_b32_e32 v6, 0x80000000, v3
	s_load_b64 s[8:9], s[6:7], 0x0
	v_mov_b32_e32 v7, v2
	s_wait_dscnt 0x0
	s_wait_kmcnt 0x0
	v_pk_fma_f32 v[0:1], v[2:3], s[8:9], v[0:1] op_sel_hi:[1,0,1]
	v_mov_b64_e32 v[2:3], s[8:9]
	s_delay_alu instid0(VALU_DEP_1)
	v_pk_fma_f32 v[0:1], v[6:7], v[2:3], v[0:1] op_sel:[0,1,0]
.LBB60_24:
	s_or_b32 exec_lo, exec_lo, s0
	s_wait_kmcnt 0x0
	s_add_nc_u64 s[0:1], s[2:3], s[4:5]
	s_wait_dscnt 0x0
	global_store_b64 v4, v[0:1], s[0:1]
.LBB60_25:
	s_endpgm
	.section	.rodata,"a",@progbits
	.p2align	6, 0x0
	.amdhsa_kernel _ZN9rocsparseL29csrmvn_lrb_medium_rows_kernelILj256Ell21rocsparse_complex_numIfES2_S2_S2_EEvbT0_PT1_S5_jNS_24const_host_device_scalarIT5_EEPKS3_PKS4_PKT2_PKT3_S8_PT4_21rocsparse_index_base_b
		.amdhsa_group_segment_fixed_size 2048
		.amdhsa_private_segment_fixed_size 0
		.amdhsa_kernarg_size 104
		.amdhsa_user_sgpr_count 2
		.amdhsa_user_sgpr_dispatch_ptr 0
		.amdhsa_user_sgpr_queue_ptr 0
		.amdhsa_user_sgpr_kernarg_segment_ptr 1
		.amdhsa_user_sgpr_dispatch_id 0
		.amdhsa_user_sgpr_kernarg_preload_length 0
		.amdhsa_user_sgpr_kernarg_preload_offset 0
		.amdhsa_user_sgpr_private_segment_size 0
		.amdhsa_wavefront_size32 1
		.amdhsa_uses_dynamic_stack 0
		.amdhsa_enable_private_segment 0
		.amdhsa_system_sgpr_workgroup_id_x 1
		.amdhsa_system_sgpr_workgroup_id_y 0
		.amdhsa_system_sgpr_workgroup_id_z 0
		.amdhsa_system_sgpr_workgroup_info 0
		.amdhsa_system_vgpr_workitem_id 0
		.amdhsa_next_free_vgpr 22
		.amdhsa_next_free_sgpr 16
		.amdhsa_named_barrier_count 0
		.amdhsa_reserve_vcc 1
		.amdhsa_float_round_mode_32 0
		.amdhsa_float_round_mode_16_64 0
		.amdhsa_float_denorm_mode_32 3
		.amdhsa_float_denorm_mode_16_64 3
		.amdhsa_fp16_overflow 0
		.amdhsa_memory_ordered 1
		.amdhsa_forward_progress 1
		.amdhsa_inst_pref_size 11
		.amdhsa_round_robin_scheduling 0
		.amdhsa_exception_fp_ieee_invalid_op 0
		.amdhsa_exception_fp_denorm_src 0
		.amdhsa_exception_fp_ieee_div_zero 0
		.amdhsa_exception_fp_ieee_overflow 0
		.amdhsa_exception_fp_ieee_underflow 0
		.amdhsa_exception_fp_ieee_inexact 0
		.amdhsa_exception_int_div_zero 0
	.end_amdhsa_kernel
	.section	.text._ZN9rocsparseL29csrmvn_lrb_medium_rows_kernelILj256Ell21rocsparse_complex_numIfES2_S2_S2_EEvbT0_PT1_S5_jNS_24const_host_device_scalarIT5_EEPKS3_PKS4_PKT2_PKT3_S8_PT4_21rocsparse_index_base_b,"axG",@progbits,_ZN9rocsparseL29csrmvn_lrb_medium_rows_kernelILj256Ell21rocsparse_complex_numIfES2_S2_S2_EEvbT0_PT1_S5_jNS_24const_host_device_scalarIT5_EEPKS3_PKS4_PKT2_PKT3_S8_PT4_21rocsparse_index_base_b,comdat
.Lfunc_end60:
	.size	_ZN9rocsparseL29csrmvn_lrb_medium_rows_kernelILj256Ell21rocsparse_complex_numIfES2_S2_S2_EEvbT0_PT1_S5_jNS_24const_host_device_scalarIT5_EEPKS3_PKS4_PKT2_PKT3_S8_PT4_21rocsparse_index_base_b, .Lfunc_end60-_ZN9rocsparseL29csrmvn_lrb_medium_rows_kernelILj256Ell21rocsparse_complex_numIfES2_S2_S2_EEvbT0_PT1_S5_jNS_24const_host_device_scalarIT5_EEPKS3_PKS4_PKT2_PKT3_S8_PT4_21rocsparse_index_base_b
                                        ; -- End function
	.set _ZN9rocsparseL29csrmvn_lrb_medium_rows_kernelILj256Ell21rocsparse_complex_numIfES2_S2_S2_EEvbT0_PT1_S5_jNS_24const_host_device_scalarIT5_EEPKS3_PKS4_PKT2_PKT3_S8_PT4_21rocsparse_index_base_b.num_vgpr, 22
	.set _ZN9rocsparseL29csrmvn_lrb_medium_rows_kernelILj256Ell21rocsparse_complex_numIfES2_S2_S2_EEvbT0_PT1_S5_jNS_24const_host_device_scalarIT5_EEPKS3_PKS4_PKT2_PKT3_S8_PT4_21rocsparse_index_base_b.num_agpr, 0
	.set _ZN9rocsparseL29csrmvn_lrb_medium_rows_kernelILj256Ell21rocsparse_complex_numIfES2_S2_S2_EEvbT0_PT1_S5_jNS_24const_host_device_scalarIT5_EEPKS3_PKS4_PKT2_PKT3_S8_PT4_21rocsparse_index_base_b.numbered_sgpr, 16
	.set _ZN9rocsparseL29csrmvn_lrb_medium_rows_kernelILj256Ell21rocsparse_complex_numIfES2_S2_S2_EEvbT0_PT1_S5_jNS_24const_host_device_scalarIT5_EEPKS3_PKS4_PKT2_PKT3_S8_PT4_21rocsparse_index_base_b.num_named_barrier, 0
	.set _ZN9rocsparseL29csrmvn_lrb_medium_rows_kernelILj256Ell21rocsparse_complex_numIfES2_S2_S2_EEvbT0_PT1_S5_jNS_24const_host_device_scalarIT5_EEPKS3_PKS4_PKT2_PKT3_S8_PT4_21rocsparse_index_base_b.private_seg_size, 0
	.set _ZN9rocsparseL29csrmvn_lrb_medium_rows_kernelILj256Ell21rocsparse_complex_numIfES2_S2_S2_EEvbT0_PT1_S5_jNS_24const_host_device_scalarIT5_EEPKS3_PKS4_PKT2_PKT3_S8_PT4_21rocsparse_index_base_b.uses_vcc, 1
	.set _ZN9rocsparseL29csrmvn_lrb_medium_rows_kernelILj256Ell21rocsparse_complex_numIfES2_S2_S2_EEvbT0_PT1_S5_jNS_24const_host_device_scalarIT5_EEPKS3_PKS4_PKT2_PKT3_S8_PT4_21rocsparse_index_base_b.uses_flat_scratch, 1
	.set _ZN9rocsparseL29csrmvn_lrb_medium_rows_kernelILj256Ell21rocsparse_complex_numIfES2_S2_S2_EEvbT0_PT1_S5_jNS_24const_host_device_scalarIT5_EEPKS3_PKS4_PKT2_PKT3_S8_PT4_21rocsparse_index_base_b.has_dyn_sized_stack, 0
	.set _ZN9rocsparseL29csrmvn_lrb_medium_rows_kernelILj256Ell21rocsparse_complex_numIfES2_S2_S2_EEvbT0_PT1_S5_jNS_24const_host_device_scalarIT5_EEPKS3_PKS4_PKT2_PKT3_S8_PT4_21rocsparse_index_base_b.has_recursion, 0
	.set _ZN9rocsparseL29csrmvn_lrb_medium_rows_kernelILj256Ell21rocsparse_complex_numIfES2_S2_S2_EEvbT0_PT1_S5_jNS_24const_host_device_scalarIT5_EEPKS3_PKS4_PKT2_PKT3_S8_PT4_21rocsparse_index_base_b.has_indirect_call, 0
	.section	.AMDGPU.csdata,"",@progbits
; Kernel info:
; codeLenInByte = 1284
; TotalNumSgprs: 18
; NumVgprs: 22
; ScratchSize: 0
; MemoryBound: 0
; FloatMode: 240
; IeeeMode: 1
; LDSByteSize: 2048 bytes/workgroup (compile time only)
; SGPRBlocks: 0
; VGPRBlocks: 1
; NumSGPRsForWavesPerEU: 18
; NumVGPRsForWavesPerEU: 22
; NamedBarCnt: 0
; Occupancy: 16
; WaveLimiterHint : 1
; COMPUTE_PGM_RSRC2:SCRATCH_EN: 0
; COMPUTE_PGM_RSRC2:USER_SGPR: 2
; COMPUTE_PGM_RSRC2:TRAP_HANDLER: 0
; COMPUTE_PGM_RSRC2:TGID_X_EN: 1
; COMPUTE_PGM_RSRC2:TGID_Y_EN: 0
; COMPUTE_PGM_RSRC2:TGID_Z_EN: 0
; COMPUTE_PGM_RSRC2:TIDIG_COMP_CNT: 0
	.section	.text._ZN9rocsparseL27csrmvn_lrb_long_rows_kernelIll21rocsparse_complex_numIfES2_S2_S2_EEvbT_PjPT0_S6_jNS_24const_host_device_scalarIT4_EEPKS3_PKS5_PKT1_PKT2_S9_PT3_21rocsparse_index_base_b,"axG",@progbits,_ZN9rocsparseL27csrmvn_lrb_long_rows_kernelIll21rocsparse_complex_numIfES2_S2_S2_EEvbT_PjPT0_S6_jNS_24const_host_device_scalarIT4_EEPKS3_PKS5_PKT1_PKT2_S9_PT3_21rocsparse_index_base_b,comdat
	.globl	_ZN9rocsparseL27csrmvn_lrb_long_rows_kernelIll21rocsparse_complex_numIfES2_S2_S2_EEvbT_PjPT0_S6_jNS_24const_host_device_scalarIT4_EEPKS3_PKS5_PKT1_PKT2_S9_PT3_21rocsparse_index_base_b ; -- Begin function _ZN9rocsparseL27csrmvn_lrb_long_rows_kernelIll21rocsparse_complex_numIfES2_S2_S2_EEvbT_PjPT0_S6_jNS_24const_host_device_scalarIT4_EEPKS3_PKS5_PKT1_PKT2_S9_PT3_21rocsparse_index_base_b
	.p2align	8
	.type	_ZN9rocsparseL27csrmvn_lrb_long_rows_kernelIll21rocsparse_complex_numIfES2_S2_S2_EEvbT_PjPT0_S6_jNS_24const_host_device_scalarIT4_EEPKS3_PKS5_PKT1_PKT2_S9_PT3_21rocsparse_index_base_b,@function
_ZN9rocsparseL27csrmvn_lrb_long_rows_kernelIll21rocsparse_complex_numIfES2_S2_S2_EEvbT_PjPT0_S6_jNS_24const_host_device_scalarIT4_EEPKS3_PKS5_PKT1_PKT2_S9_PT3_21rocsparse_index_base_b: ; @_ZN9rocsparseL27csrmvn_lrb_long_rows_kernelIll21rocsparse_complex_numIfES2_S2_S2_EEvbT_PjPT0_S6_jNS_24const_host_device_scalarIT4_EEPKS3_PKS5_PKT1_PKT2_S9_PT3_21rocsparse_index_base_b
; %bb.0:
	s_clause 0x2
	s_load_b64 s[18:19], s[0:1], 0x68
	s_load_b64 s[2:3], s[0:1], 0x30
	;; [unrolled: 1-line block ×3, first 2 shown]
	v_mov_b32_e32 v1, 0
	s_add_nc_u64 s[6:7], s[0:1], 48
	s_wait_kmcnt 0x0
	s_bitcmp1_b32 s19, 0
	s_cselect_b32 s3, s7, s3
	s_cselect_b32 s2, s6, s2
	flat_load_b64 v[2:3], v1, s[2:3]
	s_wait_xcnt 0x0
	s_add_nc_u64 s[2:3], s[0:1], 0x58
	s_delay_alu instid0(SALU_CYCLE_1)
	s_cselect_b32 s3, s3, s5
	s_cselect_b32 s2, s2, s4
	flat_load_b64 v[4:5], v1, s[2:3]
	s_wait_loadcnt_dscnt 0x101
	v_cmp_eq_f32_e32 vcc_lo, 0, v2
	s_wait_xcnt 0x0
	v_cmp_eq_f32_e64 s2, 0, v3
	s_and_b32 s4, vcc_lo, s2
	s_mov_b32 s2, -1
	s_and_saveexec_b32 s3, s4
	s_cbranch_execz .LBB61_2
; %bb.1:
	s_wait_loadcnt_dscnt 0x0
	v_cmp_neq_f32_e32 vcc_lo, 1.0, v4
	v_cmp_neq_f32_e64 s2, 0, v5
	s_or_b32 s2, vcc_lo, s2
	s_delay_alu instid0(SALU_CYCLE_1)
	s_or_not1_b32 s2, s2, exec_lo
.LBB61_2:
	s_or_b32 exec_lo, exec_lo, s3
	s_and_saveexec_b32 s3, s2
	s_cbranch_execz .LBB61_38
; %bb.3:
	s_clause 0x1
	s_load_b96 s[8:10], s[0:1], 0x20
	s_load_b128 s[4:7], s[0:1], 0x10
	s_bfe_u32 s12, ttmp6, 0x4000c
	s_and_b32 s11, ttmp6, 15
	s_add_co_i32 s12, s12, 1
	s_getreg_b32 s13, hwreg(HW_REG_IB_STS2, 6, 4)
	v_mov_b64_e32 v[6:7], 0
	s_mov_b32 s23, exec_lo
	s_wait_kmcnt 0x0
	s_lshl_b32 s2, -1, s10
	s_delay_alu instid0(SALU_CYCLE_1) | instskip(NEXT) | instid1(SALU_CYCLE_1)
	s_not_b32 s2, s2
	s_mul_hi_u32 s2, s2, 0x2aaaaaab
	s_delay_alu instid0(SALU_CYCLE_1) | instskip(NEXT) | instid1(SALU_CYCLE_1)
	s_lshr_b32 s2, s2, 7
	s_add_co_i32 s19, s2, 1
	s_not_b32 s2, s2
	s_cvt_f32_u32 s3, s19
	s_delay_alu instid0(SALU_CYCLE_3) | instskip(SKIP_1) | instid1(TRANS32_DEP_1)
	v_rcp_iflag_f32_e32 v1, s3
	v_nop
	v_readfirstlane_b32 s3, v1
	s_mul_f32 s3, s3, 0x4f7ffffe
	s_delay_alu instid0(SALU_CYCLE_3) | instskip(SKIP_1) | instid1(SALU_CYCLE_1)
	s_cvt_u32_f32 s14, s3
	s_mul_i32 s3, ttmp9, s12
	s_add_co_i32 s11, s11, s3
	s_delay_alu instid0(SALU_CYCLE_1) | instskip(NEXT) | instid1(SALU_CYCLE_1)
	s_mul_i32 s2, s2, s14
	s_mul_hi_u32 s12, s14, s2
	s_load_b64 s[2:3], s[8:9], s10 offset:0x0 scale_offset
	s_add_co_i32 s14, s14, s12
	s_cmp_eq_u32 s13, 0
	s_cselect_b32 s16, ttmp9, s11
	s_wait_xcnt 0x0
	s_mul_hi_u32 s8, s16, s14
	s_delay_alu instid0(SALU_CYCLE_1) | instskip(SKIP_2) | instid1(SALU_CYCLE_1)
	s_mul_i32 s9, s8, s19
	s_add_co_i32 s10, s8, 1
	s_sub_co_i32 s9, s16, s9
	s_sub_co_i32 s11, s9, s19
	s_cmp_ge_u32 s9, s19
	s_cselect_b32 s8, s10, s8
	s_cselect_b32 s9, s11, s9
	s_add_co_i32 s10, s8, 1
	s_cmp_ge_u32 s9, s19
	s_cselect_b32 s20, s10, s8
	s_wait_kmcnt 0x0
	s_lshl_b64 s[2:3], s[2:3], 3
	s_ashr_i32 s17, s16, 31
	s_add_nc_u64 s[6:7], s[6:7], s[2:3]
	s_load_b64 s[8:9], s[6:7], s20 offset:0x0 scale_offset
	s_clause 0x1
	s_load_b64 s[10:11], s[0:1], 0x38
	s_load_b64 s[2:3], s[0:1], 0x60
	s_wait_xcnt 0x0
	s_mul_i32 s20, s20, s19
	s_mov_b32 s19, 0
	s_wait_kmcnt 0x0
	s_lshl_b64 s[6:7], s[8:9], 3
	s_lshl_b64 s[8:9], s[16:17], 2
	s_add_nc_u64 s[14:15], s[10:11], s[6:7]
	s_add_nc_u64 s[12:13], s[4:5], s[8:9]
	s_load_b128 s[8:11], s[14:15], 0x0
	s_load_b32 s22, s[12:13], 0x0
	s_wait_xcnt 0x0
	s_sub_co_i32 s14, s16, s20
	s_mov_b32 s15, s19
	v_or_b32_e32 v1, s14, v0
	s_sub_nc_u64 s[16:17], s[16:17], s[14:15]
	s_delay_alu instid0(VALU_DEP_1)
	v_cmpx_eq_u32_e32 0, v1
	s_cbranch_execz .LBB61_7
; %bb.4:
	s_add_nc_u64 s[26:27], s[2:3], s[6:7]
	s_wait_loadcnt_dscnt 0x0
	v_add_f32_e32 v7, -1.0, v4
	s_load_b64 s[20:21], s[26:27], 0x0
	v_xor_b32_e32 v6, 0x80000000, v5
	s_mov_b32 s24, exec_lo
	s_mov_b32 s25, exec_lo
	v_mbcnt_lo_u32_b32 v1, s24, 0
	v_mov_b32_e32 v4, v7
	global_wb scope:SCOPE_DEV
	s_wait_storecnt 0x0
	global_inv scope:SCOPE_DEV
	s_wait_kmcnt 0x0
	v_mov_b64_e32 v[8:9], s[20:21]
	s_delay_alu instid0(VALU_DEP_1)
	v_pk_mul_f32 v[6:7], v[8:9], v[6:7] op_sel:[1,0]
	v_cmpx_eq_u32_e32 0, v1
	s_cbranch_execz .LBB61_6
; %bb.5:
	s_bcnt1_i32_b32 s24, s24
	s_lshl_b64 s[26:27], s[16:17], 2
	s_and_b32 s24, s24, 1
	s_delay_alu instid0(SALU_CYCLE_1)
	v_dual_mov_b32 v1, 0 :: v_dual_mov_b32 v8, s24
	s_add_nc_u64 s[26:27], s[4:5], s[26:27]
	global_atomic_xor_b32 v1, v8, s[26:27] scope:SCOPE_DEV
.LBB61_6:
	s_wait_xcnt 0x0
	s_or_b32 exec_lo, exec_lo, s25
	v_pk_fma_f32 v[6:7], v[4:5], s[20:21], v[6:7] op_sel_hi:[1,0,1]
.LBB61_7:
	s_or_b32 exec_lo, exec_lo, s23
	s_mul_u64 s[20:21], s[14:15], 0x300
	s_wait_kmcnt 0x0
	s_sub_nc_u64 s[8:9], s[8:9], s[18:19]
	s_sub_nc_u64 s[10:11], s[10:11], s[18:19]
	s_add_nc_u64 s[8:9], s[8:9], s[20:21]
	v_mov_b32_e32 v1, 0
	s_add_nc_u64 s[20:21], s[8:9], 0x300
	s_wait_loadcnt_dscnt 0x0
	v_min_i64 v[4:5], s[20:21], s[10:11]
	s_delay_alu instid0(VALU_DEP_2) | instskip(SKIP_1) | instid1(VALU_DEP_1)
	v_add_nc_u64_e32 v[8:9], s[8:9], v[0:1]
	s_mov_b32 s8, exec_lo
	v_cmpx_lt_i64_e64 v[8:9], v[4:5]
	s_cbranch_execz .LBB61_11
; %bb.8:
	s_clause 0x1
	s_load_b128 s[24:27], s[0:1], 0x40
	s_load_b32 s9, s[0:1], 0x0
	v_lshlrev_b64_e32 v[12:13], 3, v[8:9]
	s_wait_xcnt 0x0
	s_load_b64 s[0:1], s[0:1], 0x50
	v_xor_b32_e32 v14, 0x80000000, v3
	v_mov_b32_e32 v15, v2
	s_wait_kmcnt 0x0
	s_delay_alu instid0(VALU_DEP_3) | instskip(SKIP_4) | instid1(VALU_DEP_2)
	v_add_nc_u64_e32 v[10:11], s[26:27], v[12:13]
	v_add_nc_u64_e32 v[12:13], s[24:25], v[12:13]
	s_bitcmp1_b32 s9, 0
	s_mov_b32 s9, 0
	s_cselect_b32 s10, -1, 0
	v_add_nc_u64_e32 v[10:11], 4, v[10:11]
.LBB61_9:                               ; =>This Inner Loop Header: Depth=1
	global_load_b64 v[16:17], v[12:13], off
	global_load_b64 v[18:19], v[10:11], off offset:-4
	v_add_nc_u64_e32 v[8:9], 0x100, v[8:9]
	s_wait_xcnt 0x0
	v_add_nc_u64_e32 v[10:11], 0x800, v[10:11]
	v_add_nc_u64_e32 v[12:13], 0x800, v[12:13]
	s_delay_alu instid0(VALU_DEP_3)
	v_cmp_ge_i64_e32 vcc_lo, v[8:9], v[4:5]
	s_or_b32 s9, vcc_lo, s9
	s_wait_loadcnt 0x1
	v_sub_nc_u64_e64 v[16:17], v[16:17], s[18:19]
	s_wait_loadcnt 0x0
	v_cndmask_b32_e64 v20, v19, -v19, s10
	s_delay_alu instid0(VALU_DEP_1) | instskip(NEXT) | instid1(VALU_DEP_3)
	v_pk_mul_f32 v[20:21], v[20:21], v[14:15] op_sel_hi:[0,1]
	v_lshl_add_u64 v[16:17], v[16:17], 3, s[0:1]
	s_delay_alu instid0(VALU_DEP_2) | instskip(SKIP_3) | instid1(VALU_DEP_1)
	v_pk_fma_f32 v[18:19], v[2:3], v[18:19], v[20:21] op_sel_hi:[1,0,1]
	global_load_b64 v[16:17], v[16:17], off
	s_wait_loadcnt 0x0
	v_pk_fma_f32 v[6:7], v[18:19], v[16:17], v[6:7] op_sel_hi:[1,0,1]
	v_pk_fma_f32 v[6:7], v[18:19], v[16:17], v[6:7] op_sel:[1,1,0] op_sel_hi:[0,1,1] neg_lo:[1,0,0]
	s_wait_xcnt 0x0
	s_and_not1_b32 exec_lo, exec_lo, s9
	s_cbranch_execnz .LBB61_9
; %bb.10:
	s_or_b32 exec_lo, exec_lo, s9
.LBB61_11:
	s_delay_alu instid0(SALU_CYCLE_1)
	s_or_b32 exec_lo, exec_lo, s8
	v_lshlrev_b32_e32 v1, 3, v0
	s_mov_b32 s0, exec_lo
	ds_store_b64 v1, v[6:7]
	s_wait_storecnt_dscnt 0x0
	s_barrier_signal -1
	s_barrier_wait -1
	v_cmpx_gt_u32_e32 0x80, v0
	s_cbranch_execz .LBB61_13
; %bb.12:
	ds_load_2addr_stride64_b64 v[2:5], v1 offset1:2
	s_wait_dscnt 0x0
	v_pk_add_f32 v[2:3], v[4:5], v[2:3]
	ds_store_b64 v1, v[2:3]
.LBB61_13:
	s_or_b32 exec_lo, exec_lo, s0
	s_delay_alu instid0(SALU_CYCLE_1)
	s_mov_b32 s0, exec_lo
	s_wait_dscnt 0x0
	s_barrier_signal -1
	s_barrier_wait -1
	v_cmpx_gt_u32_e32 64, v0
	s_cbranch_execz .LBB61_15
; %bb.14:
	ds_load_2addr_stride64_b64 v[2:5], v1 offset1:1
	s_wait_dscnt 0x0
	v_pk_add_f32 v[2:3], v[4:5], v[2:3]
	ds_store_b64 v1, v[2:3]
.LBB61_15:
	s_or_b32 exec_lo, exec_lo, s0
	s_delay_alu instid0(SALU_CYCLE_1)
	s_mov_b32 s0, exec_lo
	s_wait_dscnt 0x0
	s_barrier_signal -1
	s_barrier_wait -1
	v_cmpx_gt_u32_e32 32, v0
	s_cbranch_execz .LBB61_17
; %bb.16:
	ds_load_2addr_b64 v[2:5], v1 offset1:32
	s_wait_dscnt 0x0
	v_pk_add_f32 v[2:3], v[4:5], v[2:3]
	ds_store_b64 v1, v[2:3]
.LBB61_17:
	s_or_b32 exec_lo, exec_lo, s0
	s_delay_alu instid0(SALU_CYCLE_1)
	s_mov_b32 s0, exec_lo
	s_wait_dscnt 0x0
	s_barrier_signal -1
	s_barrier_wait -1
	v_cmpx_gt_u32_e32 16, v0
	s_cbranch_execz .LBB61_19
; %bb.18:
	ds_load_2addr_b64 v[2:5], v1 offset1:16
	s_wait_dscnt 0x0
	v_pk_add_f32 v[2:3], v[4:5], v[2:3]
	ds_store_b64 v1, v[2:3]
.LBB61_19:
	;; [unrolled: 14-line block ×5, first 2 shown]
	s_or_b32 exec_lo, exec_lo, s0
	v_cmp_eq_u32_e32 vcc_lo, 0, v0
	s_wait_dscnt 0x0
	s_barrier_signal -1
	s_barrier_wait -1
	s_and_saveexec_b32 s0, vcc_lo
	s_cbranch_execz .LBB61_27
; %bb.26:
	v_mov_b32_e32 v4, 0
	ds_load_2addr_b64 v[0:3], v4 offset1:1
	s_wait_dscnt 0x0
	v_pk_add_f32 v[0:1], v[2:3], v[0:1]
	ds_store_b64 v4, v[0:1]
.LBB61_27:
	s_or_b32 exec_lo, exec_lo, s0
	s_wait_dscnt 0x0
	s_barrier_signal -1
	s_barrier_wait -1
	s_and_b32 exec_lo, exec_lo, vcc_lo
	s_cbranch_execz .LBB61_38
; %bb.28:
	s_cmp_eq_u32 s14, 0
	s_cbranch_scc1 .LBB61_34
; %bb.29:
	v_mov_b32_e32 v0, 0
	s_lshl_b64 s[0:1], s[16:17], 2
	s_delay_alu instid0(SALU_CYCLE_1)
	s_add_nc_u64 s[0:1], s[4:5], s[0:1]
	s_branch .LBB61_31
.LBB61_30:                              ;   in Loop: Header=BB61_31 Depth=1
	s_wait_xcnt 0x0
	s_or_b32 exec_lo, exec_lo, s4
	s_wait_loadcnt 0x0
	v_readfirstlane_b32 s4, v1
	s_cmp_eq_u32 s4, s22
	s_cbranch_scc0 .LBB61_33
.LBB61_31:                              ; =>This Inner Loop Header: Depth=1
	v_mbcnt_lo_u32_b32 v1, exec_lo, 0
	s_delay_alu instid0(VALU_DEP_1)
	v_cmp_eq_u32_e32 vcc_lo, 0, v1
                                        ; implicit-def: $vgpr1
	s_and_saveexec_b32 s4, vcc_lo
	s_cbranch_execz .LBB61_30
; %bb.32:                               ;   in Loop: Header=BB61_31 Depth=1
	global_load_b32 v1, v0, s[0:1] scope:SCOPE_DEV
	s_branch .LBB61_30
.LBB61_33:
	v_mov_b32_e32 v0, 0
	global_load_u16 v1, v0, s[12:13]
	s_wait_loadcnt 0x0
	v_xor_b32_e32 v1, 1, v1
	global_store_b16 v0, v1, s[12:13]
.LBB61_34:
	v_mov_b32_e32 v2, 0
	s_mov_b32 s4, exec_lo
	s_add_nc_u64 s[0:1], s[2:3], s[6:7]
	v_mbcnt_lo_u32_b32 v3, s4, 0
	s_mov_b32 s2, exec_lo
	s_wait_xcnt 0x0
	ds_load_b64 v[0:1], v2
	v_cmpx_eq_u32_e32 0, v3
	s_cbranch_execz .LBB61_36
; %bb.35:
	s_bcnt1_i32_b32 s3, s4
	s_delay_alu instid0(SALU_CYCLE_1) | instskip(SKIP_1) | instid1(VALU_DEP_1)
	v_cvt_f32_ubyte0_e32 v3, s3
	s_wait_dscnt 0x0
	v_mul_f32_e32 v0, v0, v3
	global_atomic_add_f32 v2, v0, s[0:1] scope:SCOPE_DEV
.LBB61_36:
	s_wait_xcnt 0x0
	s_or_b32 exec_lo, exec_lo, s2
	s_delay_alu instid0(SALU_CYCLE_1) | instskip(SKIP_2) | instid1(VALU_DEP_1)
	s_mov_b32 s2, exec_lo
	s_wait_dscnt 0x0
	v_mbcnt_lo_u32_b32 v0, s2, 0
	v_cmp_eq_u32_e32 vcc_lo, 0, v0
	s_and_b32 s3, exec_lo, vcc_lo
	s_delay_alu instid0(SALU_CYCLE_1)
	s_mov_b32 exec_lo, s3
	s_cbranch_execz .LBB61_38
; %bb.37:
	s_bcnt1_i32_b32 s2, s2
	s_delay_alu instid0(SALU_CYCLE_1) | instskip(NEXT) | instid1(VALU_DEP_1)
	v_cvt_f32_ubyte0_e32 v0, s2
	v_dual_mul_f32 v0, v1, v0 :: v_dual_mov_b32 v1, 0
	global_atomic_add_f32 v1, v0, s[0:1] offset:4 scope:SCOPE_DEV
.LBB61_38:
	s_endpgm
	.section	.rodata,"a",@progbits
	.p2align	6, 0x0
	.amdhsa_kernel _ZN9rocsparseL27csrmvn_lrb_long_rows_kernelIll21rocsparse_complex_numIfES2_S2_S2_EEvbT_PjPT0_S6_jNS_24const_host_device_scalarIT4_EEPKS3_PKS5_PKT1_PKT2_S9_PT3_21rocsparse_index_base_b
		.amdhsa_group_segment_fixed_size 2048
		.amdhsa_private_segment_fixed_size 0
		.amdhsa_kernarg_size 112
		.amdhsa_user_sgpr_count 2
		.amdhsa_user_sgpr_dispatch_ptr 0
		.amdhsa_user_sgpr_queue_ptr 0
		.amdhsa_user_sgpr_kernarg_segment_ptr 1
		.amdhsa_user_sgpr_dispatch_id 0
		.amdhsa_user_sgpr_kernarg_preload_length 0
		.amdhsa_user_sgpr_kernarg_preload_offset 0
		.amdhsa_user_sgpr_private_segment_size 0
		.amdhsa_wavefront_size32 1
		.amdhsa_uses_dynamic_stack 0
		.amdhsa_enable_private_segment 0
		.amdhsa_system_sgpr_workgroup_id_x 1
		.amdhsa_system_sgpr_workgroup_id_y 0
		.amdhsa_system_sgpr_workgroup_id_z 0
		.amdhsa_system_sgpr_workgroup_info 0
		.amdhsa_system_vgpr_workitem_id 0
		.amdhsa_next_free_vgpr 22
		.amdhsa_next_free_sgpr 28
		.amdhsa_named_barrier_count 0
		.amdhsa_reserve_vcc 1
		.amdhsa_float_round_mode_32 0
		.amdhsa_float_round_mode_16_64 0
		.amdhsa_float_denorm_mode_32 3
		.amdhsa_float_denorm_mode_16_64 3
		.amdhsa_fp16_overflow 0
		.amdhsa_memory_ordered 1
		.amdhsa_forward_progress 1
		.amdhsa_inst_pref_size 15
		.amdhsa_round_robin_scheduling 0
		.amdhsa_exception_fp_ieee_invalid_op 0
		.amdhsa_exception_fp_denorm_src 0
		.amdhsa_exception_fp_ieee_div_zero 0
		.amdhsa_exception_fp_ieee_overflow 0
		.amdhsa_exception_fp_ieee_underflow 0
		.amdhsa_exception_fp_ieee_inexact 0
		.amdhsa_exception_int_div_zero 0
	.end_amdhsa_kernel
	.section	.text._ZN9rocsparseL27csrmvn_lrb_long_rows_kernelIll21rocsparse_complex_numIfES2_S2_S2_EEvbT_PjPT0_S6_jNS_24const_host_device_scalarIT4_EEPKS3_PKS5_PKT1_PKT2_S9_PT3_21rocsparse_index_base_b,"axG",@progbits,_ZN9rocsparseL27csrmvn_lrb_long_rows_kernelIll21rocsparse_complex_numIfES2_S2_S2_EEvbT_PjPT0_S6_jNS_24const_host_device_scalarIT4_EEPKS3_PKS5_PKT1_PKT2_S9_PT3_21rocsparse_index_base_b,comdat
.Lfunc_end61:
	.size	_ZN9rocsparseL27csrmvn_lrb_long_rows_kernelIll21rocsparse_complex_numIfES2_S2_S2_EEvbT_PjPT0_S6_jNS_24const_host_device_scalarIT4_EEPKS3_PKS5_PKT1_PKT2_S9_PT3_21rocsparse_index_base_b, .Lfunc_end61-_ZN9rocsparseL27csrmvn_lrb_long_rows_kernelIll21rocsparse_complex_numIfES2_S2_S2_EEvbT_PjPT0_S6_jNS_24const_host_device_scalarIT4_EEPKS3_PKS5_PKT1_PKT2_S9_PT3_21rocsparse_index_base_b
                                        ; -- End function
	.set _ZN9rocsparseL27csrmvn_lrb_long_rows_kernelIll21rocsparse_complex_numIfES2_S2_S2_EEvbT_PjPT0_S6_jNS_24const_host_device_scalarIT4_EEPKS3_PKS5_PKT1_PKT2_S9_PT3_21rocsparse_index_base_b.num_vgpr, 22
	.set _ZN9rocsparseL27csrmvn_lrb_long_rows_kernelIll21rocsparse_complex_numIfES2_S2_S2_EEvbT_PjPT0_S6_jNS_24const_host_device_scalarIT4_EEPKS3_PKS5_PKT1_PKT2_S9_PT3_21rocsparse_index_base_b.num_agpr, 0
	.set _ZN9rocsparseL27csrmvn_lrb_long_rows_kernelIll21rocsparse_complex_numIfES2_S2_S2_EEvbT_PjPT0_S6_jNS_24const_host_device_scalarIT4_EEPKS3_PKS5_PKT1_PKT2_S9_PT3_21rocsparse_index_base_b.numbered_sgpr, 28
	.set _ZN9rocsparseL27csrmvn_lrb_long_rows_kernelIll21rocsparse_complex_numIfES2_S2_S2_EEvbT_PjPT0_S6_jNS_24const_host_device_scalarIT4_EEPKS3_PKS5_PKT1_PKT2_S9_PT3_21rocsparse_index_base_b.num_named_barrier, 0
	.set _ZN9rocsparseL27csrmvn_lrb_long_rows_kernelIll21rocsparse_complex_numIfES2_S2_S2_EEvbT_PjPT0_S6_jNS_24const_host_device_scalarIT4_EEPKS3_PKS5_PKT1_PKT2_S9_PT3_21rocsparse_index_base_b.private_seg_size, 0
	.set _ZN9rocsparseL27csrmvn_lrb_long_rows_kernelIll21rocsparse_complex_numIfES2_S2_S2_EEvbT_PjPT0_S6_jNS_24const_host_device_scalarIT4_EEPKS3_PKS5_PKT1_PKT2_S9_PT3_21rocsparse_index_base_b.uses_vcc, 1
	.set _ZN9rocsparseL27csrmvn_lrb_long_rows_kernelIll21rocsparse_complex_numIfES2_S2_S2_EEvbT_PjPT0_S6_jNS_24const_host_device_scalarIT4_EEPKS3_PKS5_PKT1_PKT2_S9_PT3_21rocsparse_index_base_b.uses_flat_scratch, 0
	.set _ZN9rocsparseL27csrmvn_lrb_long_rows_kernelIll21rocsparse_complex_numIfES2_S2_S2_EEvbT_PjPT0_S6_jNS_24const_host_device_scalarIT4_EEPKS3_PKS5_PKT1_PKT2_S9_PT3_21rocsparse_index_base_b.has_dyn_sized_stack, 0
	.set _ZN9rocsparseL27csrmvn_lrb_long_rows_kernelIll21rocsparse_complex_numIfES2_S2_S2_EEvbT_PjPT0_S6_jNS_24const_host_device_scalarIT4_EEPKS3_PKS5_PKT1_PKT2_S9_PT3_21rocsparse_index_base_b.has_recursion, 0
	.set _ZN9rocsparseL27csrmvn_lrb_long_rows_kernelIll21rocsparse_complex_numIfES2_S2_S2_EEvbT_PjPT0_S6_jNS_24const_host_device_scalarIT4_EEPKS3_PKS5_PKT1_PKT2_S9_PT3_21rocsparse_index_base_b.has_indirect_call, 0
	.section	.AMDGPU.csdata,"",@progbits
; Kernel info:
; codeLenInByte = 1808
; TotalNumSgprs: 30
; NumVgprs: 22
; ScratchSize: 0
; MemoryBound: 0
; FloatMode: 240
; IeeeMode: 1
; LDSByteSize: 2048 bytes/workgroup (compile time only)
; SGPRBlocks: 0
; VGPRBlocks: 1
; NumSGPRsForWavesPerEU: 30
; NumVGPRsForWavesPerEU: 22
; NamedBarCnt: 0
; Occupancy: 16
; WaveLimiterHint : 1
; COMPUTE_PGM_RSRC2:SCRATCH_EN: 0
; COMPUTE_PGM_RSRC2:USER_SGPR: 2
; COMPUTE_PGM_RSRC2:TRAP_HANDLER: 0
; COMPUTE_PGM_RSRC2:TGID_X_EN: 1
; COMPUTE_PGM_RSRC2:TGID_Y_EN: 0
; COMPUTE_PGM_RSRC2:TGID_Z_EN: 0
; COMPUTE_PGM_RSRC2:TIDIG_COMP_CNT: 0
	.section	.text._ZN9rocsparseL28csrmvn_lrb_short_rows_kernelIii21rocsparse_complex_numIdES2_S2_S2_EEvbT_PT0_S5_jNS_24const_host_device_scalarIT4_EEPKS3_PKS4_PKT1_PKT2_S8_PT3_21rocsparse_index_base_b,"axG",@progbits,_ZN9rocsparseL28csrmvn_lrb_short_rows_kernelIii21rocsparse_complex_numIdES2_S2_S2_EEvbT_PT0_S5_jNS_24const_host_device_scalarIT4_EEPKS3_PKS4_PKT1_PKT2_S8_PT3_21rocsparse_index_base_b,comdat
	.globl	_ZN9rocsparseL28csrmvn_lrb_short_rows_kernelIii21rocsparse_complex_numIdES2_S2_S2_EEvbT_PT0_S5_jNS_24const_host_device_scalarIT4_EEPKS3_PKS4_PKT1_PKT2_S8_PT3_21rocsparse_index_base_b ; -- Begin function _ZN9rocsparseL28csrmvn_lrb_short_rows_kernelIii21rocsparse_complex_numIdES2_S2_S2_EEvbT_PT0_S5_jNS_24const_host_device_scalarIT4_EEPKS3_PKS4_PKT1_PKT2_S8_PT3_21rocsparse_index_base_b
	.p2align	8
	.type	_ZN9rocsparseL28csrmvn_lrb_short_rows_kernelIii21rocsparse_complex_numIdES2_S2_S2_EEvbT_PT0_S5_jNS_24const_host_device_scalarIT4_EEPKS3_PKS4_PKT1_PKT2_S8_PT3_21rocsparse_index_base_b,@function
_ZN9rocsparseL28csrmvn_lrb_short_rows_kernelIii21rocsparse_complex_numIdES2_S2_S2_EEvbT_PT0_S5_jNS_24const_host_device_scalarIT4_EEPKS3_PKS4_PKT1_PKT2_S8_PT3_21rocsparse_index_base_b: ; @_ZN9rocsparseL28csrmvn_lrb_short_rows_kernelIii21rocsparse_complex_numIdES2_S2_S2_EEvbT_PT0_S5_jNS_24const_host_device_scalarIT4_EEPKS3_PKS4_PKT1_PKT2_S8_PT3_21rocsparse_index_base_b
; %bb.0:
	s_clause 0x1
	s_load_b64 s[16:17], s[0:1], 0x68
	s_load_b64 s[2:3], s[0:1], 0x20
	v_mov_b32_e32 v1, 0
	s_add_nc_u64 s[4:5], s[0:1], 32
	s_load_b64 s[6:7], s[0:1], 0x50
	s_wait_kmcnt 0x0
	s_bitcmp1_b32 s17, 0
	s_cselect_b32 s3, s5, s3
	s_cselect_b32 s2, s4, s2
	flat_load_b128 v[6:9], v1, s[2:3]
	s_wait_xcnt 0x0
	s_add_nc_u64 s[2:3], s[0:1], 0x50
	s_delay_alu instid0(SALU_CYCLE_1)
	s_cselect_b32 s3, s3, s7
	s_cselect_b32 s2, s2, s6
	flat_load_b128 v[2:5], v1, s[2:3]
	s_wait_loadcnt_dscnt 0x101
	v_cmp_eq_f64_e32 vcc_lo, 0, v[6:7]
	s_wait_xcnt 0x0
	v_cmp_eq_f64_e64 s2, 0, v[8:9]
	s_and_b32 s4, vcc_lo, s2
	s_mov_b32 s2, -1
	s_and_saveexec_b32 s3, s4
	s_cbranch_execz .LBB62_2
; %bb.1:
	s_wait_loadcnt_dscnt 0x0
	v_cmp_neq_f64_e32 vcc_lo, 1.0, v[2:3]
	v_cmp_neq_f64_e64 s2, 0, v[4:5]
	s_or_b32 s2, vcc_lo, s2
	s_delay_alu instid0(SALU_CYCLE_1)
	s_or_not1_b32 s2, s2, exec_lo
.LBB62_2:
	s_or_b32 exec_lo, exec_lo, s3
	s_and_saveexec_b32 s3, s2
	s_cbranch_execz .LBB62_16
; %bb.3:
	s_clause 0x1
	s_load_b32 s17, s[0:1], 0x18
	s_load_b128 s[12:15], s[0:1], 0x8
	s_and_b32 s5, ttmp6, 15
	s_getreg_b32 s6, hwreg(HW_REG_IB_STS2, 6, 4)
	s_mov_b32 s18, 0
	s_wait_kmcnt 0x0
	s_add_co_i32 s2, s17, 1
	s_clause 0x1
	s_load_b32 s3, s[14:15], s17 offset:0x0 scale_offset
	s_load_b32 s4, s[14:15], s2 offset:0x0 scale_offset
	s_wait_xcnt 0x0
	s_bfe_u32 s2, ttmp6, 0x4000c
	s_delay_alu instid0(SALU_CYCLE_1) | instskip(NEXT) | instid1(SALU_CYCLE_1)
	s_add_co_i32 s2, s2, 1
	s_mul_i32 s2, ttmp9, s2
	s_delay_alu instid0(SALU_CYCLE_1) | instskip(SKIP_4) | instid1(SALU_CYCLE_1)
	s_add_co_i32 s5, s5, s2
	s_wait_kmcnt 0x0
	s_sub_co_i32 s4, s4, s3
	s_cmp_eq_u32 s6, 0
	s_cselect_b32 s2, ttmp9, s5
	s_lshl_b32 s14, s2, 8
	s_delay_alu instid0(SALU_CYCLE_1) | instskip(NEXT) | instid1(SALU_CYCLE_1)
	s_add_co_i32 s2, s14, 0x100
	s_min_u32 s15, s4, s2
	s_cmp_gt_u32 s17, 23
	s_cbranch_scc1 .LBB62_10
; %bb.4:
	s_clause 0x1
	s_load_b32 s2, s[0:1], 0x0
	s_load_b256 s[4:11], s[0:1], 0x30
	v_bfe_u32 v1, v0, 0, s17
	s_lshl_b32 s19, 0x100, s17
	v_lshl_add_u32 v17, v0, 4, 0
	s_delay_alu instid0(VALU_DEP_2)
	v_subrev_nc_u32_e32 v16, s16, v1
	s_wait_kmcnt 0x0
	s_bitcmp1_b32 s2, 0
	s_cselect_b32 vcc_lo, -1, 0
	s_branch .LBB62_7
.LBB62_5:                               ;   in Loop: Header=BB62_7 Depth=1
	s_or_b32 exec_lo, exec_lo, s21
	ds_store_2addr_b64 v17, v[10:11], v[12:13] offset1:1
.LBB62_6:                               ;   in Loop: Header=BB62_7 Depth=1
	s_or_b32 exec_lo, exec_lo, s20
	v_add_nc_u32_e32 v17, 0x1000, v17
	s_addk_co_i32 s18, 0x100
	s_delay_alu instid0(SALU_CYCLE_1)
	s_cmp_ge_u32 s18, s19
	s_cbranch_scc1 .LBB62_10
.LBB62_7:                               ; =>This Inner Loop Header: Depth=1
	v_add_nc_u32_e32 v10, s18, v0
	s_mov_b32 s20, exec_lo
	s_delay_alu instid0(VALU_DEP_1) | instskip(NEXT) | instid1(VALU_DEP_1)
	v_lshrrev_b32_e32 v10, s17, v10
	v_add_nc_u32_e32 v10, s14, v10
	s_delay_alu instid0(VALU_DEP_1)
	v_cmpx_gt_u32_e64 s15, v10
	s_cbranch_execz .LBB62_6
; %bb.8:                                ;   in Loop: Header=BB62_7 Depth=1
	v_add_nc_u32_e32 v10, s3, v10
	v_mov_b64_e32 v[12:13], 0
	s_mov_b32 s21, exec_lo
	global_load_b32 v10, v10, s[12:13] scale_offset
	s_wait_loadcnt 0x0
	v_ashrrev_i32_e32 v11, 31, v10
	s_wait_xcnt 0x0
	s_delay_alu instid0(VALU_DEP_1)
	v_lshl_add_u64 v[10:11], v[10:11], 2, s[4:5]
	global_load_b64 v[14:15], v[10:11], off
	s_wait_xcnt 0x0
	v_mov_b64_e32 v[10:11], 0
	s_wait_loadcnt 0x0
	v_sub_nc_u32_e32 v15, v15, v14
	s_delay_alu instid0(VALU_DEP_1)
	v_cmpx_lt_u32_e64 v1, v15
	s_cbranch_execz .LBB62_5
; %bb.9:                                ;   in Loop: Header=BB62_7 Depth=1
	v_add_nc_u32_e32 v14, v16, v14
	s_clause 0x1
	global_load_b32 v15, v14, s[6:7] scale_offset
	global_load_b128 v[10:13], v14, s[8:9] scale_offset
	s_wait_loadcnt 0x1
	s_wait_xcnt 0x0
	v_subrev_nc_u32_e32 v14, s16, v15
	global_load_b128 v[18:21], v14, s[10:11] scale_offset
	s_wait_loadcnt 0x1
	s_wait_xcnt 0x0
	v_xor_b32_e32 v14, 0x80000000, v13
	s_delay_alu instid0(VALU_DEP_1) | instskip(NEXT) | instid1(VALU_DEP_1)
	v_cndmask_b32_e32 v13, v13, v14, vcc_lo
	v_mul_f64_e32 v[14:15], v[6:7], v[12:13]
	v_mul_f64_e64 v[22:23], v[12:13], -v[8:9]
	s_delay_alu instid0(VALU_DEP_2) | instskip(NEXT) | instid1(VALU_DEP_2)
	v_fmac_f64_e32 v[14:15], v[8:9], v[10:11]
	v_fmac_f64_e32 v[22:23], v[6:7], v[10:11]
	s_wait_loadcnt 0x0
	s_delay_alu instid0(VALU_DEP_2) | instskip(NEXT) | instid1(VALU_DEP_2)
	v_mul_f64_e64 v[10:11], v[20:21], -v[14:15]
	v_mul_f64_e32 v[12:13], v[20:21], v[22:23]
	s_delay_alu instid0(VALU_DEP_2) | instskip(NEXT) | instid1(VALU_DEP_2)
	v_fmac_f64_e32 v[10:11], v[22:23], v[18:19]
	v_fmac_f64_e32 v[12:13], v[14:15], v[18:19]
	s_branch .LBB62_5
.LBB62_10:
	s_sub_co_i32 s2, s15, s14
	s_wait_loadcnt_dscnt 0x0
	v_cmp_gt_u32_e32 vcc_lo, s2, v0
	s_barrier_signal -1
	s_barrier_wait -1
	s_and_b32 exec_lo, exec_lo, vcc_lo
	s_cbranch_execz .LBB62_16
; %bb.11:
	v_add3_u32 v1, s3, s14, v0
	s_load_b64 s[2:3], s[0:1], 0x60
	v_mov_b64_e32 v[8:9], 0
	v_lshlrev_b32_e32 v0, s17, v0
	s_wait_xcnt 0x0
	s_mov_b32 s0, 1
	global_load_b32 v10, v1, s[12:13] scale_offset
	v_lshl_add_u32 v0, v0, 4, 0
	v_mov_b64_e32 v[6:7], v[8:9]
.LBB62_12:                              ; =>This Inner Loop Header: Depth=1
	ds_load_2addr_b64 v[12:15], v0 offset1:1
	s_lshr_b32 s1, s0, s17
	s_add_co_i32 s0, s0, 1
	s_cmp_lg_u32 s1, 0
	s_wait_dscnt 0x0
	v_dual_add_f64 v[8:9], v[8:9], v[14:15] :: v_dual_add_nc_u32 v0, 16, v0
	v_add_f64_e32 v[6:7], v[6:7], v[12:13]
	s_cbranch_scc0 .LBB62_12
; %bb.13:
	v_cmp_neq_f64_e32 vcc_lo, 0, v[2:3]
	v_cmp_neq_f64_e64 s0, 0, v[4:5]
	s_wait_loadcnt 0x0
	v_ashrrev_i32_e32 v11, 31, v10
	s_wait_kmcnt 0x0
	s_delay_alu instid0(VALU_DEP_1) | instskip(SKIP_1) | instid1(SALU_CYCLE_1)
	v_lshl_add_u64 v[0:1], v[10:11], 4, s[2:3]
	s_or_b32 s1, vcc_lo, s0
	s_and_saveexec_b32 s0, s1
	s_cbranch_execz .LBB62_15
; %bb.14:
	global_load_b128 v[10:13], v[0:1], off
	s_wait_loadcnt 0x0
	v_fmac_f64_e32 v[6:7], v[2:3], v[10:11]
	v_fmac_f64_e32 v[8:9], v[4:5], v[10:11]
	s_delay_alu instid0(VALU_DEP_2) | instskip(NEXT) | instid1(VALU_DEP_2)
	v_fma_f64 v[6:7], -v[4:5], v[12:13], v[6:7]
	v_fmac_f64_e32 v[8:9], v[2:3], v[12:13]
.LBB62_15:
	s_or_b32 exec_lo, exec_lo, s0
	global_store_b128 v[0:1], v[6:9], off
.LBB62_16:
	s_endpgm
	.section	.rodata,"a",@progbits
	.p2align	6, 0x0
	.amdhsa_kernel _ZN9rocsparseL28csrmvn_lrb_short_rows_kernelIii21rocsparse_complex_numIdES2_S2_S2_EEvbT_PT0_S5_jNS_24const_host_device_scalarIT4_EEPKS3_PKS4_PKT1_PKT2_S8_PT3_21rocsparse_index_base_b
		.amdhsa_group_segment_fixed_size 0
		.amdhsa_private_segment_fixed_size 0
		.amdhsa_kernarg_size 112
		.amdhsa_user_sgpr_count 2
		.amdhsa_user_sgpr_dispatch_ptr 0
		.amdhsa_user_sgpr_queue_ptr 0
		.amdhsa_user_sgpr_kernarg_segment_ptr 1
		.amdhsa_user_sgpr_dispatch_id 0
		.amdhsa_user_sgpr_kernarg_preload_length 0
		.amdhsa_user_sgpr_kernarg_preload_offset 0
		.amdhsa_user_sgpr_private_segment_size 0
		.amdhsa_wavefront_size32 1
		.amdhsa_uses_dynamic_stack 0
		.amdhsa_enable_private_segment 0
		.amdhsa_system_sgpr_workgroup_id_x 1
		.amdhsa_system_sgpr_workgroup_id_y 0
		.amdhsa_system_sgpr_workgroup_id_z 0
		.amdhsa_system_sgpr_workgroup_info 0
		.amdhsa_system_vgpr_workitem_id 0
		.amdhsa_next_free_vgpr 24
		.amdhsa_next_free_sgpr 22
		.amdhsa_named_barrier_count 0
		.amdhsa_reserve_vcc 1
		.amdhsa_float_round_mode_32 0
		.amdhsa_float_round_mode_16_64 0
		.amdhsa_float_denorm_mode_32 3
		.amdhsa_float_denorm_mode_16_64 3
		.amdhsa_fp16_overflow 0
		.amdhsa_memory_ordered 1
		.amdhsa_forward_progress 1
		.amdhsa_inst_pref_size 8
		.amdhsa_round_robin_scheduling 0
		.amdhsa_exception_fp_ieee_invalid_op 0
		.amdhsa_exception_fp_denorm_src 0
		.amdhsa_exception_fp_ieee_div_zero 0
		.amdhsa_exception_fp_ieee_overflow 0
		.amdhsa_exception_fp_ieee_underflow 0
		.amdhsa_exception_fp_ieee_inexact 0
		.amdhsa_exception_int_div_zero 0
	.end_amdhsa_kernel
	.section	.text._ZN9rocsparseL28csrmvn_lrb_short_rows_kernelIii21rocsparse_complex_numIdES2_S2_S2_EEvbT_PT0_S5_jNS_24const_host_device_scalarIT4_EEPKS3_PKS4_PKT1_PKT2_S8_PT3_21rocsparse_index_base_b,"axG",@progbits,_ZN9rocsparseL28csrmvn_lrb_short_rows_kernelIii21rocsparse_complex_numIdES2_S2_S2_EEvbT_PT0_S5_jNS_24const_host_device_scalarIT4_EEPKS3_PKS4_PKT1_PKT2_S8_PT3_21rocsparse_index_base_b,comdat
.Lfunc_end62:
	.size	_ZN9rocsparseL28csrmvn_lrb_short_rows_kernelIii21rocsparse_complex_numIdES2_S2_S2_EEvbT_PT0_S5_jNS_24const_host_device_scalarIT4_EEPKS3_PKS4_PKT1_PKT2_S8_PT3_21rocsparse_index_base_b, .Lfunc_end62-_ZN9rocsparseL28csrmvn_lrb_short_rows_kernelIii21rocsparse_complex_numIdES2_S2_S2_EEvbT_PT0_S5_jNS_24const_host_device_scalarIT4_EEPKS3_PKS4_PKT1_PKT2_S8_PT3_21rocsparse_index_base_b
                                        ; -- End function
	.set _ZN9rocsparseL28csrmvn_lrb_short_rows_kernelIii21rocsparse_complex_numIdES2_S2_S2_EEvbT_PT0_S5_jNS_24const_host_device_scalarIT4_EEPKS3_PKS4_PKT1_PKT2_S8_PT3_21rocsparse_index_base_b.num_vgpr, 24
	.set _ZN9rocsparseL28csrmvn_lrb_short_rows_kernelIii21rocsparse_complex_numIdES2_S2_S2_EEvbT_PT0_S5_jNS_24const_host_device_scalarIT4_EEPKS3_PKS4_PKT1_PKT2_S8_PT3_21rocsparse_index_base_b.num_agpr, 0
	.set _ZN9rocsparseL28csrmvn_lrb_short_rows_kernelIii21rocsparse_complex_numIdES2_S2_S2_EEvbT_PT0_S5_jNS_24const_host_device_scalarIT4_EEPKS3_PKS4_PKT1_PKT2_S8_PT3_21rocsparse_index_base_b.numbered_sgpr, 22
	.set _ZN9rocsparseL28csrmvn_lrb_short_rows_kernelIii21rocsparse_complex_numIdES2_S2_S2_EEvbT_PT0_S5_jNS_24const_host_device_scalarIT4_EEPKS3_PKS4_PKT1_PKT2_S8_PT3_21rocsparse_index_base_b.num_named_barrier, 0
	.set _ZN9rocsparseL28csrmvn_lrb_short_rows_kernelIii21rocsparse_complex_numIdES2_S2_S2_EEvbT_PT0_S5_jNS_24const_host_device_scalarIT4_EEPKS3_PKS4_PKT1_PKT2_S8_PT3_21rocsparse_index_base_b.private_seg_size, 0
	.set _ZN9rocsparseL28csrmvn_lrb_short_rows_kernelIii21rocsparse_complex_numIdES2_S2_S2_EEvbT_PT0_S5_jNS_24const_host_device_scalarIT4_EEPKS3_PKS4_PKT1_PKT2_S8_PT3_21rocsparse_index_base_b.uses_vcc, 1
	.set _ZN9rocsparseL28csrmvn_lrb_short_rows_kernelIii21rocsparse_complex_numIdES2_S2_S2_EEvbT_PT0_S5_jNS_24const_host_device_scalarIT4_EEPKS3_PKS4_PKT1_PKT2_S8_PT3_21rocsparse_index_base_b.uses_flat_scratch, 0
	.set _ZN9rocsparseL28csrmvn_lrb_short_rows_kernelIii21rocsparse_complex_numIdES2_S2_S2_EEvbT_PT0_S5_jNS_24const_host_device_scalarIT4_EEPKS3_PKS4_PKT1_PKT2_S8_PT3_21rocsparse_index_base_b.has_dyn_sized_stack, 0
	.set _ZN9rocsparseL28csrmvn_lrb_short_rows_kernelIii21rocsparse_complex_numIdES2_S2_S2_EEvbT_PT0_S5_jNS_24const_host_device_scalarIT4_EEPKS3_PKS4_PKT1_PKT2_S8_PT3_21rocsparse_index_base_b.has_recursion, 0
	.set _ZN9rocsparseL28csrmvn_lrb_short_rows_kernelIii21rocsparse_complex_numIdES2_S2_S2_EEvbT_PT0_S5_jNS_24const_host_device_scalarIT4_EEPKS3_PKS4_PKT1_PKT2_S8_PT3_21rocsparse_index_base_b.has_indirect_call, 0
	.section	.AMDGPU.csdata,"",@progbits
; Kernel info:
; codeLenInByte = 924
; TotalNumSgprs: 24
; NumVgprs: 24
; ScratchSize: 0
; MemoryBound: 0
; FloatMode: 240
; IeeeMode: 1
; LDSByteSize: 0 bytes/workgroup (compile time only)
; SGPRBlocks: 0
; VGPRBlocks: 1
; NumSGPRsForWavesPerEU: 24
; NumVGPRsForWavesPerEU: 24
; NamedBarCnt: 0
; Occupancy: 16
; WaveLimiterHint : 1
; COMPUTE_PGM_RSRC2:SCRATCH_EN: 0
; COMPUTE_PGM_RSRC2:USER_SGPR: 2
; COMPUTE_PGM_RSRC2:TRAP_HANDLER: 0
; COMPUTE_PGM_RSRC2:TGID_X_EN: 1
; COMPUTE_PGM_RSRC2:TGID_Y_EN: 0
; COMPUTE_PGM_RSRC2:TGID_Z_EN: 0
; COMPUTE_PGM_RSRC2:TIDIG_COMP_CNT: 0
	.section	.text._ZN9rocsparseL30csrmvn_lrb_short_rows_2_kernelIii21rocsparse_complex_numIdES2_S2_S2_EEvbT_PT0_S5_jNS_24const_host_device_scalarIT4_EEPKS3_PKS4_PKT1_PKT2_S8_PT3_21rocsparse_index_base_b,"axG",@progbits,_ZN9rocsparseL30csrmvn_lrb_short_rows_2_kernelIii21rocsparse_complex_numIdES2_S2_S2_EEvbT_PT0_S5_jNS_24const_host_device_scalarIT4_EEPKS3_PKS4_PKT1_PKT2_S8_PT3_21rocsparse_index_base_b,comdat
	.globl	_ZN9rocsparseL30csrmvn_lrb_short_rows_2_kernelIii21rocsparse_complex_numIdES2_S2_S2_EEvbT_PT0_S5_jNS_24const_host_device_scalarIT4_EEPKS3_PKS4_PKT1_PKT2_S8_PT3_21rocsparse_index_base_b ; -- Begin function _ZN9rocsparseL30csrmvn_lrb_short_rows_2_kernelIii21rocsparse_complex_numIdES2_S2_S2_EEvbT_PT0_S5_jNS_24const_host_device_scalarIT4_EEPKS3_PKS4_PKT1_PKT2_S8_PT3_21rocsparse_index_base_b
	.p2align	8
	.type	_ZN9rocsparseL30csrmvn_lrb_short_rows_2_kernelIii21rocsparse_complex_numIdES2_S2_S2_EEvbT_PT0_S5_jNS_24const_host_device_scalarIT4_EEPKS3_PKS4_PKT1_PKT2_S8_PT3_21rocsparse_index_base_b,@function
_ZN9rocsparseL30csrmvn_lrb_short_rows_2_kernelIii21rocsparse_complex_numIdES2_S2_S2_EEvbT_PT0_S5_jNS_24const_host_device_scalarIT4_EEPKS3_PKS4_PKT1_PKT2_S8_PT3_21rocsparse_index_base_b: ; @_ZN9rocsparseL30csrmvn_lrb_short_rows_2_kernelIii21rocsparse_complex_numIdES2_S2_S2_EEvbT_PT0_S5_jNS_24const_host_device_scalarIT4_EEPKS3_PKS4_PKT1_PKT2_S8_PT3_21rocsparse_index_base_b
; %bb.0:
	s_clause 0x1
	s_load_b64 s[16:17], s[0:1], 0x68
	s_load_b64 s[2:3], s[0:1], 0x20
	v_mov_b32_e32 v1, 0
	s_add_nc_u64 s[4:5], s[0:1], 32
	s_load_b64 s[6:7], s[0:1], 0x50
	s_wait_kmcnt 0x0
	s_bitcmp1_b32 s17, 0
	s_cselect_b32 s3, s5, s3
	s_cselect_b32 s2, s4, s2
	flat_load_b128 v[6:9], v1, s[2:3]
	s_wait_xcnt 0x0
	s_add_nc_u64 s[2:3], s[0:1], 0x50
	s_delay_alu instid0(SALU_CYCLE_1)
	s_cselect_b32 s3, s3, s7
	s_cselect_b32 s2, s2, s6
	flat_load_b128 v[2:5], v1, s[2:3]
	s_wait_loadcnt_dscnt 0x101
	v_cmp_eq_f64_e32 vcc_lo, 0, v[6:7]
	s_wait_xcnt 0x0
	v_cmp_eq_f64_e64 s2, 0, v[8:9]
	s_and_b32 s4, vcc_lo, s2
	s_mov_b32 s2, -1
	s_and_saveexec_b32 s3, s4
	s_cbranch_execz .LBB63_2
; %bb.1:
	s_wait_loadcnt_dscnt 0x0
	v_cmp_neq_f64_e32 vcc_lo, 1.0, v[2:3]
	v_cmp_neq_f64_e64 s2, 0, v[4:5]
	s_or_b32 s2, vcc_lo, s2
	s_delay_alu instid0(SALU_CYCLE_1)
	s_or_not1_b32 s2, s2, exec_lo
.LBB63_2:
	s_or_b32 exec_lo, exec_lo, s3
	s_and_saveexec_b32 s3, s2
	s_cbranch_execz .LBB63_28
; %bb.3:
	s_clause 0x2
	s_load_b32 s17, s[0:1], 0x18
	s_load_b32 s2, s[0:1], 0x0
	s_load_b128 s[12:15], s[0:1], 0x8
	s_wait_kmcnt 0x0
	v_lshrrev_b32_e32 v1, s17, v0
	s_bitcmp1_b32 s2, 0
	v_bfe_u32 v16, v0, 0, s17
	s_cselect_b32 vcc_lo, -1, 0
	s_add_co_i32 s2, s17, 1
	s_clause 0x1
	s_load_b32 s18, s[14:15], s17 offset:0x0 scale_offset
	s_load_b32 s3, s[14:15], s2 offset:0x0 scale_offset
	s_load_b256 s[4:11], s[0:1], 0x30
	s_wait_xcnt 0x0
	s_bfe_u32 s15, ttmp6, 0x4000c
	s_and_b32 s19, ttmp6, 15
	s_add_co_i32 s15, s15, 1
	s_getreg_b32 s2, hwreg(HW_REG_IB_STS2, 6, 4)
	s_mul_i32 s15, ttmp9, s15
	s_lshr_b32 s14, 0x400, s17
	s_add_co_i32 s19, s19, s15
	s_wait_kmcnt 0x0
	s_sub_co_i32 s3, s3, s18
	s_cmp_eq_u32 s2, 0
	s_cselect_b32 s2, ttmp9, s19
	s_delay_alu instid0(SALU_CYCLE_1) | instskip(NEXT) | instid1(SALU_CYCLE_1)
	s_mul_i32 s15, s14, s2
	v_add_nc_u32_e32 v10, s15, v1
	v_subrev_nc_u32_e32 v1, s16, v16
	s_add_co_i32 s2, s15, s14
	s_delay_alu instid0(SALU_CYCLE_1)
	s_min_u32 s19, s3, s2
	s_mov_b32 s3, exec_lo
	v_cmpx_gt_u32_e64 s19, v10
	s_cbranch_execz .LBB63_7
; %bb.4:
	v_add_nc_u32_e32 v10, s18, v10
	v_mov_b64_e32 v[12:13], 0
	s_mov_b32 s20, exec_lo
	global_load_b32 v10, v10, s[12:13] scale_offset
	s_wait_loadcnt 0x0
	v_ashrrev_i32_e32 v11, 31, v10
	s_delay_alu instid0(VALU_DEP_1)
	v_lshl_add_u64 v[10:11], v[10:11], 2, s[4:5]
	global_load_b64 v[14:15], v[10:11], off
	s_wait_xcnt 0x0
	v_mov_b64_e32 v[10:11], 0
	s_wait_loadcnt 0x0
	v_sub_nc_u32_e32 v15, v15, v14
	s_delay_alu instid0(VALU_DEP_1)
	v_cmpx_lt_u32_e64 v16, v15
	s_cbranch_execz .LBB63_6
; %bb.5:
	v_add_nc_u32_e32 v14, v14, v1
	s_clause 0x1
	global_load_b32 v15, v14, s[6:7] scale_offset
	global_load_b128 v[10:13], v14, s[8:9] scale_offset
	s_wait_loadcnt 0x1
	s_wait_xcnt 0x0
	v_subrev_nc_u32_e32 v14, s16, v15
	global_load_b128 v[18:21], v14, s[10:11] scale_offset
	s_wait_loadcnt 0x1
	s_wait_xcnt 0x0
	v_xor_b32_e32 v14, 0x80000000, v13
	s_delay_alu instid0(VALU_DEP_1) | instskip(NEXT) | instid1(VALU_DEP_1)
	v_cndmask_b32_e32 v13, v13, v14, vcc_lo
	v_mul_f64_e32 v[14:15], v[6:7], v[12:13]
	v_mul_f64_e64 v[22:23], v[12:13], -v[8:9]
	s_delay_alu instid0(VALU_DEP_2) | instskip(NEXT) | instid1(VALU_DEP_2)
	v_fmac_f64_e32 v[14:15], v[8:9], v[10:11]
	v_fmac_f64_e32 v[22:23], v[6:7], v[10:11]
	s_wait_loadcnt 0x0
	s_delay_alu instid0(VALU_DEP_2) | instskip(NEXT) | instid1(VALU_DEP_2)
	v_mul_f64_e64 v[10:11], v[20:21], -v[14:15]
	v_mul_f64_e32 v[12:13], v[20:21], v[22:23]
	s_delay_alu instid0(VALU_DEP_2) | instskip(NEXT) | instid1(VALU_DEP_2)
	v_fmac_f64_e32 v[10:11], v[22:23], v[18:19]
	v_fmac_f64_e32 v[12:13], v[14:15], v[18:19]
.LBB63_6:
	s_or_b32 exec_lo, exec_lo, s20
	v_lshlrev_b32_e32 v14, 4, v0
	ds_store_b128 v14, v[10:13]
.LBB63_7:
	s_or_b32 exec_lo, exec_lo, s3
	s_load_b64 s[2:3], s[0:1], 0x60
	v_or_b32_e32 v10, 0x100, v0
	s_wait_xcnt 0x0
	s_mov_b32 s1, exec_lo
	s_delay_alu instid0(VALU_DEP_1) | instskip(NEXT) | instid1(VALU_DEP_1)
	v_lshrrev_b32_e32 v10, s17, v10
	v_add_nc_u32_e32 v10, s15, v10
	s_delay_alu instid0(VALU_DEP_1)
	v_cmpx_gt_u32_e64 s19, v10
	s_cbranch_execz .LBB63_11
; %bb.8:
	v_add_nc_u32_e32 v10, s18, v10
	v_mov_b64_e32 v[12:13], 0
	s_mov_b32 s20, exec_lo
	global_load_b32 v10, v10, s[12:13] scale_offset
	s_wait_loadcnt 0x0
	v_ashrrev_i32_e32 v11, 31, v10
	s_delay_alu instid0(VALU_DEP_1)
	v_lshl_add_u64 v[10:11], v[10:11], 2, s[4:5]
	global_load_b64 v[14:15], v[10:11], off
	s_wait_xcnt 0x0
	v_mov_b64_e32 v[10:11], 0
	s_wait_loadcnt 0x0
	v_sub_nc_u32_e32 v15, v15, v14
	s_delay_alu instid0(VALU_DEP_1)
	v_cmpx_lt_u32_e64 v16, v15
	s_cbranch_execz .LBB63_10
; %bb.9:
	v_add_nc_u32_e32 v14, v14, v1
	s_clause 0x1
	global_load_b32 v15, v14, s[6:7] scale_offset
	global_load_b128 v[10:13], v14, s[8:9] scale_offset
	s_wait_loadcnt 0x1
	s_wait_xcnt 0x0
	v_subrev_nc_u32_e32 v14, s16, v15
	global_load_b128 v[18:21], v14, s[10:11] scale_offset
	s_wait_loadcnt 0x1
	s_wait_xcnt 0x0
	v_xor_b32_e32 v14, 0x80000000, v13
	s_delay_alu instid0(VALU_DEP_1) | instskip(NEXT) | instid1(VALU_DEP_1)
	v_cndmask_b32_e32 v13, v13, v14, vcc_lo
	v_mul_f64_e32 v[14:15], v[6:7], v[12:13]
	v_mul_f64_e64 v[22:23], v[12:13], -v[8:9]
	s_delay_alu instid0(VALU_DEP_2) | instskip(NEXT) | instid1(VALU_DEP_2)
	v_fmac_f64_e32 v[14:15], v[8:9], v[10:11]
	v_fmac_f64_e32 v[22:23], v[6:7], v[10:11]
	s_wait_loadcnt 0x0
	s_delay_alu instid0(VALU_DEP_2) | instskip(NEXT) | instid1(VALU_DEP_2)
	v_mul_f64_e64 v[10:11], v[20:21], -v[14:15]
	v_mul_f64_e32 v[12:13], v[20:21], v[22:23]
	s_delay_alu instid0(VALU_DEP_2) | instskip(NEXT) | instid1(VALU_DEP_2)
	v_fmac_f64_e32 v[10:11], v[22:23], v[18:19]
	v_fmac_f64_e32 v[12:13], v[14:15], v[18:19]
.LBB63_10:
	s_or_b32 exec_lo, exec_lo, s20
	v_lshlrev_b32_e32 v14, 4, v0
	ds_store_b128 v14, v[10:13] offset:4096
.LBB63_11:
	s_or_b32 exec_lo, exec_lo, s1
	v_or_b32_e32 v10, 0x200, v0
	s_mov_b32 s1, exec_lo
	s_delay_alu instid0(VALU_DEP_1) | instskip(NEXT) | instid1(VALU_DEP_1)
	v_lshrrev_b32_e32 v10, s17, v10
	v_add_nc_u32_e32 v10, s15, v10
	s_delay_alu instid0(VALU_DEP_1)
	v_cmpx_gt_u32_e64 s19, v10
	s_cbranch_execz .LBB63_15
; %bb.12:
	v_add_nc_u32_e32 v10, s18, v10
	v_mov_b64_e32 v[12:13], 0
	s_mov_b32 s20, exec_lo
	global_load_b32 v10, v10, s[12:13] scale_offset
	s_wait_loadcnt 0x0
	v_ashrrev_i32_e32 v11, 31, v10
	s_delay_alu instid0(VALU_DEP_1)
	v_lshl_add_u64 v[10:11], v[10:11], 2, s[4:5]
	global_load_b64 v[14:15], v[10:11], off
	s_wait_xcnt 0x0
	v_mov_b64_e32 v[10:11], 0
	s_wait_loadcnt 0x0
	v_sub_nc_u32_e32 v15, v15, v14
	s_delay_alu instid0(VALU_DEP_1)
	v_cmpx_lt_u32_e64 v16, v15
	s_cbranch_execz .LBB63_14
; %bb.13:
	v_add_nc_u32_e32 v14, v14, v1
	s_clause 0x1
	global_load_b32 v15, v14, s[6:7] scale_offset
	global_load_b128 v[10:13], v14, s[8:9] scale_offset
	s_wait_loadcnt 0x1
	s_wait_xcnt 0x0
	v_subrev_nc_u32_e32 v14, s16, v15
	global_load_b128 v[18:21], v14, s[10:11] scale_offset
	s_wait_loadcnt 0x1
	s_wait_xcnt 0x0
	v_xor_b32_e32 v14, 0x80000000, v13
	s_delay_alu instid0(VALU_DEP_1) | instskip(NEXT) | instid1(VALU_DEP_1)
	v_cndmask_b32_e32 v13, v13, v14, vcc_lo
	v_mul_f64_e32 v[14:15], v[6:7], v[12:13]
	v_mul_f64_e64 v[22:23], v[12:13], -v[8:9]
	s_delay_alu instid0(VALU_DEP_2) | instskip(NEXT) | instid1(VALU_DEP_2)
	v_fmac_f64_e32 v[14:15], v[8:9], v[10:11]
	v_fmac_f64_e32 v[22:23], v[6:7], v[10:11]
	s_wait_loadcnt 0x0
	s_delay_alu instid0(VALU_DEP_2) | instskip(NEXT) | instid1(VALU_DEP_2)
	v_mul_f64_e64 v[10:11], v[20:21], -v[14:15]
	v_mul_f64_e32 v[12:13], v[20:21], v[22:23]
	s_delay_alu instid0(VALU_DEP_2) | instskip(NEXT) | instid1(VALU_DEP_2)
	v_fmac_f64_e32 v[10:11], v[22:23], v[18:19]
	v_fmac_f64_e32 v[12:13], v[14:15], v[18:19]
.LBB63_14:
	s_or_b32 exec_lo, exec_lo, s20
	v_lshlrev_b32_e32 v14, 4, v0
	ds_store_b128 v14, v[10:13] offset:8192
.LBB63_15:
	s_or_b32 exec_lo, exec_lo, s1
	v_or_b32_e32 v10, 0x300, v0
	s_mov_b32 s1, exec_lo
	s_delay_alu instid0(VALU_DEP_1) | instskip(NEXT) | instid1(VALU_DEP_1)
	v_lshrrev_b32_e32 v10, s17, v10
	v_add_nc_u32_e32 v10, s15, v10
	s_delay_alu instid0(VALU_DEP_1)
	v_cmpx_gt_u32_e64 s19, v10
	s_cbranch_execz .LBB63_19
; %bb.16:
	v_add_nc_u32_e32 v10, s18, v10
	v_mov_b64_e32 v[12:13], 0
	global_load_b32 v10, v10, s[12:13] scale_offset
	s_wait_loadcnt 0x0
	v_ashrrev_i32_e32 v11, 31, v10
	s_delay_alu instid0(VALU_DEP_1)
	v_lshl_add_u64 v[10:11], v[10:11], 2, s[4:5]
	s_mov_b32 s4, exec_lo
	global_load_b64 v[14:15], v[10:11], off
	s_wait_xcnt 0x0
	v_mov_b64_e32 v[10:11], 0
	s_wait_loadcnt 0x0
	v_sub_nc_u32_e32 v15, v15, v14
	s_delay_alu instid0(VALU_DEP_1)
	v_cmpx_lt_u32_e64 v16, v15
	s_cbranch_execz .LBB63_18
; %bb.17:
	v_add_nc_u32_e32 v1, v14, v1
	s_clause 0x1
	global_load_b32 v14, v1, s[6:7] scale_offset
	global_load_b128 v[10:13], v1, s[8:9] scale_offset
	s_wait_loadcnt 0x1
	s_wait_xcnt 0x0
	v_subrev_nc_u32_e32 v1, s16, v14
	global_load_b128 v[14:17], v1, s[10:11] scale_offset
	s_wait_loadcnt 0x1
	s_wait_xcnt 0x0
	v_xor_b32_e32 v1, 0x80000000, v13
	s_delay_alu instid0(VALU_DEP_1) | instskip(NEXT) | instid1(VALU_DEP_1)
	v_cndmask_b32_e32 v13, v13, v1, vcc_lo
	v_mul_f64_e32 v[18:19], v[6:7], v[12:13]
	v_mul_f64_e64 v[20:21], v[12:13], -v[8:9]
	s_delay_alu instid0(VALU_DEP_2) | instskip(NEXT) | instid1(VALU_DEP_2)
	v_fmac_f64_e32 v[18:19], v[8:9], v[10:11]
	v_fmac_f64_e32 v[20:21], v[6:7], v[10:11]
	s_wait_loadcnt 0x0
	s_delay_alu instid0(VALU_DEP_2) | instskip(NEXT) | instid1(VALU_DEP_2)
	v_mul_f64_e64 v[10:11], v[16:17], -v[18:19]
	v_mul_f64_e32 v[12:13], v[16:17], v[20:21]
	s_delay_alu instid0(VALU_DEP_2) | instskip(NEXT) | instid1(VALU_DEP_2)
	v_fmac_f64_e32 v[10:11], v[20:21], v[14:15]
	v_fmac_f64_e32 v[12:13], v[18:19], v[14:15]
.LBB63_18:
	s_or_b32 exec_lo, exec_lo, s4
	v_lshlrev_b32_e32 v1, 4, v0
	ds_store_b128 v1, v[10:13] offset:12288
.LBB63_19:
	s_or_b32 exec_lo, exec_lo, s1
	s_cmp_lt_u32 s17, 11
	s_wait_loadcnt_dscnt 0x0
	s_barrier_signal -1
	s_barrier_wait -1
	s_cbranch_scc0 .LBB63_28
; %bb.20:
	v_cmp_neq_f64_e32 vcc_lo, 0, v[2:3]
	v_cmp_neq_f64_e64 s0, 0, v[4:5]
	s_sub_co_i32 s1, s19, s15
	s_add_co_i32 s18, s18, s15
	s_mov_b32 s4, 0
	s_or_b32 s0, vcc_lo, s0
	s_branch .LBB63_23
.LBB63_21:                              ;   in Loop: Header=BB63_23 Depth=1
	s_wait_xcnt 0x0
	s_or_b32 exec_lo, exec_lo, s6
	global_store_b128 v[10:11], v[6:9], off
.LBB63_22:                              ;   in Loop: Header=BB63_23 Depth=1
	s_wait_xcnt 0x0
	s_or_b32 exec_lo, exec_lo, s5
	s_addk_co_i32 s4, 0x100
	s_delay_alu instid0(SALU_CYCLE_1)
	s_cmp_lt_u32 s4, s14
	s_cbranch_scc0 .LBB63_28
.LBB63_23:                              ; =>This Loop Header: Depth=1
                                        ;     Child Loop BB63_25 Depth 2
	v_add_nc_u32_e32 v1, s4, v0
	s_mov_b32 s5, exec_lo
	s_delay_alu instid0(VALU_DEP_1)
	v_cmpx_gt_u32_e64 s1, v1
	s_cbranch_execz .LBB63_22
; %bb.24:                               ;   in Loop: Header=BB63_23 Depth=1
	v_dual_add_nc_u32 v6, s18, v1 :: v_dual_lshlrev_b32 v1, s17, v1
	v_mov_b64_e32 v[8:9], 0
	s_mov_b32 s6, 1
	global_load_b32 v10, v6, s[12:13] scale_offset
	v_lshlrev_b32_e32 v1, 4, v1
	s_wait_xcnt 0x0
	v_mov_b64_e32 v[6:7], v[8:9]
.LBB63_25:                              ;   Parent Loop BB63_23 Depth=1
                                        ; =>  This Inner Loop Header: Depth=2
	ds_load_b128 v[12:15], v1
	s_lshr_b32 s7, s6, s17
	s_add_co_i32 s6, s6, 1
	s_cmp_lg_u32 s7, 0
	s_wait_dscnt 0x0
	v_dual_add_f64 v[8:9], v[8:9], v[14:15] :: v_dual_add_nc_u32 v1, 16, v1
	v_add_f64_e32 v[6:7], v[6:7], v[12:13]
	s_cbranch_scc0 .LBB63_25
; %bb.26:                               ;   in Loop: Header=BB63_23 Depth=1
	s_wait_loadcnt 0x0
	v_ashrrev_i32_e32 v11, 31, v10
	s_wait_kmcnt 0x0
	s_delay_alu instid0(VALU_DEP_1)
	v_lshl_add_u64 v[10:11], v[10:11], 4, s[2:3]
	s_and_saveexec_b32 s6, s0
	s_cbranch_execz .LBB63_21
; %bb.27:                               ;   in Loop: Header=BB63_23 Depth=1
	global_load_b128 v[12:15], v[10:11], off
	s_wait_loadcnt 0x0
	v_fmac_f64_e32 v[6:7], v[2:3], v[12:13]
	v_fmac_f64_e32 v[8:9], v[4:5], v[12:13]
	s_delay_alu instid0(VALU_DEP_2) | instskip(NEXT) | instid1(VALU_DEP_2)
	v_fma_f64 v[6:7], -v[4:5], v[14:15], v[6:7]
	v_fmac_f64_e32 v[8:9], v[2:3], v[14:15]
	s_branch .LBB63_21
.LBB63_28:
	s_endpgm
	.section	.rodata,"a",@progbits
	.p2align	6, 0x0
	.amdhsa_kernel _ZN9rocsparseL30csrmvn_lrb_short_rows_2_kernelIii21rocsparse_complex_numIdES2_S2_S2_EEvbT_PT0_S5_jNS_24const_host_device_scalarIT4_EEPKS3_PKS4_PKT1_PKT2_S8_PT3_21rocsparse_index_base_b
		.amdhsa_group_segment_fixed_size 16384
		.amdhsa_private_segment_fixed_size 0
		.amdhsa_kernarg_size 112
		.amdhsa_user_sgpr_count 2
		.amdhsa_user_sgpr_dispatch_ptr 0
		.amdhsa_user_sgpr_queue_ptr 0
		.amdhsa_user_sgpr_kernarg_segment_ptr 1
		.amdhsa_user_sgpr_dispatch_id 0
		.amdhsa_user_sgpr_kernarg_preload_length 0
		.amdhsa_user_sgpr_kernarg_preload_offset 0
		.amdhsa_user_sgpr_private_segment_size 0
		.amdhsa_wavefront_size32 1
		.amdhsa_uses_dynamic_stack 0
		.amdhsa_enable_private_segment 0
		.amdhsa_system_sgpr_workgroup_id_x 1
		.amdhsa_system_sgpr_workgroup_id_y 0
		.amdhsa_system_sgpr_workgroup_id_z 0
		.amdhsa_system_sgpr_workgroup_info 0
		.amdhsa_system_vgpr_workitem_id 0
		.amdhsa_next_free_vgpr 24
		.amdhsa_next_free_sgpr 21
		.amdhsa_named_barrier_count 0
		.amdhsa_reserve_vcc 1
		.amdhsa_float_round_mode_32 0
		.amdhsa_float_round_mode_16_64 0
		.amdhsa_float_denorm_mode_32 3
		.amdhsa_float_denorm_mode_16_64 3
		.amdhsa_fp16_overflow 0
		.amdhsa_memory_ordered 1
		.amdhsa_forward_progress 1
		.amdhsa_inst_pref_size 14
		.amdhsa_round_robin_scheduling 0
		.amdhsa_exception_fp_ieee_invalid_op 0
		.amdhsa_exception_fp_denorm_src 0
		.amdhsa_exception_fp_ieee_div_zero 0
		.amdhsa_exception_fp_ieee_overflow 0
		.amdhsa_exception_fp_ieee_underflow 0
		.amdhsa_exception_fp_ieee_inexact 0
		.amdhsa_exception_int_div_zero 0
	.end_amdhsa_kernel
	.section	.text._ZN9rocsparseL30csrmvn_lrb_short_rows_2_kernelIii21rocsparse_complex_numIdES2_S2_S2_EEvbT_PT0_S5_jNS_24const_host_device_scalarIT4_EEPKS3_PKS4_PKT1_PKT2_S8_PT3_21rocsparse_index_base_b,"axG",@progbits,_ZN9rocsparseL30csrmvn_lrb_short_rows_2_kernelIii21rocsparse_complex_numIdES2_S2_S2_EEvbT_PT0_S5_jNS_24const_host_device_scalarIT4_EEPKS3_PKS4_PKT1_PKT2_S8_PT3_21rocsparse_index_base_b,comdat
.Lfunc_end63:
	.size	_ZN9rocsparseL30csrmvn_lrb_short_rows_2_kernelIii21rocsparse_complex_numIdES2_S2_S2_EEvbT_PT0_S5_jNS_24const_host_device_scalarIT4_EEPKS3_PKS4_PKT1_PKT2_S8_PT3_21rocsparse_index_base_b, .Lfunc_end63-_ZN9rocsparseL30csrmvn_lrb_short_rows_2_kernelIii21rocsparse_complex_numIdES2_S2_S2_EEvbT_PT0_S5_jNS_24const_host_device_scalarIT4_EEPKS3_PKS4_PKT1_PKT2_S8_PT3_21rocsparse_index_base_b
                                        ; -- End function
	.set _ZN9rocsparseL30csrmvn_lrb_short_rows_2_kernelIii21rocsparse_complex_numIdES2_S2_S2_EEvbT_PT0_S5_jNS_24const_host_device_scalarIT4_EEPKS3_PKS4_PKT1_PKT2_S8_PT3_21rocsparse_index_base_b.num_vgpr, 24
	.set _ZN9rocsparseL30csrmvn_lrb_short_rows_2_kernelIii21rocsparse_complex_numIdES2_S2_S2_EEvbT_PT0_S5_jNS_24const_host_device_scalarIT4_EEPKS3_PKS4_PKT1_PKT2_S8_PT3_21rocsparse_index_base_b.num_agpr, 0
	.set _ZN9rocsparseL30csrmvn_lrb_short_rows_2_kernelIii21rocsparse_complex_numIdES2_S2_S2_EEvbT_PT0_S5_jNS_24const_host_device_scalarIT4_EEPKS3_PKS4_PKT1_PKT2_S8_PT3_21rocsparse_index_base_b.numbered_sgpr, 21
	.set _ZN9rocsparseL30csrmvn_lrb_short_rows_2_kernelIii21rocsparse_complex_numIdES2_S2_S2_EEvbT_PT0_S5_jNS_24const_host_device_scalarIT4_EEPKS3_PKS4_PKT1_PKT2_S8_PT3_21rocsparse_index_base_b.num_named_barrier, 0
	.set _ZN9rocsparseL30csrmvn_lrb_short_rows_2_kernelIii21rocsparse_complex_numIdES2_S2_S2_EEvbT_PT0_S5_jNS_24const_host_device_scalarIT4_EEPKS3_PKS4_PKT1_PKT2_S8_PT3_21rocsparse_index_base_b.private_seg_size, 0
	.set _ZN9rocsparseL30csrmvn_lrb_short_rows_2_kernelIii21rocsparse_complex_numIdES2_S2_S2_EEvbT_PT0_S5_jNS_24const_host_device_scalarIT4_EEPKS3_PKS4_PKT1_PKT2_S8_PT3_21rocsparse_index_base_b.uses_vcc, 1
	.set _ZN9rocsparseL30csrmvn_lrb_short_rows_2_kernelIii21rocsparse_complex_numIdES2_S2_S2_EEvbT_PT0_S5_jNS_24const_host_device_scalarIT4_EEPKS3_PKS4_PKT1_PKT2_S8_PT3_21rocsparse_index_base_b.uses_flat_scratch, 0
	.set _ZN9rocsparseL30csrmvn_lrb_short_rows_2_kernelIii21rocsparse_complex_numIdES2_S2_S2_EEvbT_PT0_S5_jNS_24const_host_device_scalarIT4_EEPKS3_PKS4_PKT1_PKT2_S8_PT3_21rocsparse_index_base_b.has_dyn_sized_stack, 0
	.set _ZN9rocsparseL30csrmvn_lrb_short_rows_2_kernelIii21rocsparse_complex_numIdES2_S2_S2_EEvbT_PT0_S5_jNS_24const_host_device_scalarIT4_EEPKS3_PKS4_PKT1_PKT2_S8_PT3_21rocsparse_index_base_b.has_recursion, 0
	.set _ZN9rocsparseL30csrmvn_lrb_short_rows_2_kernelIii21rocsparse_complex_numIdES2_S2_S2_EEvbT_PT0_S5_jNS_24const_host_device_scalarIT4_EEPKS3_PKS4_PKT1_PKT2_S8_PT3_21rocsparse_index_base_b.has_indirect_call, 0
	.section	.AMDGPU.csdata,"",@progbits
; Kernel info:
; codeLenInByte = 1756
; TotalNumSgprs: 23
; NumVgprs: 24
; ScratchSize: 0
; MemoryBound: 0
; FloatMode: 240
; IeeeMode: 1
; LDSByteSize: 16384 bytes/workgroup (compile time only)
; SGPRBlocks: 0
; VGPRBlocks: 1
; NumSGPRsForWavesPerEU: 23
; NumVGPRsForWavesPerEU: 24
; NamedBarCnt: 0
; Occupancy: 16
; WaveLimiterHint : 1
; COMPUTE_PGM_RSRC2:SCRATCH_EN: 0
; COMPUTE_PGM_RSRC2:USER_SGPR: 2
; COMPUTE_PGM_RSRC2:TRAP_HANDLER: 0
; COMPUTE_PGM_RSRC2:TGID_X_EN: 1
; COMPUTE_PGM_RSRC2:TGID_Y_EN: 0
; COMPUTE_PGM_RSRC2:TGID_Z_EN: 0
; COMPUTE_PGM_RSRC2:TIDIG_COMP_CNT: 0
	.section	.text._ZN9rocsparseL41csrmvn_lrb_medium_rows_warp_reduce_kernelILj256ELj32Eii21rocsparse_complex_numIdES2_S2_S2_EEvbT1_lPT2_S5_jNS_24const_host_device_scalarIT6_EEPKS3_PKS4_PKT3_PKT4_S8_PT5_21rocsparse_index_base_b,"axG",@progbits,_ZN9rocsparseL41csrmvn_lrb_medium_rows_warp_reduce_kernelILj256ELj32Eii21rocsparse_complex_numIdES2_S2_S2_EEvbT1_lPT2_S5_jNS_24const_host_device_scalarIT6_EEPKS3_PKS4_PKT3_PKT4_S8_PT5_21rocsparse_index_base_b,comdat
	.globl	_ZN9rocsparseL41csrmvn_lrb_medium_rows_warp_reduce_kernelILj256ELj32Eii21rocsparse_complex_numIdES2_S2_S2_EEvbT1_lPT2_S5_jNS_24const_host_device_scalarIT6_EEPKS3_PKS4_PKT3_PKT4_S8_PT5_21rocsparse_index_base_b ; -- Begin function _ZN9rocsparseL41csrmvn_lrb_medium_rows_warp_reduce_kernelILj256ELj32Eii21rocsparse_complex_numIdES2_S2_S2_EEvbT1_lPT2_S5_jNS_24const_host_device_scalarIT6_EEPKS3_PKS4_PKT3_PKT4_S8_PT5_21rocsparse_index_base_b
	.p2align	8
	.type	_ZN9rocsparseL41csrmvn_lrb_medium_rows_warp_reduce_kernelILj256ELj32Eii21rocsparse_complex_numIdES2_S2_S2_EEvbT1_lPT2_S5_jNS_24const_host_device_scalarIT6_EEPKS3_PKS4_PKT3_PKT4_S8_PT5_21rocsparse_index_base_b,@function
_ZN9rocsparseL41csrmvn_lrb_medium_rows_warp_reduce_kernelILj256ELj32Eii21rocsparse_complex_numIdES2_S2_S2_EEvbT1_lPT2_S5_jNS_24const_host_device_scalarIT6_EEPKS3_PKS4_PKT3_PKT4_S8_PT5_21rocsparse_index_base_b: ; @_ZN9rocsparseL41csrmvn_lrb_medium_rows_warp_reduce_kernelILj256ELj32Eii21rocsparse_complex_numIdES2_S2_S2_EEvbT1_lPT2_S5_jNS_24const_host_device_scalarIT6_EEPKS3_PKS4_PKT3_PKT4_S8_PT5_21rocsparse_index_base_b
; %bb.0:
	s_clause 0x1
	s_load_b64 s[8:9], s[0:1], 0x70
	s_load_b64 s[2:3], s[0:1], 0x28
	v_mov_b32_e32 v1, 0
	s_add_nc_u64 s[4:5], s[0:1], 40
	s_load_b64 s[6:7], s[0:1], 0x58
	s_wait_kmcnt 0x0
	s_bitcmp1_b32 s9, 0
	s_cselect_b32 s3, s5, s3
	s_cselect_b32 s2, s4, s2
	flat_load_b128 v[6:9], v1, s[2:3]
	s_wait_xcnt 0x0
	s_add_nc_u64 s[2:3], s[0:1], 0x58
	s_delay_alu instid0(SALU_CYCLE_1)
	s_cselect_b32 s3, s3, s7
	s_cselect_b32 s2, s2, s6
	flat_load_b128 v[2:5], v1, s[2:3]
	s_wait_loadcnt_dscnt 0x101
	v_cmp_eq_f64_e32 vcc_lo, 0, v[6:7]
	s_wait_xcnt 0x0
	v_cmp_eq_f64_e64 s2, 0, v[8:9]
	s_and_b32 s4, vcc_lo, s2
	s_mov_b32 s2, -1
	s_and_saveexec_b32 s3, s4
	s_cbranch_execz .LBB64_2
; %bb.1:
	s_wait_loadcnt_dscnt 0x0
	v_cmp_neq_f64_e32 vcc_lo, 1.0, v[2:3]
	v_cmp_neq_f64_e64 s2, 0, v[4:5]
	s_or_b32 s2, vcc_lo, s2
	s_delay_alu instid0(SALU_CYCLE_1)
	s_or_not1_b32 s2, s2, exec_lo
.LBB64_2:
	s_or_b32 exec_lo, exec_lo, s3
	s_and_saveexec_b32 s3, s2
	s_cbranch_execz .LBB64_12
; %bb.3:
	s_bfe_u32 s4, ttmp6, 0x4000c
	s_load_b64 s[2:3], s[0:1], 0x8
	s_add_co_i32 s4, s4, 1
	s_and_b32 s5, ttmp6, 15
	s_mul_i32 s4, ttmp9, s4
	s_getreg_b32 s6, hwreg(HW_REG_IB_STS2, 6, 4)
	v_lshrrev_b32_e32 v1, 5, v0
	s_add_co_i32 s5, s5, s4
	s_cmp_eq_u32 s6, 0
	s_cselect_b32 s4, ttmp9, s5
	s_delay_alu instid0(VALU_DEP_1) | instid1(SALU_CYCLE_1)
	v_lshl_or_b32 v10, s4, 3, v1
	s_delay_alu instid0(VALU_DEP_1) | instskip(SKIP_1) | instid1(VALU_DEP_1)
	v_ashrrev_i32_e32 v11, 31, v10
	s_wait_kmcnt 0x0
	v_cmp_gt_i64_e32 vcc_lo, s[2:3], v[10:11]
	s_and_b32 exec_lo, exec_lo, vcc_lo
	s_cbranch_execz .LBB64_12
; %bb.4:
	s_clause 0x1
	s_load_b128 s[4:7], s[0:1], 0x10
	s_load_b32 s2, s[0:1], 0x20
	s_wait_kmcnt 0x0
	s_load_b32 s2, s[6:7], s2 offset:0x0 scale_offset
	s_wait_kmcnt 0x0
	v_add_nc_u32_e32 v1, s2, v10
	s_load_b64 s[2:3], s[0:1], 0x38
	global_load_b32 v10, v1, s[4:5] scale_offset
	s_wait_loadcnt 0x0
	v_ashrrev_i32_e32 v11, 31, v10
	s_wait_kmcnt 0x0
	s_delay_alu instid0(VALU_DEP_1) | instskip(SKIP_3) | instid1(VALU_DEP_1)
	v_lshl_add_u64 v[12:13], v[10:11], 2, s[2:3]
	s_mov_b32 s3, exec_lo
	global_load_b64 v[12:13], v[12:13], off
	v_and_b32_e32 v14, 31, v0
	v_subrev_nc_u32_e32 v0, s8, v14
	s_wait_loadcnt 0x0
	v_subrev_nc_u32_e32 v15, s8, v13
	s_delay_alu instid0(VALU_DEP_2) | instskip(SKIP_2) | instid1(VALU_DEP_3)
	v_add_nc_u32_e32 v16, v12, v0
	v_mov_b64_e32 v[0:1], 0
	v_mov_b64_e32 v[12:13], 0
	v_cmpx_lt_i32_e64 v16, v15
	s_cbranch_execz .LBB64_8
; %bb.5:
	s_clause 0x2
	s_load_b32 s2, s[0:1], 0x0
	s_load_b128 s[4:7], s[0:1], 0x40
	s_load_b64 s[10:11], s[0:1], 0x50
	v_mov_b64_e32 v[0:1], 0
	v_mov_b64_e32 v[12:13], 0
	s_mov_b32 s9, 0
	s_wait_kmcnt 0x0
	s_bitcmp1_b32 s2, 0
	s_cselect_b32 vcc_lo, -1, 0
.LBB64_6:                               ; =>This Inner Loop Header: Depth=1
	s_clause 0x1
	global_load_b32 v17, v16, s[4:5] scale_offset
	global_load_b128 v[18:21], v16, s[6:7] scale_offset
	s_wait_xcnt 0x0
	v_add_nc_u32_e32 v16, 32, v16
	s_delay_alu instid0(VALU_DEP_1)
	v_cmp_ge_i32_e64 s2, v16, v15
	s_or_b32 s9, s2, s9
	s_wait_loadcnt 0x1
	v_subrev_nc_u32_e32 v17, s8, v17
	global_load_b128 v[22:25], v17, s[10:11] scale_offset
	s_wait_loadcnt 0x1
	s_wait_xcnt 0x0
	v_xor_b32_e32 v17, 0x80000000, v21
	s_delay_alu instid0(VALU_DEP_1) | instskip(NEXT) | instid1(VALU_DEP_1)
	v_cndmask_b32_e32 v21, v21, v17, vcc_lo
	v_mul_f64_e64 v[26:27], v[20:21], -v[8:9]
	v_mul_f64_e32 v[20:21], v[6:7], v[20:21]
	s_delay_alu instid0(VALU_DEP_2) | instskip(NEXT) | instid1(VALU_DEP_2)
	v_fmac_f64_e32 v[26:27], v[6:7], v[18:19]
	v_fmac_f64_e32 v[20:21], v[8:9], v[18:19]
	s_wait_loadcnt 0x0
	s_delay_alu instid0(VALU_DEP_2) | instskip(NEXT) | instid1(VALU_DEP_2)
	v_fmac_f64_e32 v[12:13], v[26:27], v[22:23]
	v_fmac_f64_e32 v[0:1], v[20:21], v[22:23]
	s_delay_alu instid0(VALU_DEP_2) | instskip(NEXT) | instid1(VALU_DEP_2)
	v_fma_f64 v[12:13], -v[20:21], v[24:25], v[12:13]
	v_fmac_f64_e32 v[0:1], v[26:27], v[24:25]
	s_and_not1_b32 exec_lo, exec_lo, s9
	s_cbranch_execnz .LBB64_6
; %bb.7:
	s_or_b32 exec_lo, exec_lo, s9
.LBB64_8:
	s_delay_alu instid0(SALU_CYCLE_1) | instskip(SKIP_2) | instid1(VALU_DEP_1)
	s_or_b32 exec_lo, exec_lo, s3
	v_mbcnt_lo_u32_b32 v15, -1, 0
	s_load_b64 s[2:3], s[0:1], 0x68
	v_xor_b32_e32 v6, 16, v15
	s_delay_alu instid0(VALU_DEP_1) | instskip(SKIP_1) | instid1(VALU_DEP_1)
	v_cmp_gt_i32_e32 vcc_lo, 32, v6
	v_cndmask_b32_e32 v6, v15, v6, vcc_lo
	v_lshlrev_b32_e32 v9, 2, v6
	ds_bpermute_b32 v6, v9, v12
	ds_bpermute_b32 v7, v9, v13
	ds_bpermute_b32 v8, v9, v0
	ds_bpermute_b32 v9, v9, v1
	s_wait_dscnt 0x0
	v_dual_add_f64 v[0:1], v[0:1], v[8:9] :: v_dual_bitop2_b32 v8, 8, v15 bitop3:0x14
	s_delay_alu instid0(VALU_DEP_1) | instskip(SKIP_1) | instid1(VALU_DEP_1)
	v_cmp_gt_i32_e32 vcc_lo, 32, v8
	v_dual_add_f64 v[6:7], v[12:13], v[6:7] :: v_dual_cndmask_b32 v8, v15, v8, vcc_lo
	v_lshlrev_b32_e32 v13, 2, v8
	ds_bpermute_b32 v12, v13, v0
	ds_bpermute_b32 v8, v13, v6
	;; [unrolled: 1-line block ×4, first 2 shown]
	s_wait_dscnt 0x1
	v_dual_add_f64 v[6:7], v[6:7], v[8:9] :: v_dual_bitop2_b32 v8, 4, v15 bitop3:0x14
	s_wait_dscnt 0x0
	v_add_f64_e32 v[0:1], v[0:1], v[12:13]
	s_delay_alu instid0(VALU_DEP_2) | instskip(SKIP_1) | instid1(VALU_DEP_1)
	v_cmp_gt_i32_e32 vcc_lo, 32, v8
	v_cndmask_b32_e32 v8, v15, v8, vcc_lo
	v_lshlrev_b32_e32 v13, 2, v8
	ds_bpermute_b32 v8, v13, v6
	ds_bpermute_b32 v9, v13, v7
	;; [unrolled: 1-line block ×4, first 2 shown]
	s_wait_dscnt 0x2
	v_add_f64_e32 v[6:7], v[6:7], v[8:9]
	s_wait_dscnt 0x0
	v_dual_add_f64 v[8:9], v[0:1], v[12:13] :: v_dual_bitop2_b32 v0, 2, v15 bitop3:0x14
	s_delay_alu instid0(VALU_DEP_1) | instskip(SKIP_1) | instid1(VALU_DEP_1)
	v_cmp_gt_i32_e32 vcc_lo, 32, v0
	v_cndmask_b32_e32 v0, v15, v0, vcc_lo
	v_lshlrev_b32_e32 v13, 2, v0
	ds_bpermute_b32 v0, v13, v6
	ds_bpermute_b32 v1, v13, v7
	;; [unrolled: 1-line block ×4, first 2 shown]
	s_wait_dscnt 0x2
	v_dual_add_f64 v[0:1], v[6:7], v[0:1] :: v_dual_bitop2_b32 v6, 1, v15 bitop3:0x14
	s_wait_dscnt 0x0
	v_add_f64_e32 v[8:9], v[8:9], v[12:13]
	s_delay_alu instid0(VALU_DEP_2) | instskip(SKIP_2) | instid1(VALU_DEP_2)
	v_cmp_gt_i32_e32 vcc_lo, 32, v6
	v_cndmask_b32_e32 v6, v15, v6, vcc_lo
	v_cmp_eq_u32_e32 vcc_lo, 31, v14
	v_lshlrev_b32_e32 v13, 2, v6
	ds_bpermute_b32 v6, v13, v0
	ds_bpermute_b32 v7, v13, v1
	;; [unrolled: 1-line block ×4, first 2 shown]
	s_and_b32 exec_lo, exec_lo, vcc_lo
	s_cbranch_execz .LBB64_12
; %bb.9:
	v_cmp_neq_f64_e32 vcc_lo, 0, v[2:3]
	s_wait_xcnt 0x0
	v_cmp_neq_f64_e64 s0, 0, v[4:5]
	s_wait_dscnt 0x2
	v_add_f64_e32 v[6:7], v[0:1], v[6:7]
	s_wait_dscnt 0x0
	v_add_f64_e32 v[8:9], v[8:9], v[12:13]
	s_wait_kmcnt 0x0
	v_lshl_add_u64 v[0:1], v[10:11], 4, s[2:3]
	s_or_b32 s1, vcc_lo, s0
	s_delay_alu instid0(SALU_CYCLE_1)
	s_and_saveexec_b32 s0, s1
	s_cbranch_execz .LBB64_11
; %bb.10:
	global_load_b128 v[10:13], v[0:1], off
	s_wait_loadcnt 0x0
	v_fmac_f64_e32 v[6:7], v[2:3], v[10:11]
	v_fmac_f64_e32 v[8:9], v[4:5], v[10:11]
	s_delay_alu instid0(VALU_DEP_2) | instskip(NEXT) | instid1(VALU_DEP_2)
	v_fma_f64 v[6:7], -v[4:5], v[12:13], v[6:7]
	v_fmac_f64_e32 v[8:9], v[2:3], v[12:13]
.LBB64_11:
	s_or_b32 exec_lo, exec_lo, s0
	global_store_b128 v[0:1], v[6:9], off
.LBB64_12:
	s_endpgm
	.section	.rodata,"a",@progbits
	.p2align	6, 0x0
	.amdhsa_kernel _ZN9rocsparseL41csrmvn_lrb_medium_rows_warp_reduce_kernelILj256ELj32Eii21rocsparse_complex_numIdES2_S2_S2_EEvbT1_lPT2_S5_jNS_24const_host_device_scalarIT6_EEPKS3_PKS4_PKT3_PKT4_S8_PT5_21rocsparse_index_base_b
		.amdhsa_group_segment_fixed_size 0
		.amdhsa_private_segment_fixed_size 0
		.amdhsa_kernarg_size 120
		.amdhsa_user_sgpr_count 2
		.amdhsa_user_sgpr_dispatch_ptr 0
		.amdhsa_user_sgpr_queue_ptr 0
		.amdhsa_user_sgpr_kernarg_segment_ptr 1
		.amdhsa_user_sgpr_dispatch_id 0
		.amdhsa_user_sgpr_kernarg_preload_length 0
		.amdhsa_user_sgpr_kernarg_preload_offset 0
		.amdhsa_user_sgpr_private_segment_size 0
		.amdhsa_wavefront_size32 1
		.amdhsa_uses_dynamic_stack 0
		.amdhsa_enable_private_segment 0
		.amdhsa_system_sgpr_workgroup_id_x 1
		.amdhsa_system_sgpr_workgroup_id_y 0
		.amdhsa_system_sgpr_workgroup_id_z 0
		.amdhsa_system_sgpr_workgroup_info 0
		.amdhsa_system_vgpr_workitem_id 0
		.amdhsa_next_free_vgpr 28
		.amdhsa_next_free_sgpr 12
		.amdhsa_named_barrier_count 0
		.amdhsa_reserve_vcc 1
		.amdhsa_float_round_mode_32 0
		.amdhsa_float_round_mode_16_64 0
		.amdhsa_float_denorm_mode_32 3
		.amdhsa_float_denorm_mode_16_64 3
		.amdhsa_fp16_overflow 0
		.amdhsa_memory_ordered 1
		.amdhsa_forward_progress 1
		.amdhsa_inst_pref_size 9
		.amdhsa_round_robin_scheduling 0
		.amdhsa_exception_fp_ieee_invalid_op 0
		.amdhsa_exception_fp_denorm_src 0
		.amdhsa_exception_fp_ieee_div_zero 0
		.amdhsa_exception_fp_ieee_overflow 0
		.amdhsa_exception_fp_ieee_underflow 0
		.amdhsa_exception_fp_ieee_inexact 0
		.amdhsa_exception_int_div_zero 0
	.end_amdhsa_kernel
	.section	.text._ZN9rocsparseL41csrmvn_lrb_medium_rows_warp_reduce_kernelILj256ELj32Eii21rocsparse_complex_numIdES2_S2_S2_EEvbT1_lPT2_S5_jNS_24const_host_device_scalarIT6_EEPKS3_PKS4_PKT3_PKT4_S8_PT5_21rocsparse_index_base_b,"axG",@progbits,_ZN9rocsparseL41csrmvn_lrb_medium_rows_warp_reduce_kernelILj256ELj32Eii21rocsparse_complex_numIdES2_S2_S2_EEvbT1_lPT2_S5_jNS_24const_host_device_scalarIT6_EEPKS3_PKS4_PKT3_PKT4_S8_PT5_21rocsparse_index_base_b,comdat
.Lfunc_end64:
	.size	_ZN9rocsparseL41csrmvn_lrb_medium_rows_warp_reduce_kernelILj256ELj32Eii21rocsparse_complex_numIdES2_S2_S2_EEvbT1_lPT2_S5_jNS_24const_host_device_scalarIT6_EEPKS3_PKS4_PKT3_PKT4_S8_PT5_21rocsparse_index_base_b, .Lfunc_end64-_ZN9rocsparseL41csrmvn_lrb_medium_rows_warp_reduce_kernelILj256ELj32Eii21rocsparse_complex_numIdES2_S2_S2_EEvbT1_lPT2_S5_jNS_24const_host_device_scalarIT6_EEPKS3_PKS4_PKT3_PKT4_S8_PT5_21rocsparse_index_base_b
                                        ; -- End function
	.set _ZN9rocsparseL41csrmvn_lrb_medium_rows_warp_reduce_kernelILj256ELj32Eii21rocsparse_complex_numIdES2_S2_S2_EEvbT1_lPT2_S5_jNS_24const_host_device_scalarIT6_EEPKS3_PKS4_PKT3_PKT4_S8_PT5_21rocsparse_index_base_b.num_vgpr, 28
	.set _ZN9rocsparseL41csrmvn_lrb_medium_rows_warp_reduce_kernelILj256ELj32Eii21rocsparse_complex_numIdES2_S2_S2_EEvbT1_lPT2_S5_jNS_24const_host_device_scalarIT6_EEPKS3_PKS4_PKT3_PKT4_S8_PT5_21rocsparse_index_base_b.num_agpr, 0
	.set _ZN9rocsparseL41csrmvn_lrb_medium_rows_warp_reduce_kernelILj256ELj32Eii21rocsparse_complex_numIdES2_S2_S2_EEvbT1_lPT2_S5_jNS_24const_host_device_scalarIT6_EEPKS3_PKS4_PKT3_PKT4_S8_PT5_21rocsparse_index_base_b.numbered_sgpr, 12
	.set _ZN9rocsparseL41csrmvn_lrb_medium_rows_warp_reduce_kernelILj256ELj32Eii21rocsparse_complex_numIdES2_S2_S2_EEvbT1_lPT2_S5_jNS_24const_host_device_scalarIT6_EEPKS3_PKS4_PKT3_PKT4_S8_PT5_21rocsparse_index_base_b.num_named_barrier, 0
	.set _ZN9rocsparseL41csrmvn_lrb_medium_rows_warp_reduce_kernelILj256ELj32Eii21rocsparse_complex_numIdES2_S2_S2_EEvbT1_lPT2_S5_jNS_24const_host_device_scalarIT6_EEPKS3_PKS4_PKT3_PKT4_S8_PT5_21rocsparse_index_base_b.private_seg_size, 0
	.set _ZN9rocsparseL41csrmvn_lrb_medium_rows_warp_reduce_kernelILj256ELj32Eii21rocsparse_complex_numIdES2_S2_S2_EEvbT1_lPT2_S5_jNS_24const_host_device_scalarIT6_EEPKS3_PKS4_PKT3_PKT4_S8_PT5_21rocsparse_index_base_b.uses_vcc, 1
	.set _ZN9rocsparseL41csrmvn_lrb_medium_rows_warp_reduce_kernelILj256ELj32Eii21rocsparse_complex_numIdES2_S2_S2_EEvbT1_lPT2_S5_jNS_24const_host_device_scalarIT6_EEPKS3_PKS4_PKT3_PKT4_S8_PT5_21rocsparse_index_base_b.uses_flat_scratch, 0
	.set _ZN9rocsparseL41csrmvn_lrb_medium_rows_warp_reduce_kernelILj256ELj32Eii21rocsparse_complex_numIdES2_S2_S2_EEvbT1_lPT2_S5_jNS_24const_host_device_scalarIT6_EEPKS3_PKS4_PKT3_PKT4_S8_PT5_21rocsparse_index_base_b.has_dyn_sized_stack, 0
	.set _ZN9rocsparseL41csrmvn_lrb_medium_rows_warp_reduce_kernelILj256ELj32Eii21rocsparse_complex_numIdES2_S2_S2_EEvbT1_lPT2_S5_jNS_24const_host_device_scalarIT6_EEPKS3_PKS4_PKT3_PKT4_S8_PT5_21rocsparse_index_base_b.has_recursion, 0
	.set _ZN9rocsparseL41csrmvn_lrb_medium_rows_warp_reduce_kernelILj256ELj32Eii21rocsparse_complex_numIdES2_S2_S2_EEvbT1_lPT2_S5_jNS_24const_host_device_scalarIT6_EEPKS3_PKS4_PKT3_PKT4_S8_PT5_21rocsparse_index_base_b.has_indirect_call, 0
	.section	.AMDGPU.csdata,"",@progbits
; Kernel info:
; codeLenInByte = 1116
; TotalNumSgprs: 14
; NumVgprs: 28
; ScratchSize: 0
; MemoryBound: 0
; FloatMode: 240
; IeeeMode: 1
; LDSByteSize: 0 bytes/workgroup (compile time only)
; SGPRBlocks: 0
; VGPRBlocks: 1
; NumSGPRsForWavesPerEU: 14
; NumVGPRsForWavesPerEU: 28
; NamedBarCnt: 0
; Occupancy: 16
; WaveLimiterHint : 1
; COMPUTE_PGM_RSRC2:SCRATCH_EN: 0
; COMPUTE_PGM_RSRC2:USER_SGPR: 2
; COMPUTE_PGM_RSRC2:TRAP_HANDLER: 0
; COMPUTE_PGM_RSRC2:TGID_X_EN: 1
; COMPUTE_PGM_RSRC2:TGID_Y_EN: 0
; COMPUTE_PGM_RSRC2:TGID_Z_EN: 0
; COMPUTE_PGM_RSRC2:TIDIG_COMP_CNT: 0
	.section	.text._ZN9rocsparseL41csrmvn_lrb_medium_rows_warp_reduce_kernelILj256ELj64Eii21rocsparse_complex_numIdES2_S2_S2_EEvbT1_lPT2_S5_jNS_24const_host_device_scalarIT6_EEPKS3_PKS4_PKT3_PKT4_S8_PT5_21rocsparse_index_base_b,"axG",@progbits,_ZN9rocsparseL41csrmvn_lrb_medium_rows_warp_reduce_kernelILj256ELj64Eii21rocsparse_complex_numIdES2_S2_S2_EEvbT1_lPT2_S5_jNS_24const_host_device_scalarIT6_EEPKS3_PKS4_PKT3_PKT4_S8_PT5_21rocsparse_index_base_b,comdat
	.globl	_ZN9rocsparseL41csrmvn_lrb_medium_rows_warp_reduce_kernelILj256ELj64Eii21rocsparse_complex_numIdES2_S2_S2_EEvbT1_lPT2_S5_jNS_24const_host_device_scalarIT6_EEPKS3_PKS4_PKT3_PKT4_S8_PT5_21rocsparse_index_base_b ; -- Begin function _ZN9rocsparseL41csrmvn_lrb_medium_rows_warp_reduce_kernelILj256ELj64Eii21rocsparse_complex_numIdES2_S2_S2_EEvbT1_lPT2_S5_jNS_24const_host_device_scalarIT6_EEPKS3_PKS4_PKT3_PKT4_S8_PT5_21rocsparse_index_base_b
	.p2align	8
	.type	_ZN9rocsparseL41csrmvn_lrb_medium_rows_warp_reduce_kernelILj256ELj64Eii21rocsparse_complex_numIdES2_S2_S2_EEvbT1_lPT2_S5_jNS_24const_host_device_scalarIT6_EEPKS3_PKS4_PKT3_PKT4_S8_PT5_21rocsparse_index_base_b,@function
_ZN9rocsparseL41csrmvn_lrb_medium_rows_warp_reduce_kernelILj256ELj64Eii21rocsparse_complex_numIdES2_S2_S2_EEvbT1_lPT2_S5_jNS_24const_host_device_scalarIT6_EEPKS3_PKS4_PKT3_PKT4_S8_PT5_21rocsparse_index_base_b: ; @_ZN9rocsparseL41csrmvn_lrb_medium_rows_warp_reduce_kernelILj256ELj64Eii21rocsparse_complex_numIdES2_S2_S2_EEvbT1_lPT2_S5_jNS_24const_host_device_scalarIT6_EEPKS3_PKS4_PKT3_PKT4_S8_PT5_21rocsparse_index_base_b
; %bb.0:
	s_clause 0x1
	s_load_b64 s[8:9], s[0:1], 0x70
	s_load_b64 s[2:3], s[0:1], 0x28
	v_mov_b32_e32 v1, 0
	s_add_nc_u64 s[4:5], s[0:1], 40
	s_load_b64 s[6:7], s[0:1], 0x58
	s_wait_kmcnt 0x0
	s_bitcmp1_b32 s9, 0
	s_cselect_b32 s3, s5, s3
	s_cselect_b32 s2, s4, s2
	flat_load_b128 v[6:9], v1, s[2:3]
	s_wait_xcnt 0x0
	s_add_nc_u64 s[2:3], s[0:1], 0x58
	s_delay_alu instid0(SALU_CYCLE_1)
	s_cselect_b32 s3, s3, s7
	s_cselect_b32 s2, s2, s6
	flat_load_b128 v[2:5], v1, s[2:3]
	s_wait_loadcnt_dscnt 0x101
	v_cmp_eq_f64_e32 vcc_lo, 0, v[6:7]
	s_wait_xcnt 0x0
	v_cmp_eq_f64_e64 s2, 0, v[8:9]
	s_and_b32 s4, vcc_lo, s2
	s_mov_b32 s2, -1
	s_and_saveexec_b32 s3, s4
	s_cbranch_execz .LBB65_2
; %bb.1:
	s_wait_loadcnt_dscnt 0x0
	v_cmp_neq_f64_e32 vcc_lo, 1.0, v[2:3]
	v_cmp_neq_f64_e64 s2, 0, v[4:5]
	s_or_b32 s2, vcc_lo, s2
	s_delay_alu instid0(SALU_CYCLE_1)
	s_or_not1_b32 s2, s2, exec_lo
.LBB65_2:
	s_or_b32 exec_lo, exec_lo, s3
	s_and_saveexec_b32 s3, s2
	s_cbranch_execz .LBB65_12
; %bb.3:
	s_bfe_u32 s4, ttmp6, 0x4000c
	s_load_b64 s[2:3], s[0:1], 0x8
	s_add_co_i32 s4, s4, 1
	s_and_b32 s5, ttmp6, 15
	s_mul_i32 s4, ttmp9, s4
	s_getreg_b32 s6, hwreg(HW_REG_IB_STS2, 6, 4)
	v_lshrrev_b32_e32 v1, 6, v0
	s_add_co_i32 s5, s5, s4
	s_cmp_eq_u32 s6, 0
	s_cselect_b32 s4, ttmp9, s5
	s_delay_alu instid0(VALU_DEP_1) | instid1(SALU_CYCLE_1)
	v_lshl_or_b32 v10, s4, 2, v1
	s_delay_alu instid0(VALU_DEP_1) | instskip(SKIP_1) | instid1(VALU_DEP_1)
	v_ashrrev_i32_e32 v11, 31, v10
	s_wait_kmcnt 0x0
	v_cmp_gt_i64_e32 vcc_lo, s[2:3], v[10:11]
	s_and_b32 exec_lo, exec_lo, vcc_lo
	s_cbranch_execz .LBB65_12
; %bb.4:
	s_clause 0x1
	s_load_b128 s[4:7], s[0:1], 0x10
	s_load_b32 s2, s[0:1], 0x20
	s_wait_kmcnt 0x0
	s_load_b32 s2, s[6:7], s2 offset:0x0 scale_offset
	s_wait_kmcnt 0x0
	v_add_nc_u32_e32 v1, s2, v10
	s_load_b64 s[2:3], s[0:1], 0x38
	global_load_b32 v10, v1, s[4:5] scale_offset
	s_wait_loadcnt 0x0
	v_ashrrev_i32_e32 v11, 31, v10
	s_wait_kmcnt 0x0
	s_delay_alu instid0(VALU_DEP_1) | instskip(SKIP_3) | instid1(VALU_DEP_1)
	v_lshl_add_u64 v[12:13], v[10:11], 2, s[2:3]
	s_mov_b32 s3, exec_lo
	global_load_b64 v[12:13], v[12:13], off
	v_and_b32_e32 v14, 63, v0
	v_subrev_nc_u32_e32 v0, s8, v14
	s_wait_loadcnt 0x0
	v_subrev_nc_u32_e32 v15, s8, v13
	s_delay_alu instid0(VALU_DEP_2) | instskip(SKIP_2) | instid1(VALU_DEP_3)
	v_add_nc_u32_e32 v16, v12, v0
	v_mov_b64_e32 v[0:1], 0
	v_mov_b64_e32 v[12:13], 0
	v_cmpx_lt_i32_e64 v16, v15
	s_cbranch_execz .LBB65_8
; %bb.5:
	s_clause 0x2
	s_load_b32 s2, s[0:1], 0x0
	s_load_b128 s[4:7], s[0:1], 0x40
	s_load_b64 s[10:11], s[0:1], 0x50
	v_mov_b64_e32 v[0:1], 0
	v_mov_b64_e32 v[12:13], 0
	s_mov_b32 s9, 0
	s_wait_kmcnt 0x0
	s_bitcmp1_b32 s2, 0
	s_cselect_b32 vcc_lo, -1, 0
.LBB65_6:                               ; =>This Inner Loop Header: Depth=1
	s_clause 0x1
	global_load_b32 v17, v16, s[4:5] scale_offset
	global_load_b128 v[18:21], v16, s[6:7] scale_offset
	s_wait_xcnt 0x0
	v_add_nc_u32_e32 v16, 64, v16
	s_delay_alu instid0(VALU_DEP_1)
	v_cmp_ge_i32_e64 s2, v16, v15
	s_or_b32 s9, s2, s9
	s_wait_loadcnt 0x1
	v_subrev_nc_u32_e32 v17, s8, v17
	global_load_b128 v[22:25], v17, s[10:11] scale_offset
	s_wait_loadcnt 0x1
	s_wait_xcnt 0x0
	v_xor_b32_e32 v17, 0x80000000, v21
	s_delay_alu instid0(VALU_DEP_1) | instskip(NEXT) | instid1(VALU_DEP_1)
	v_cndmask_b32_e32 v21, v21, v17, vcc_lo
	v_mul_f64_e64 v[26:27], v[20:21], -v[8:9]
	v_mul_f64_e32 v[20:21], v[6:7], v[20:21]
	s_delay_alu instid0(VALU_DEP_2) | instskip(NEXT) | instid1(VALU_DEP_2)
	v_fmac_f64_e32 v[26:27], v[6:7], v[18:19]
	v_fmac_f64_e32 v[20:21], v[8:9], v[18:19]
	s_wait_loadcnt 0x0
	s_delay_alu instid0(VALU_DEP_2) | instskip(NEXT) | instid1(VALU_DEP_2)
	v_fmac_f64_e32 v[12:13], v[26:27], v[22:23]
	v_fmac_f64_e32 v[0:1], v[20:21], v[22:23]
	s_delay_alu instid0(VALU_DEP_2) | instskip(NEXT) | instid1(VALU_DEP_2)
	v_fma_f64 v[12:13], -v[20:21], v[24:25], v[12:13]
	v_fmac_f64_e32 v[0:1], v[26:27], v[24:25]
	s_and_not1_b32 exec_lo, exec_lo, s9
	s_cbranch_execnz .LBB65_6
; %bb.7:
	s_or_b32 exec_lo, exec_lo, s9
.LBB65_8:
	s_delay_alu instid0(SALU_CYCLE_1) | instskip(SKIP_2) | instid1(VALU_DEP_1)
	s_or_b32 exec_lo, exec_lo, s3
	v_mbcnt_lo_u32_b32 v15, -1, 0
	s_load_b64 s[2:3], s[0:1], 0x68
	v_or_b32_e32 v6, 32, v15
	s_delay_alu instid0(VALU_DEP_1) | instskip(SKIP_1) | instid1(VALU_DEP_1)
	v_cmp_gt_i32_e32 vcc_lo, 32, v6
	v_cndmask_b32_e32 v6, v15, v6, vcc_lo
	v_lshlrev_b32_e32 v9, 2, v6
	ds_bpermute_b32 v6, v9, v12
	ds_bpermute_b32 v7, v9, v13
	;; [unrolled: 1-line block ×4, first 2 shown]
	s_wait_dscnt 0x0
	v_dual_add_f64 v[0:1], v[0:1], v[8:9] :: v_dual_bitop2_b32 v8, 16, v15 bitop3:0x14
	s_delay_alu instid0(VALU_DEP_1) | instskip(SKIP_1) | instid1(VALU_DEP_1)
	v_cmp_gt_i32_e32 vcc_lo, 32, v8
	v_dual_add_f64 v[6:7], v[12:13], v[6:7] :: v_dual_cndmask_b32 v8, v15, v8, vcc_lo
	v_lshlrev_b32_e32 v13, 2, v8
	ds_bpermute_b32 v12, v13, v0
	ds_bpermute_b32 v8, v13, v6
	;; [unrolled: 1-line block ×4, first 2 shown]
	s_wait_dscnt 0x1
	v_dual_add_f64 v[6:7], v[6:7], v[8:9] :: v_dual_bitop2_b32 v8, 8, v15 bitop3:0x14
	s_wait_dscnt 0x0
	v_add_f64_e32 v[0:1], v[0:1], v[12:13]
	s_delay_alu instid0(VALU_DEP_2) | instskip(SKIP_1) | instid1(VALU_DEP_1)
	v_cmp_gt_i32_e32 vcc_lo, 32, v8
	v_cndmask_b32_e32 v8, v15, v8, vcc_lo
	v_lshlrev_b32_e32 v13, 2, v8
	ds_bpermute_b32 v8, v13, v6
	ds_bpermute_b32 v9, v13, v7
	s_wait_dscnt 0x0
	v_dual_add_f64 v[6:7], v[6:7], v[8:9] :: v_dual_bitop2_b32 v8, 4, v15 bitop3:0x14
	s_delay_alu instid0(VALU_DEP_1)
	v_cmp_gt_i32_e32 vcc_lo, 32, v8
	v_cndmask_b32_e32 v8, v15, v8, vcc_lo
	ds_bpermute_b32 v12, v13, v0
	ds_bpermute_b32 v13, v13, v1
	s_wait_dscnt 0x0
	v_add_f64_e32 v[0:1], v[0:1], v[12:13]
	v_lshlrev_b32_e32 v13, 2, v8
	ds_bpermute_b32 v8, v13, v6
	ds_bpermute_b32 v9, v13, v7
	s_wait_dscnt 0x0
	v_add_f64_e32 v[6:7], v[6:7], v[8:9]
	ds_bpermute_b32 v12, v13, v0
	ds_bpermute_b32 v13, v13, v1
	s_wait_dscnt 0x0
	v_dual_add_f64 v[8:9], v[0:1], v[12:13] :: v_dual_bitop2_b32 v0, 2, v15 bitop3:0x14
	s_delay_alu instid0(VALU_DEP_1) | instskip(SKIP_1) | instid1(VALU_DEP_1)
	v_cmp_gt_i32_e32 vcc_lo, 32, v0
	v_cndmask_b32_e32 v0, v15, v0, vcc_lo
	v_lshlrev_b32_e32 v13, 2, v0
	ds_bpermute_b32 v0, v13, v6
	ds_bpermute_b32 v1, v13, v7
	;; [unrolled: 1-line block ×4, first 2 shown]
	s_wait_dscnt 0x2
	v_dual_add_f64 v[0:1], v[6:7], v[0:1] :: v_dual_bitop2_b32 v6, 1, v15 bitop3:0x14
	s_delay_alu instid0(VALU_DEP_1) | instskip(SKIP_3) | instid1(VALU_DEP_2)
	v_cmp_gt_i32_e32 vcc_lo, 32, v6
	s_wait_dscnt 0x0
	v_dual_add_f64 v[8:9], v[8:9], v[12:13] :: v_dual_cndmask_b32 v6, v15, v6, vcc_lo
	v_cmp_eq_u32_e32 vcc_lo, 63, v14
	v_lshlrev_b32_e32 v13, 2, v6
	ds_bpermute_b32 v6, v13, v0
	ds_bpermute_b32 v7, v13, v1
	;; [unrolled: 1-line block ×4, first 2 shown]
	s_and_b32 exec_lo, exec_lo, vcc_lo
	s_cbranch_execz .LBB65_12
; %bb.9:
	v_cmp_neq_f64_e32 vcc_lo, 0, v[2:3]
	s_wait_xcnt 0x0
	v_cmp_neq_f64_e64 s0, 0, v[4:5]
	s_wait_dscnt 0x2
	v_add_f64_e32 v[6:7], v[0:1], v[6:7]
	s_wait_dscnt 0x0
	v_add_f64_e32 v[8:9], v[8:9], v[12:13]
	s_wait_kmcnt 0x0
	v_lshl_add_u64 v[0:1], v[10:11], 4, s[2:3]
	s_or_b32 s1, vcc_lo, s0
	s_delay_alu instid0(SALU_CYCLE_1)
	s_and_saveexec_b32 s0, s1
	s_cbranch_execz .LBB65_11
; %bb.10:
	global_load_b128 v[10:13], v[0:1], off
	s_wait_loadcnt 0x0
	v_fmac_f64_e32 v[6:7], v[2:3], v[10:11]
	v_fmac_f64_e32 v[8:9], v[4:5], v[10:11]
	s_delay_alu instid0(VALU_DEP_2) | instskip(NEXT) | instid1(VALU_DEP_2)
	v_fma_f64 v[6:7], -v[4:5], v[12:13], v[6:7]
	v_fmac_f64_e32 v[8:9], v[2:3], v[12:13]
.LBB65_11:
	s_or_b32 exec_lo, exec_lo, s0
	global_store_b128 v[0:1], v[6:9], off
.LBB65_12:
	s_endpgm
	.section	.rodata,"a",@progbits
	.p2align	6, 0x0
	.amdhsa_kernel _ZN9rocsparseL41csrmvn_lrb_medium_rows_warp_reduce_kernelILj256ELj64Eii21rocsparse_complex_numIdES2_S2_S2_EEvbT1_lPT2_S5_jNS_24const_host_device_scalarIT6_EEPKS3_PKS4_PKT3_PKT4_S8_PT5_21rocsparse_index_base_b
		.amdhsa_group_segment_fixed_size 0
		.amdhsa_private_segment_fixed_size 0
		.amdhsa_kernarg_size 120
		.amdhsa_user_sgpr_count 2
		.amdhsa_user_sgpr_dispatch_ptr 0
		.amdhsa_user_sgpr_queue_ptr 0
		.amdhsa_user_sgpr_kernarg_segment_ptr 1
		.amdhsa_user_sgpr_dispatch_id 0
		.amdhsa_user_sgpr_kernarg_preload_length 0
		.amdhsa_user_sgpr_kernarg_preload_offset 0
		.amdhsa_user_sgpr_private_segment_size 0
		.amdhsa_wavefront_size32 1
		.amdhsa_uses_dynamic_stack 0
		.amdhsa_enable_private_segment 0
		.amdhsa_system_sgpr_workgroup_id_x 1
		.amdhsa_system_sgpr_workgroup_id_y 0
		.amdhsa_system_sgpr_workgroup_id_z 0
		.amdhsa_system_sgpr_workgroup_info 0
		.amdhsa_system_vgpr_workitem_id 0
		.amdhsa_next_free_vgpr 28
		.amdhsa_next_free_sgpr 12
		.amdhsa_named_barrier_count 0
		.amdhsa_reserve_vcc 1
		.amdhsa_float_round_mode_32 0
		.amdhsa_float_round_mode_16_64 0
		.amdhsa_float_denorm_mode_32 3
		.amdhsa_float_denorm_mode_16_64 3
		.amdhsa_fp16_overflow 0
		.amdhsa_memory_ordered 1
		.amdhsa_forward_progress 1
		.amdhsa_inst_pref_size 10
		.amdhsa_round_robin_scheduling 0
		.amdhsa_exception_fp_ieee_invalid_op 0
		.amdhsa_exception_fp_denorm_src 0
		.amdhsa_exception_fp_ieee_div_zero 0
		.amdhsa_exception_fp_ieee_overflow 0
		.amdhsa_exception_fp_ieee_underflow 0
		.amdhsa_exception_fp_ieee_inexact 0
		.amdhsa_exception_int_div_zero 0
	.end_amdhsa_kernel
	.section	.text._ZN9rocsparseL41csrmvn_lrb_medium_rows_warp_reduce_kernelILj256ELj64Eii21rocsparse_complex_numIdES2_S2_S2_EEvbT1_lPT2_S5_jNS_24const_host_device_scalarIT6_EEPKS3_PKS4_PKT3_PKT4_S8_PT5_21rocsparse_index_base_b,"axG",@progbits,_ZN9rocsparseL41csrmvn_lrb_medium_rows_warp_reduce_kernelILj256ELj64Eii21rocsparse_complex_numIdES2_S2_S2_EEvbT1_lPT2_S5_jNS_24const_host_device_scalarIT6_EEPKS3_PKS4_PKT3_PKT4_S8_PT5_21rocsparse_index_base_b,comdat
.Lfunc_end65:
	.size	_ZN9rocsparseL41csrmvn_lrb_medium_rows_warp_reduce_kernelILj256ELj64Eii21rocsparse_complex_numIdES2_S2_S2_EEvbT1_lPT2_S5_jNS_24const_host_device_scalarIT6_EEPKS3_PKS4_PKT3_PKT4_S8_PT5_21rocsparse_index_base_b, .Lfunc_end65-_ZN9rocsparseL41csrmvn_lrb_medium_rows_warp_reduce_kernelILj256ELj64Eii21rocsparse_complex_numIdES2_S2_S2_EEvbT1_lPT2_S5_jNS_24const_host_device_scalarIT6_EEPKS3_PKS4_PKT3_PKT4_S8_PT5_21rocsparse_index_base_b
                                        ; -- End function
	.set _ZN9rocsparseL41csrmvn_lrb_medium_rows_warp_reduce_kernelILj256ELj64Eii21rocsparse_complex_numIdES2_S2_S2_EEvbT1_lPT2_S5_jNS_24const_host_device_scalarIT6_EEPKS3_PKS4_PKT3_PKT4_S8_PT5_21rocsparse_index_base_b.num_vgpr, 28
	.set _ZN9rocsparseL41csrmvn_lrb_medium_rows_warp_reduce_kernelILj256ELj64Eii21rocsparse_complex_numIdES2_S2_S2_EEvbT1_lPT2_S5_jNS_24const_host_device_scalarIT6_EEPKS3_PKS4_PKT3_PKT4_S8_PT5_21rocsparse_index_base_b.num_agpr, 0
	.set _ZN9rocsparseL41csrmvn_lrb_medium_rows_warp_reduce_kernelILj256ELj64Eii21rocsparse_complex_numIdES2_S2_S2_EEvbT1_lPT2_S5_jNS_24const_host_device_scalarIT6_EEPKS3_PKS4_PKT3_PKT4_S8_PT5_21rocsparse_index_base_b.numbered_sgpr, 12
	.set _ZN9rocsparseL41csrmvn_lrb_medium_rows_warp_reduce_kernelILj256ELj64Eii21rocsparse_complex_numIdES2_S2_S2_EEvbT1_lPT2_S5_jNS_24const_host_device_scalarIT6_EEPKS3_PKS4_PKT3_PKT4_S8_PT5_21rocsparse_index_base_b.num_named_barrier, 0
	.set _ZN9rocsparseL41csrmvn_lrb_medium_rows_warp_reduce_kernelILj256ELj64Eii21rocsparse_complex_numIdES2_S2_S2_EEvbT1_lPT2_S5_jNS_24const_host_device_scalarIT6_EEPKS3_PKS4_PKT3_PKT4_S8_PT5_21rocsparse_index_base_b.private_seg_size, 0
	.set _ZN9rocsparseL41csrmvn_lrb_medium_rows_warp_reduce_kernelILj256ELj64Eii21rocsparse_complex_numIdES2_S2_S2_EEvbT1_lPT2_S5_jNS_24const_host_device_scalarIT6_EEPKS3_PKS4_PKT3_PKT4_S8_PT5_21rocsparse_index_base_b.uses_vcc, 1
	.set _ZN9rocsparseL41csrmvn_lrb_medium_rows_warp_reduce_kernelILj256ELj64Eii21rocsparse_complex_numIdES2_S2_S2_EEvbT1_lPT2_S5_jNS_24const_host_device_scalarIT6_EEPKS3_PKS4_PKT3_PKT4_S8_PT5_21rocsparse_index_base_b.uses_flat_scratch, 0
	.set _ZN9rocsparseL41csrmvn_lrb_medium_rows_warp_reduce_kernelILj256ELj64Eii21rocsparse_complex_numIdES2_S2_S2_EEvbT1_lPT2_S5_jNS_24const_host_device_scalarIT6_EEPKS3_PKS4_PKT3_PKT4_S8_PT5_21rocsparse_index_base_b.has_dyn_sized_stack, 0
	.set _ZN9rocsparseL41csrmvn_lrb_medium_rows_warp_reduce_kernelILj256ELj64Eii21rocsparse_complex_numIdES2_S2_S2_EEvbT1_lPT2_S5_jNS_24const_host_device_scalarIT6_EEPKS3_PKS4_PKT3_PKT4_S8_PT5_21rocsparse_index_base_b.has_recursion, 0
	.set _ZN9rocsparseL41csrmvn_lrb_medium_rows_warp_reduce_kernelILj256ELj64Eii21rocsparse_complex_numIdES2_S2_S2_EEvbT1_lPT2_S5_jNS_24const_host_device_scalarIT6_EEPKS3_PKS4_PKT3_PKT4_S8_PT5_21rocsparse_index_base_b.has_indirect_call, 0
	.section	.AMDGPU.csdata,"",@progbits
; Kernel info:
; codeLenInByte = 1192
; TotalNumSgprs: 14
; NumVgprs: 28
; ScratchSize: 0
; MemoryBound: 0
; FloatMode: 240
; IeeeMode: 1
; LDSByteSize: 0 bytes/workgroup (compile time only)
; SGPRBlocks: 0
; VGPRBlocks: 1
; NumSGPRsForWavesPerEU: 14
; NumVGPRsForWavesPerEU: 28
; NamedBarCnt: 0
; Occupancy: 16
; WaveLimiterHint : 1
; COMPUTE_PGM_RSRC2:SCRATCH_EN: 0
; COMPUTE_PGM_RSRC2:USER_SGPR: 2
; COMPUTE_PGM_RSRC2:TRAP_HANDLER: 0
; COMPUTE_PGM_RSRC2:TGID_X_EN: 1
; COMPUTE_PGM_RSRC2:TGID_Y_EN: 0
; COMPUTE_PGM_RSRC2:TGID_Z_EN: 0
; COMPUTE_PGM_RSRC2:TIDIG_COMP_CNT: 0
	.section	.text._ZN9rocsparseL29csrmvn_lrb_medium_rows_kernelILj256Eii21rocsparse_complex_numIdES2_S2_S2_EEvbT0_PT1_S5_jNS_24const_host_device_scalarIT5_EEPKS3_PKS4_PKT2_PKT3_S8_PT4_21rocsparse_index_base_b,"axG",@progbits,_ZN9rocsparseL29csrmvn_lrb_medium_rows_kernelILj256Eii21rocsparse_complex_numIdES2_S2_S2_EEvbT0_PT1_S5_jNS_24const_host_device_scalarIT5_EEPKS3_PKS4_PKT2_PKT3_S8_PT4_21rocsparse_index_base_b,comdat
	.globl	_ZN9rocsparseL29csrmvn_lrb_medium_rows_kernelILj256Eii21rocsparse_complex_numIdES2_S2_S2_EEvbT0_PT1_S5_jNS_24const_host_device_scalarIT5_EEPKS3_PKS4_PKT2_PKT3_S8_PT4_21rocsparse_index_base_b ; -- Begin function _ZN9rocsparseL29csrmvn_lrb_medium_rows_kernelILj256Eii21rocsparse_complex_numIdES2_S2_S2_EEvbT0_PT1_S5_jNS_24const_host_device_scalarIT5_EEPKS3_PKS4_PKT2_PKT3_S8_PT4_21rocsparse_index_base_b
	.p2align	8
	.type	_ZN9rocsparseL29csrmvn_lrb_medium_rows_kernelILj256Eii21rocsparse_complex_numIdES2_S2_S2_EEvbT0_PT1_S5_jNS_24const_host_device_scalarIT5_EEPKS3_PKS4_PKT2_PKT3_S8_PT4_21rocsparse_index_base_b,@function
_ZN9rocsparseL29csrmvn_lrb_medium_rows_kernelILj256Eii21rocsparse_complex_numIdES2_S2_S2_EEvbT0_PT1_S5_jNS_24const_host_device_scalarIT5_EEPKS3_PKS4_PKT2_PKT3_S8_PT4_21rocsparse_index_base_b: ; @_ZN9rocsparseL29csrmvn_lrb_medium_rows_kernelILj256Eii21rocsparse_complex_numIdES2_S2_S2_EEvbT0_PT1_S5_jNS_24const_host_device_scalarIT5_EEPKS3_PKS4_PKT2_PKT3_S8_PT4_21rocsparse_index_base_b
; %bb.0:
	s_clause 0x1
	s_load_b64 s[10:11], s[0:1], 0x68
	s_load_b64 s[2:3], s[0:1], 0x20
	v_mov_b32_e32 v1, 0
	s_add_nc_u64 s[4:5], s[0:1], 32
	s_load_b64 s[6:7], s[0:1], 0x50
	s_wait_kmcnt 0x0
	s_bitcmp1_b32 s11, 0
	s_cselect_b32 s3, s5, s3
	s_cselect_b32 s2, s4, s2
	flat_load_b128 v[6:9], v1, s[2:3]
	s_wait_xcnt 0x0
	s_add_nc_u64 s[2:3], s[0:1], 0x50
	s_delay_alu instid0(SALU_CYCLE_1)
	s_cselect_b32 s3, s3, s7
	s_cselect_b32 s2, s2, s6
	flat_load_b128 v[2:5], v1, s[2:3]
	s_wait_loadcnt_dscnt 0x101
	v_cmp_eq_f64_e32 vcc_lo, 0, v[6:7]
	s_wait_xcnt 0x0
	v_cmp_eq_f64_e64 s2, 0, v[8:9]
	s_and_b32 s4, vcc_lo, s2
	s_mov_b32 s2, -1
	s_and_saveexec_b32 s3, s4
	s_cbranch_execz .LBB66_2
; %bb.1:
	s_wait_loadcnt_dscnt 0x0
	v_cmp_neq_f64_e32 vcc_lo, 1.0, v[2:3]
	v_cmp_neq_f64_e64 s2, 0, v[4:5]
	s_or_b32 s2, vcc_lo, s2
	s_delay_alu instid0(SALU_CYCLE_1)
	s_or_not1_b32 s2, s2, exec_lo
.LBB66_2:
	s_or_b32 exec_lo, exec_lo, s3
	s_and_saveexec_b32 s3, s2
	s_cbranch_execz .LBB66_27
; %bb.3:
	s_clause 0x1
	s_load_b128 s[4:7], s[0:1], 0x8
	s_load_b32 s2, s[0:1], 0x18
	s_bfe_u32 s3, ttmp6, 0x4000c
	v_subrev_nc_u32_e32 v1, s10, v0
	s_add_co_i32 s3, s3, 1
	v_mov_b64_e32 v[12:13], 0
	s_mul_i32 s3, ttmp9, s3
	v_mov_b64_e32 v[10:11], 0
	s_mov_b32 s14, 0
	s_mov_b32 s11, exec_lo
	s_wait_kmcnt 0x0
	s_load_b32 s2, s[6:7], s2 offset:0x0 scale_offset
	s_wait_xcnt 0x0
	s_and_b32 s6, ttmp6, 15
	s_getreg_b32 s7, hwreg(HW_REG_IB_STS2, 6, 4)
	s_add_co_i32 s6, s6, s3
	s_cmp_eq_u32 s7, 0
	s_cselect_b32 s3, ttmp9, s6
	s_wait_kmcnt 0x0
	s_add_co_i32 s2, s2, s3
	s_delay_alu instid0(SALU_CYCLE_1) | instskip(NEXT) | instid1(SALU_CYCLE_1)
	s_ashr_i32 s3, s2, 31
	s_lshl_b64 s[2:3], s[2:3], 2
	s_delay_alu instid0(SALU_CYCLE_1) | instskip(SKIP_4) | instid1(SALU_CYCLE_1)
	s_add_nc_u64 s[2:3], s[4:5], s[2:3]
	s_load_b32 s8, s[2:3], 0x0
	s_load_b64 s[4:5], s[0:1], 0x30
	s_wait_kmcnt 0x0
	s_ashr_i32 s9, s8, 31
	s_lshl_b64 s[2:3], s[8:9], 2
	s_delay_alu instid0(SALU_CYCLE_1)
	s_add_nc_u64 s[2:3], s[4:5], s[2:3]
	s_load_b64 s[4:5], s[2:3], 0x0
	s_wait_kmcnt 0x0
	v_add_nc_u32_e32 v1, s4, v1
	s_sub_co_i32 s3, s5, s10
	s_delay_alu instid0(VALU_DEP_1) | instid1(SALU_CYCLE_1)
	v_cmpx_gt_i32_e64 s3, v1
	s_cbranch_execz .LBB66_7
; %bb.4:
	s_clause 0x2
	s_load_b32 s2, s[0:1], 0x0
	s_load_b128 s[4:7], s[0:1], 0x38
	s_load_b64 s[12:13], s[0:1], 0x48
	v_mov_b64_e32 v[12:13], 0
	s_delay_alu instid0(VALU_DEP_1)
	v_mov_b64_e32 v[10:11], v[12:13]
	s_wait_kmcnt 0x0
	s_bitcmp1_b32 s2, 0
	s_cselect_b32 vcc_lo, -1, 0
.LBB66_5:                               ; =>This Inner Loop Header: Depth=1
	s_clause 0x1
	global_load_b32 v18, v1, s[4:5] scale_offset
	global_load_b128 v[14:17], v1, s[6:7] scale_offset
	s_wait_xcnt 0x0
	v_add_nc_u32_e32 v1, 0x100, v1
	s_delay_alu instid0(VALU_DEP_1)
	v_cmp_le_i32_e64 s2, s3, v1
	s_or_b32 s14, s2, s14
	s_wait_loadcnt 0x1
	v_subrev_nc_u32_e32 v18, s10, v18
	s_wait_loadcnt 0x0
	v_xor_b32_e32 v22, 0x80000000, v17
	global_load_b128 v[18:21], v18, s[12:13] scale_offset
	v_cndmask_b32_e32 v17, v17, v22, vcc_lo
	s_delay_alu instid0(VALU_DEP_1) | instskip(SKIP_1) | instid1(VALU_DEP_2)
	v_mul_f64_e64 v[22:23], v[16:17], -v[8:9]
	v_mul_f64_e32 v[16:17], v[6:7], v[16:17]
	v_fmac_f64_e32 v[22:23], v[6:7], v[14:15]
	s_delay_alu instid0(VALU_DEP_2) | instskip(SKIP_1) | instid1(VALU_DEP_2)
	v_fmac_f64_e32 v[16:17], v[8:9], v[14:15]
	s_wait_loadcnt 0x0
	v_fmac_f64_e32 v[10:11], v[22:23], v[18:19]
	s_delay_alu instid0(VALU_DEP_2) | instskip(NEXT) | instid1(VALU_DEP_2)
	v_fmac_f64_e32 v[12:13], v[16:17], v[18:19]
	v_fma_f64 v[10:11], -v[16:17], v[20:21], v[10:11]
	s_delay_alu instid0(VALU_DEP_2)
	v_fmac_f64_e32 v[12:13], v[22:23], v[20:21]
	s_and_not1_b32 exec_lo, exec_lo, s14
	s_cbranch_execnz .LBB66_5
; %bb.6:
	s_or_b32 exec_lo, exec_lo, s14
.LBB66_7:
	s_delay_alu instid0(SALU_CYCLE_1)
	s_or_b32 exec_lo, exec_lo, s11
	s_load_b64 s[2:3], s[0:1], 0x60
	v_lshlrev_b32_e32 v1, 4, v0
	s_wait_xcnt 0x0
	s_mov_b32 s0, exec_lo
	ds_store_b128 v1, v[10:13]
	s_wait_loadcnt_dscnt 0x0
	s_barrier_signal -1
	s_barrier_wait -1
	v_cmpx_gt_u32_e32 0x80, v0
	s_cbranch_execz .LBB66_9
; %bb.8:
	ds_load_b128 v[6:9], v1 offset:2048
	ds_load_b128 v[10:13], v1
	s_wait_dscnt 0x0
	v_add_f64_e32 v[6:7], v[6:7], v[10:11]
	v_add_f64_e32 v[8:9], v[8:9], v[12:13]
	ds_store_b128 v1, v[6:9]
.LBB66_9:
	s_or_b32 exec_lo, exec_lo, s0
	s_delay_alu instid0(SALU_CYCLE_1)
	s_mov_b32 s0, exec_lo
	s_wait_dscnt 0x0
	s_barrier_signal -1
	s_barrier_wait -1
	v_cmpx_gt_u32_e32 64, v0
	s_cbranch_execz .LBB66_11
; %bb.10:
	ds_load_b128 v[6:9], v1 offset:1024
	ds_load_b128 v[10:13], v1
	s_wait_dscnt 0x0
	v_add_f64_e32 v[6:7], v[6:7], v[10:11]
	v_add_f64_e32 v[8:9], v[8:9], v[12:13]
	ds_store_b128 v1, v[6:9]
.LBB66_11:
	s_or_b32 exec_lo, exec_lo, s0
	s_delay_alu instid0(SALU_CYCLE_1)
	s_mov_b32 s0, exec_lo
	s_wait_dscnt 0x0
	;; [unrolled: 16-line block ×6, first 2 shown]
	s_barrier_signal -1
	s_barrier_wait -1
	v_cmpx_gt_u32_e32 2, v0
	s_cbranch_execz .LBB66_21
; %bb.20:
	ds_load_b128 v[6:9], v1
	ds_load_b128 v[10:13], v1 offset:32
	s_wait_dscnt 0x0
	v_add_f64_e32 v[6:7], v[10:11], v[6:7]
	v_add_f64_e32 v[8:9], v[12:13], v[8:9]
	ds_store_b128 v1, v[6:9]
.LBB66_21:
	s_or_b32 exec_lo, exec_lo, s0
	v_cmp_eq_u32_e32 vcc_lo, 0, v0
	s_wait_dscnt 0x0
	s_barrier_signal -1
	s_barrier_wait -1
	s_and_saveexec_b32 s0, vcc_lo
	s_cbranch_execz .LBB66_23
; %bb.22:
	v_mov_b32_e32 v0, 0
	ds_load_b128 v[6:9], v0
	ds_load_b128 v[10:13], v0 offset:16
	s_wait_dscnt 0x0
	v_add_f64_e32 v[6:7], v[10:11], v[6:7]
	v_add_f64_e32 v[8:9], v[12:13], v[8:9]
	ds_store_b128 v0, v[6:9]
.LBB66_23:
	s_or_b32 exec_lo, exec_lo, s0
	s_wait_dscnt 0x0
	s_barrier_signal -1
	s_barrier_wait -1
	s_and_b32 exec_lo, exec_lo, vcc_lo
	s_cbranch_execz .LBB66_27
; %bb.24:
	v_cmp_neq_f64_e32 vcc_lo, 0, v[2:3]
	v_cmp_neq_f64_e64 s0, 0, v[4:5]
	v_mov_b32_e32 v0, 0
	ds_load_b128 v[6:9], v0
	s_or_b32 s1, vcc_lo, s0
	s_delay_alu instid0(SALU_CYCLE_1)
	s_and_saveexec_b32 s0, s1
	s_cbranch_execz .LBB66_26
; %bb.25:
	s_lshl_b64 s[4:5], s[8:9], 4
	s_wait_kmcnt 0x0
	s_add_nc_u64 s[10:11], s[2:3], s[4:5]
	s_load_b128 s[4:7], s[10:11], 0x0
	s_wait_dscnt 0x0
	s_wait_kmcnt 0x0
	v_fmac_f64_e32 v[6:7], s[4:5], v[2:3]
	v_fmac_f64_e32 v[8:9], s[4:5], v[4:5]
	s_delay_alu instid0(VALU_DEP_2) | instskip(NEXT) | instid1(VALU_DEP_2)
	v_fma_f64 v[6:7], -v[4:5], s[6:7], v[6:7]
	v_fmac_f64_e32 v[8:9], s[6:7], v[2:3]
.LBB66_26:
	s_or_b32 exec_lo, exec_lo, s0
	s_lshl_b64 s[0:1], s[8:9], 4
	s_wait_kmcnt 0x0
	s_add_nc_u64 s[0:1], s[2:3], s[0:1]
	s_wait_dscnt 0x0
	global_store_b128 v0, v[6:9], s[0:1]
.LBB66_27:
	s_endpgm
	.section	.rodata,"a",@progbits
	.p2align	6, 0x0
	.amdhsa_kernel _ZN9rocsparseL29csrmvn_lrb_medium_rows_kernelILj256Eii21rocsparse_complex_numIdES2_S2_S2_EEvbT0_PT1_S5_jNS_24const_host_device_scalarIT5_EEPKS3_PKS4_PKT2_PKT3_S8_PT4_21rocsparse_index_base_b
		.amdhsa_group_segment_fixed_size 4096
		.amdhsa_private_segment_fixed_size 0
		.amdhsa_kernarg_size 112
		.amdhsa_user_sgpr_count 2
		.amdhsa_user_sgpr_dispatch_ptr 0
		.amdhsa_user_sgpr_queue_ptr 0
		.amdhsa_user_sgpr_kernarg_segment_ptr 1
		.amdhsa_user_sgpr_dispatch_id 0
		.amdhsa_user_sgpr_kernarg_preload_length 0
		.amdhsa_user_sgpr_kernarg_preload_offset 0
		.amdhsa_user_sgpr_private_segment_size 0
		.amdhsa_wavefront_size32 1
		.amdhsa_uses_dynamic_stack 0
		.amdhsa_enable_private_segment 0
		.amdhsa_system_sgpr_workgroup_id_x 1
		.amdhsa_system_sgpr_workgroup_id_y 0
		.amdhsa_system_sgpr_workgroup_id_z 0
		.amdhsa_system_sgpr_workgroup_info 0
		.amdhsa_system_vgpr_workitem_id 0
		.amdhsa_next_free_vgpr 24
		.amdhsa_next_free_sgpr 15
		.amdhsa_named_barrier_count 0
		.amdhsa_reserve_vcc 1
		.amdhsa_float_round_mode_32 0
		.amdhsa_float_round_mode_16_64 0
		.amdhsa_float_denorm_mode_32 3
		.amdhsa_float_denorm_mode_16_64 3
		.amdhsa_fp16_overflow 0
		.amdhsa_memory_ordered 1
		.amdhsa_forward_progress 1
		.amdhsa_inst_pref_size 11
		.amdhsa_round_robin_scheduling 0
		.amdhsa_exception_fp_ieee_invalid_op 0
		.amdhsa_exception_fp_denorm_src 0
		.amdhsa_exception_fp_ieee_div_zero 0
		.amdhsa_exception_fp_ieee_overflow 0
		.amdhsa_exception_fp_ieee_underflow 0
		.amdhsa_exception_fp_ieee_inexact 0
		.amdhsa_exception_int_div_zero 0
	.end_amdhsa_kernel
	.section	.text._ZN9rocsparseL29csrmvn_lrb_medium_rows_kernelILj256Eii21rocsparse_complex_numIdES2_S2_S2_EEvbT0_PT1_S5_jNS_24const_host_device_scalarIT5_EEPKS3_PKS4_PKT2_PKT3_S8_PT4_21rocsparse_index_base_b,"axG",@progbits,_ZN9rocsparseL29csrmvn_lrb_medium_rows_kernelILj256Eii21rocsparse_complex_numIdES2_S2_S2_EEvbT0_PT1_S5_jNS_24const_host_device_scalarIT5_EEPKS3_PKS4_PKT2_PKT3_S8_PT4_21rocsparse_index_base_b,comdat
.Lfunc_end66:
	.size	_ZN9rocsparseL29csrmvn_lrb_medium_rows_kernelILj256Eii21rocsparse_complex_numIdES2_S2_S2_EEvbT0_PT1_S5_jNS_24const_host_device_scalarIT5_EEPKS3_PKS4_PKT2_PKT3_S8_PT4_21rocsparse_index_base_b, .Lfunc_end66-_ZN9rocsparseL29csrmvn_lrb_medium_rows_kernelILj256Eii21rocsparse_complex_numIdES2_S2_S2_EEvbT0_PT1_S5_jNS_24const_host_device_scalarIT5_EEPKS3_PKS4_PKT2_PKT3_S8_PT4_21rocsparse_index_base_b
                                        ; -- End function
	.set _ZN9rocsparseL29csrmvn_lrb_medium_rows_kernelILj256Eii21rocsparse_complex_numIdES2_S2_S2_EEvbT0_PT1_S5_jNS_24const_host_device_scalarIT5_EEPKS3_PKS4_PKT2_PKT3_S8_PT4_21rocsparse_index_base_b.num_vgpr, 24
	.set _ZN9rocsparseL29csrmvn_lrb_medium_rows_kernelILj256Eii21rocsparse_complex_numIdES2_S2_S2_EEvbT0_PT1_S5_jNS_24const_host_device_scalarIT5_EEPKS3_PKS4_PKT2_PKT3_S8_PT4_21rocsparse_index_base_b.num_agpr, 0
	.set _ZN9rocsparseL29csrmvn_lrb_medium_rows_kernelILj256Eii21rocsparse_complex_numIdES2_S2_S2_EEvbT0_PT1_S5_jNS_24const_host_device_scalarIT5_EEPKS3_PKS4_PKT2_PKT3_S8_PT4_21rocsparse_index_base_b.numbered_sgpr, 15
	.set _ZN9rocsparseL29csrmvn_lrb_medium_rows_kernelILj256Eii21rocsparse_complex_numIdES2_S2_S2_EEvbT0_PT1_S5_jNS_24const_host_device_scalarIT5_EEPKS3_PKS4_PKT2_PKT3_S8_PT4_21rocsparse_index_base_b.num_named_barrier, 0
	.set _ZN9rocsparseL29csrmvn_lrb_medium_rows_kernelILj256Eii21rocsparse_complex_numIdES2_S2_S2_EEvbT0_PT1_S5_jNS_24const_host_device_scalarIT5_EEPKS3_PKS4_PKT2_PKT3_S8_PT4_21rocsparse_index_base_b.private_seg_size, 0
	.set _ZN9rocsparseL29csrmvn_lrb_medium_rows_kernelILj256Eii21rocsparse_complex_numIdES2_S2_S2_EEvbT0_PT1_S5_jNS_24const_host_device_scalarIT5_EEPKS3_PKS4_PKT2_PKT3_S8_PT4_21rocsparse_index_base_b.uses_vcc, 1
	.set _ZN9rocsparseL29csrmvn_lrb_medium_rows_kernelILj256Eii21rocsparse_complex_numIdES2_S2_S2_EEvbT0_PT1_S5_jNS_24const_host_device_scalarIT5_EEPKS3_PKS4_PKT2_PKT3_S8_PT4_21rocsparse_index_base_b.uses_flat_scratch, 0
	.set _ZN9rocsparseL29csrmvn_lrb_medium_rows_kernelILj256Eii21rocsparse_complex_numIdES2_S2_S2_EEvbT0_PT1_S5_jNS_24const_host_device_scalarIT5_EEPKS3_PKS4_PKT2_PKT3_S8_PT4_21rocsparse_index_base_b.has_dyn_sized_stack, 0
	.set _ZN9rocsparseL29csrmvn_lrb_medium_rows_kernelILj256Eii21rocsparse_complex_numIdES2_S2_S2_EEvbT0_PT1_S5_jNS_24const_host_device_scalarIT5_EEPKS3_PKS4_PKT2_PKT3_S8_PT4_21rocsparse_index_base_b.has_recursion, 0
	.set _ZN9rocsparseL29csrmvn_lrb_medium_rows_kernelILj256Eii21rocsparse_complex_numIdES2_S2_S2_EEvbT0_PT1_S5_jNS_24const_host_device_scalarIT5_EEPKS3_PKS4_PKT2_PKT3_S8_PT4_21rocsparse_index_base_b.has_indirect_call, 0
	.section	.AMDGPU.csdata,"",@progbits
; Kernel info:
; codeLenInByte = 1308
; TotalNumSgprs: 17
; NumVgprs: 24
; ScratchSize: 0
; MemoryBound: 0
; FloatMode: 240
; IeeeMode: 1
; LDSByteSize: 4096 bytes/workgroup (compile time only)
; SGPRBlocks: 0
; VGPRBlocks: 1
; NumSGPRsForWavesPerEU: 17
; NumVGPRsForWavesPerEU: 24
; NamedBarCnt: 0
; Occupancy: 16
; WaveLimiterHint : 1
; COMPUTE_PGM_RSRC2:SCRATCH_EN: 0
; COMPUTE_PGM_RSRC2:USER_SGPR: 2
; COMPUTE_PGM_RSRC2:TRAP_HANDLER: 0
; COMPUTE_PGM_RSRC2:TGID_X_EN: 1
; COMPUTE_PGM_RSRC2:TGID_Y_EN: 0
; COMPUTE_PGM_RSRC2:TGID_Z_EN: 0
; COMPUTE_PGM_RSRC2:TIDIG_COMP_CNT: 0
	.section	.text._ZN9rocsparseL27csrmvn_lrb_long_rows_kernelIii21rocsparse_complex_numIdES2_S2_S2_EEvbT_PjPT0_S6_jNS_24const_host_device_scalarIT4_EEPKS3_PKS5_PKT1_PKT2_S9_PT3_21rocsparse_index_base_b,"axG",@progbits,_ZN9rocsparseL27csrmvn_lrb_long_rows_kernelIii21rocsparse_complex_numIdES2_S2_S2_EEvbT_PjPT0_S6_jNS_24const_host_device_scalarIT4_EEPKS3_PKS5_PKT1_PKT2_S9_PT3_21rocsparse_index_base_b,comdat
	.globl	_ZN9rocsparseL27csrmvn_lrb_long_rows_kernelIii21rocsparse_complex_numIdES2_S2_S2_EEvbT_PjPT0_S6_jNS_24const_host_device_scalarIT4_EEPKS3_PKS5_PKT1_PKT2_S9_PT3_21rocsparse_index_base_b ; -- Begin function _ZN9rocsparseL27csrmvn_lrb_long_rows_kernelIii21rocsparse_complex_numIdES2_S2_S2_EEvbT_PjPT0_S6_jNS_24const_host_device_scalarIT4_EEPKS3_PKS5_PKT1_PKT2_S9_PT3_21rocsparse_index_base_b
	.p2align	8
	.type	_ZN9rocsparseL27csrmvn_lrb_long_rows_kernelIii21rocsparse_complex_numIdES2_S2_S2_EEvbT_PjPT0_S6_jNS_24const_host_device_scalarIT4_EEPKS3_PKS5_PKT1_PKT2_S9_PT3_21rocsparse_index_base_b,@function
_ZN9rocsparseL27csrmvn_lrb_long_rows_kernelIii21rocsparse_complex_numIdES2_S2_S2_EEvbT_PjPT0_S6_jNS_24const_host_device_scalarIT4_EEPKS3_PKS5_PKT1_PKT2_S9_PT3_21rocsparse_index_base_b: ; @_ZN9rocsparseL27csrmvn_lrb_long_rows_kernelIii21rocsparse_complex_numIdES2_S2_S2_EEvbT_PjPT0_S6_jNS_24const_host_device_scalarIT4_EEPKS3_PKS5_PKT1_PKT2_S9_PT3_21rocsparse_index_base_b
; %bb.0:
	s_clause 0x1
	s_load_b64 s[16:17], s[0:1], 0x70
	s_load_b64 s[2:3], s[0:1], 0x28
	v_mov_b32_e32 v1, 0
	s_add_nc_u64 s[4:5], s[0:1], 40
	s_load_b64 s[6:7], s[0:1], 0x58
	s_wait_kmcnt 0x0
	s_bitcmp1_b32 s17, 0
	s_cselect_b32 s3, s5, s3
	s_cselect_b32 s2, s4, s2
	flat_load_b128 v[2:5], v1, s[2:3]
	s_wait_xcnt 0x0
	s_add_nc_u64 s[2:3], s[0:1], 0x58
	s_delay_alu instid0(SALU_CYCLE_1)
	s_cselect_b32 s3, s3, s7
	s_cselect_b32 s2, s2, s6
	flat_load_b128 v[6:9], v1, s[2:3]
	s_wait_loadcnt_dscnt 0x101
	v_cmp_eq_f64_e32 vcc_lo, 0, v[2:3]
	s_wait_xcnt 0x0
	v_cmp_eq_f64_e64 s2, 0, v[4:5]
	s_and_b32 s4, vcc_lo, s2
	s_mov_b32 s2, -1
	s_and_saveexec_b32 s3, s4
	s_cbranch_execz .LBB67_2
; %bb.1:
	s_wait_loadcnt_dscnt 0x0
	v_cmp_neq_f64_e32 vcc_lo, 1.0, v[6:7]
	v_cmp_neq_f64_e64 s2, 0, v[8:9]
	s_or_b32 s2, vcc_lo, s2
	s_delay_alu instid0(SALU_CYCLE_1)
	s_or_not1_b32 s2, s2, exec_lo
.LBB67_2:
	s_or_b32 exec_lo, exec_lo, s3
	s_and_saveexec_b32 s3, s2
	s_cbranch_execz .LBB67_38
; %bb.3:
	s_load_b96 s[4:6], s[0:1], 0x18
	s_bfe_u32 s8, ttmp6, 0x4000c
	s_and_b32 s7, ttmp6, 15
	s_add_co_i32 s8, s8, 1
	s_getreg_b32 s9, hwreg(HW_REG_IB_STS2, 6, 4)
	s_mul_i32 s8, ttmp9, s8
	v_mov_b64_e32 v[10:11], 0
	s_add_co_i32 s7, s7, s8
	v_mov_b64_e32 v[12:13], 0
	s_wait_kmcnt 0x0
	s_lshl_b32 s2, -1, s6
	s_load_b32 s10, s[4:5], s6 offset:0x0 scale_offset
	s_not_b32 s2, s2
	s_delay_alu instid0(SALU_CYCLE_1) | instskip(NEXT) | instid1(SALU_CYCLE_1)
	s_mul_hi_u32 s2, s2, 0x2aaaaaab
	s_lshr_b32 s2, s2, 7
	s_delay_alu instid0(SALU_CYCLE_1) | instskip(SKIP_2) | instid1(SALU_CYCLE_3)
	s_add_co_i32 s20, s2, 1
	s_not_b32 s2, s2
	s_cvt_f32_u32 s3, s20
	v_rcp_iflag_f32_e32 v1, s3
	v_nop
	s_delay_alu instid0(TRANS32_DEP_1) | instskip(SKIP_1) | instid1(SALU_CYCLE_3)
	v_readfirstlane_b32 s3, v1
	s_mul_f32 s3, s3, 0x4f7ffffe
	s_cvt_u32_f32 s3, s3
	s_delay_alu instid0(SALU_CYCLE_3) | instskip(NEXT) | instid1(SALU_CYCLE_1)
	s_mul_i32 s2, s2, s3
	s_mul_hi_u32 s2, s3, s2
	s_delay_alu instid0(SALU_CYCLE_1)
	s_add_co_i32 s3, s3, s2
	s_cmp_eq_u32 s9, 0
	s_cselect_b32 s8, ttmp9, s7
	s_wait_xcnt 0x0
	s_load_b128 s[4:7], s[0:1], 0x8
	s_mul_hi_u32 s2, s8, s3
	s_delay_alu instid0(SALU_CYCLE_1) | instskip(SKIP_2) | instid1(SALU_CYCLE_1)
	s_mul_i32 s3, s2, s20
	s_add_co_i32 s9, s2, 1
	s_sub_co_i32 s3, s8, s3
	s_sub_co_i32 s11, s3, s20
	s_cmp_ge_u32 s3, s20
	s_cselect_b32 s2, s9, s2
	s_cselect_b32 s3, s11, s3
	s_add_co_i32 s9, s2, 1
	s_cmp_ge_u32 s3, s20
	s_cselect_b32 s21, s9, s2
	s_ashr_i32 s9, s8, 31
	s_wait_kmcnt 0x0
	s_add_co_i32 s2, s21, s10
	s_lshl_b64 s[14:15], s[8:9], 2
	s_ashr_i32 s3, s2, 31
	s_delay_alu instid0(SALU_CYCLE_1) | instskip(NEXT) | instid1(SALU_CYCLE_1)
	s_lshl_b64 s[2:3], s[2:3], 2
	s_add_nc_u64 s[10:11], s[6:7], s[2:3]
	s_load_b32 s2, s[10:11], 0x0
	s_clause 0x1
	s_load_b64 s[12:13], s[0:1], 0x38
	s_load_b64 s[6:7], s[0:1], 0x68
	s_wait_kmcnt 0x0
	s_ashr_i32 s3, s2, 31
	s_delay_alu instid0(SALU_CYCLE_1) | instskip(NEXT) | instid1(SALU_CYCLE_1)
	s_lshl_b64 s[10:11], s[2:3], 2
	s_add_nc_u64 s[10:11], s[12:13], s[10:11]
	s_add_nc_u64 s[12:13], s[4:5], s[14:15]
	s_load_b64 s[18:19], s[10:11], 0x0
	s_load_b32 s17, s[12:13], 0x0
	s_mul_i32 s14, s21, s20
	s_mov_b32 s20, exec_lo
	s_sub_co_i32 s15, s8, s14
	s_delay_alu instid0(SALU_CYCLE_1) | instskip(NEXT) | instid1(VALU_DEP_1)
	v_or_b32_e32 v1, s15, v0
	v_cmpx_eq_u32_e32 0, v1
	s_cbranch_execz .LBB67_7
; %bb.4:
	s_wait_loadcnt_dscnt 0x0
	v_add_f64_e32 v[6:7], -1.0, v[6:7]
	s_lshl_b64 s[8:9], s[2:3], 4
	s_mov_b32 s21, exec_lo
	s_add_nc_u64 s[22:23], s[6:7], s[8:9]
	v_mbcnt_lo_u32_b32 v1, s21, 0
	s_wait_xcnt 0x0
	s_load_b128 s[8:11], s[22:23], 0x0
	global_wb scope:SCOPE_DEV
	s_wait_storecnt 0x0
	global_inv scope:SCOPE_DEV
	s_wait_kmcnt 0x0
	v_mul_f64_e64 v[10:11], s[10:11], -v[8:9]
	v_mul_f64_e32 v[12:13], s[10:11], v[6:7]
	s_mov_b32 s10, exec_lo
	v_cmpx_eq_u32_e32 0, v1
	s_cbranch_execz .LBB67_6
; %bb.5:
	s_bcnt1_i32_b32 s11, s21
	s_delay_alu instid0(SALU_CYCLE_1) | instskip(NEXT) | instid1(SALU_CYCLE_1)
	s_and_b32 s11, s11, 1
	v_dual_mov_b32 v1, s14 :: v_dual_mov_b32 v14, s11
	global_atomic_xor_b32 v1, v14, s[4:5] scale_offset scope:SCOPE_DEV
.LBB67_6:
	s_wait_xcnt 0x0
	s_or_b32 exec_lo, exec_lo, s10
	s_delay_alu instid0(VALU_DEP_3) | instskip(NEXT) | instid1(VALU_DEP_3)
	v_fmac_f64_e32 v[10:11], s[8:9], v[6:7]
	v_fmac_f64_e32 v[12:13], s[8:9], v[8:9]
.LBB67_7:
	s_or_b32 exec_lo, exec_lo, s20
	s_mul_i32 s8, s15, 0x300
	s_wait_kmcnt 0x0
	s_sub_co_i32 s9, s19, s16
	s_sub_co_i32 s8, s8, s16
	s_mov_b32 s20, exec_lo
	s_add_co_i32 s8, s8, s18
	s_delay_alu instid0(SALU_CYCLE_1) | instskip(SKIP_1) | instid1(SALU_CYCLE_1)
	v_add_nc_u32_e32 v1, s8, v0
	s_addk_co_i32 s8, 0x300
	s_min_i32 s21, s8, s9
	s_delay_alu instid0(VALU_DEP_1) | instid1(SALU_CYCLE_1)
	v_cmpx_gt_i32_e64 s21, v1
	s_cbranch_execz .LBB67_11
; %bb.8:
	s_clause 0x2
	s_load_b32 s22, s[0:1], 0x0
	s_load_b128 s[8:11], s[0:1], 0x40
	s_load_b64 s[18:19], s[0:1], 0x50
	s_wait_xcnt 0x0
	s_mov_b32 s1, 0
	s_wait_kmcnt 0x0
	s_bitcmp1_b32 s22, 0
	s_cselect_b32 vcc_lo, -1, 0
.LBB67_9:                               ; =>This Inner Loop Header: Depth=1
	global_load_b32 v14, v1, s[8:9] scale_offset
	s_wait_loadcnt_dscnt 0x100
	global_load_b128 v[6:9], v1, s[10:11] scale_offset
	s_wait_xcnt 0x0
	v_add_nc_u32_e32 v1, 0x100, v1
	s_delay_alu instid0(VALU_DEP_1)
	v_cmp_le_i32_e64 s0, s21, v1
	s_or_b32 s1, s0, s1
	s_wait_loadcnt 0x1
	v_subrev_nc_u32_e32 v14, s16, v14
	s_wait_loadcnt 0x0
	v_xor_b32_e32 v18, 0x80000000, v9
	global_load_b128 v[14:17], v14, s[18:19] scale_offset
	v_cndmask_b32_e32 v9, v9, v18, vcc_lo
	s_delay_alu instid0(VALU_DEP_1) | instskip(SKIP_1) | instid1(VALU_DEP_2)
	v_mul_f64_e64 v[18:19], v[8:9], -v[4:5]
	v_mul_f64_e32 v[8:9], v[2:3], v[8:9]
	v_fmac_f64_e32 v[18:19], v[2:3], v[6:7]
	s_delay_alu instid0(VALU_DEP_2) | instskip(SKIP_1) | instid1(VALU_DEP_2)
	v_fmac_f64_e32 v[8:9], v[4:5], v[6:7]
	s_wait_loadcnt 0x0
	v_fmac_f64_e32 v[10:11], v[18:19], v[14:15]
	s_delay_alu instid0(VALU_DEP_2) | instskip(NEXT) | instid1(VALU_DEP_2)
	v_fmac_f64_e32 v[12:13], v[8:9], v[14:15]
	v_fma_f64 v[10:11], -v[8:9], v[16:17], v[10:11]
	s_delay_alu instid0(VALU_DEP_2)
	v_fmac_f64_e32 v[12:13], v[18:19], v[16:17]
	s_wait_xcnt 0x0
	s_and_not1_b32 exec_lo, exec_lo, s1
	s_cbranch_execnz .LBB67_9
; %bb.10:
	s_or_b32 exec_lo, exec_lo, s1
.LBB67_11:
	s_delay_alu instid0(SALU_CYCLE_1)
	s_or_b32 exec_lo, exec_lo, s20
	v_lshlrev_b32_e32 v1, 4, v0
	s_mov_b32 s0, exec_lo
	ds_store_b128 v1, v[10:13]
	s_wait_storecnt 0x0
	s_wait_loadcnt_dscnt 0x0
	s_barrier_signal -1
	s_barrier_wait -1
	v_cmpx_gt_u32_e32 0x80, v0
	s_cbranch_execz .LBB67_13
; %bb.12:
	ds_load_b128 v[2:5], v1 offset:2048
	ds_load_b128 v[6:9], v1
	s_wait_dscnt 0x0
	v_add_f64_e32 v[2:3], v[2:3], v[6:7]
	v_add_f64_e32 v[4:5], v[4:5], v[8:9]
	ds_store_b128 v1, v[2:5]
.LBB67_13:
	s_or_b32 exec_lo, exec_lo, s0
	s_delay_alu instid0(SALU_CYCLE_1)
	s_mov_b32 s0, exec_lo
	s_wait_dscnt 0x0
	s_barrier_signal -1
	s_barrier_wait -1
	v_cmpx_gt_u32_e32 64, v0
	s_cbranch_execz .LBB67_15
; %bb.14:
	ds_load_b128 v[2:5], v1 offset:1024
	ds_load_b128 v[6:9], v1
	s_wait_dscnt 0x0
	v_add_f64_e32 v[2:3], v[2:3], v[6:7]
	v_add_f64_e32 v[4:5], v[4:5], v[8:9]
	ds_store_b128 v1, v[2:5]
.LBB67_15:
	s_or_b32 exec_lo, exec_lo, s0
	s_delay_alu instid0(SALU_CYCLE_1)
	s_mov_b32 s0, exec_lo
	s_wait_dscnt 0x0
	;; [unrolled: 16-line block ×6, first 2 shown]
	s_barrier_signal -1
	s_barrier_wait -1
	v_cmpx_gt_u32_e32 2, v0
	s_cbranch_execz .LBB67_25
; %bb.24:
	ds_load_b128 v[2:5], v1
	ds_load_b128 v[6:9], v1 offset:32
	s_wait_dscnt 0x0
	v_add_f64_e32 v[2:3], v[6:7], v[2:3]
	v_add_f64_e32 v[4:5], v[8:9], v[4:5]
	ds_store_b128 v1, v[2:5]
.LBB67_25:
	s_or_b32 exec_lo, exec_lo, s0
	v_cmp_eq_u32_e32 vcc_lo, 0, v0
	s_wait_dscnt 0x0
	s_barrier_signal -1
	s_barrier_wait -1
	s_and_saveexec_b32 s0, vcc_lo
	s_cbranch_execz .LBB67_27
; %bb.26:
	v_mov_b32_e32 v8, 0
	ds_load_b128 v[0:3], v8
	ds_load_b128 v[4:7], v8 offset:16
	s_wait_dscnt 0x0
	v_add_f64_e32 v[0:1], v[4:5], v[0:1]
	v_add_f64_e32 v[2:3], v[6:7], v[2:3]
	ds_store_b128 v8, v[0:3]
.LBB67_27:
	s_or_b32 exec_lo, exec_lo, s0
	s_wait_dscnt 0x0
	s_barrier_signal -1
	s_barrier_wait -1
	s_and_b32 exec_lo, exec_lo, vcc_lo
	s_cbranch_execz .LBB67_38
; %bb.28:
	s_cmp_eq_u32 s15, 0
	s_cbranch_scc1 .LBB67_34
; %bb.29:
	s_ashr_i32 s15, s14, 31
	v_mov_b32_e32 v0, 0
	s_lshl_b64 s[0:1], s[14:15], 2
	s_delay_alu instid0(SALU_CYCLE_1)
	s_add_nc_u64 s[0:1], s[4:5], s[0:1]
	s_branch .LBB67_31
.LBB67_30:                              ;   in Loop: Header=BB67_31 Depth=1
	s_wait_xcnt 0x0
	s_or_b32 exec_lo, exec_lo, s4
	s_wait_loadcnt 0x0
	v_readfirstlane_b32 s4, v1
	s_cmp_eq_u32 s4, s17
	s_cbranch_scc0 .LBB67_33
.LBB67_31:                              ; =>This Inner Loop Header: Depth=1
	v_mbcnt_lo_u32_b32 v1, exec_lo, 0
	s_delay_alu instid0(VALU_DEP_1)
	v_cmp_eq_u32_e32 vcc_lo, 0, v1
                                        ; implicit-def: $vgpr1
	s_and_saveexec_b32 s4, vcc_lo
	s_cbranch_execz .LBB67_30
; %bb.32:                               ;   in Loop: Header=BB67_31 Depth=1
	global_load_b32 v1, v0, s[0:1] scope:SCOPE_DEV
	s_branch .LBB67_30
.LBB67_33:
	v_mov_b32_e32 v0, 0
	global_load_u16 v1, v0, s[12:13]
	s_wait_loadcnt 0x0
	v_xor_b32_e32 v1, 1, v1
	global_store_b16 v0, v1, s[12:13]
.LBB67_34:
	v_mov_b32_e32 v4, 0
	s_mov_b32 s4, exec_lo
	s_lshl_b64 s[0:1], s[2:3], 4
	v_mbcnt_lo_u32_b32 v5, s4, 0
	s_add_nc_u64 s[0:1], s[6:7], s[0:1]
	s_wait_xcnt 0x0
	ds_load_b128 v[0:3], v4
	s_mov_b32 s2, exec_lo
	v_cmpx_eq_u32_e32 0, v5
	s_cbranch_execz .LBB67_36
; %bb.35:
	s_bcnt1_i32_b32 s3, s4
	s_delay_alu instid0(SALU_CYCLE_1) | instskip(SKIP_1) | instid1(VALU_DEP_1)
	v_cvt_f64_u32_e32 v[6:7], s3
	s_wait_dscnt 0x0
	v_mul_f64_e32 v[0:1], v[0:1], v[6:7]
	global_atomic_add_f64 v4, v[0:1], s[0:1] scope:SCOPE_DEV
.LBB67_36:
	s_wait_xcnt 0x0
	s_or_b32 exec_lo, exec_lo, s2
	s_delay_alu instid0(SALU_CYCLE_1) | instskip(SKIP_2) | instid1(VALU_DEP_1)
	s_mov_b32 s2, exec_lo
	s_wait_dscnt 0x0
	v_mbcnt_lo_u32_b32 v0, s2, 0
	v_cmp_eq_u32_e32 vcc_lo, 0, v0
	s_and_b32 s3, exec_lo, vcc_lo
	s_delay_alu instid0(SALU_CYCLE_1)
	s_mov_b32 exec_lo, s3
	s_cbranch_execz .LBB67_38
; %bb.37:
	s_bcnt1_i32_b32 s2, s2
	s_delay_alu instid0(SALU_CYCLE_1) | instskip(NEXT) | instid1(VALU_DEP_1)
	v_cvt_f64_u32_e32 v[0:1], s2
	v_dual_mul_f64 v[0:1], v[2:3], v[0:1] :: v_dual_mov_b32 v2, 0
	global_atomic_add_f64 v2, v[0:1], s[0:1] offset:8 scope:SCOPE_DEV
.LBB67_38:
	s_endpgm
	.section	.rodata,"a",@progbits
	.p2align	6, 0x0
	.amdhsa_kernel _ZN9rocsparseL27csrmvn_lrb_long_rows_kernelIii21rocsparse_complex_numIdES2_S2_S2_EEvbT_PjPT0_S6_jNS_24const_host_device_scalarIT4_EEPKS3_PKS5_PKT1_PKT2_S9_PT3_21rocsparse_index_base_b
		.amdhsa_group_segment_fixed_size 4096
		.amdhsa_private_segment_fixed_size 0
		.amdhsa_kernarg_size 120
		.amdhsa_user_sgpr_count 2
		.amdhsa_user_sgpr_dispatch_ptr 0
		.amdhsa_user_sgpr_queue_ptr 0
		.amdhsa_user_sgpr_kernarg_segment_ptr 1
		.amdhsa_user_sgpr_dispatch_id 0
		.amdhsa_user_sgpr_kernarg_preload_length 0
		.amdhsa_user_sgpr_kernarg_preload_offset 0
		.amdhsa_user_sgpr_private_segment_size 0
		.amdhsa_wavefront_size32 1
		.amdhsa_uses_dynamic_stack 0
		.amdhsa_enable_private_segment 0
		.amdhsa_system_sgpr_workgroup_id_x 1
		.amdhsa_system_sgpr_workgroup_id_y 0
		.amdhsa_system_sgpr_workgroup_id_z 0
		.amdhsa_system_sgpr_workgroup_info 0
		.amdhsa_system_vgpr_workitem_id 0
		.amdhsa_next_free_vgpr 20
		.amdhsa_next_free_sgpr 24
		.amdhsa_named_barrier_count 0
		.amdhsa_reserve_vcc 1
		.amdhsa_float_round_mode_32 0
		.amdhsa_float_round_mode_16_64 0
		.amdhsa_float_denorm_mode_32 3
		.amdhsa_float_denorm_mode_16_64 3
		.amdhsa_fp16_overflow 0
		.amdhsa_memory_ordered 1
		.amdhsa_forward_progress 1
		.amdhsa_inst_pref_size 15
		.amdhsa_round_robin_scheduling 0
		.amdhsa_exception_fp_ieee_invalid_op 0
		.amdhsa_exception_fp_denorm_src 0
		.amdhsa_exception_fp_ieee_div_zero 0
		.amdhsa_exception_fp_ieee_overflow 0
		.amdhsa_exception_fp_ieee_underflow 0
		.amdhsa_exception_fp_ieee_inexact 0
		.amdhsa_exception_int_div_zero 0
	.end_amdhsa_kernel
	.section	.text._ZN9rocsparseL27csrmvn_lrb_long_rows_kernelIii21rocsparse_complex_numIdES2_S2_S2_EEvbT_PjPT0_S6_jNS_24const_host_device_scalarIT4_EEPKS3_PKS5_PKT1_PKT2_S9_PT3_21rocsparse_index_base_b,"axG",@progbits,_ZN9rocsparseL27csrmvn_lrb_long_rows_kernelIii21rocsparse_complex_numIdES2_S2_S2_EEvbT_PjPT0_S6_jNS_24const_host_device_scalarIT4_EEPKS3_PKS5_PKT1_PKT2_S9_PT3_21rocsparse_index_base_b,comdat
.Lfunc_end67:
	.size	_ZN9rocsparseL27csrmvn_lrb_long_rows_kernelIii21rocsparse_complex_numIdES2_S2_S2_EEvbT_PjPT0_S6_jNS_24const_host_device_scalarIT4_EEPKS3_PKS5_PKT1_PKT2_S9_PT3_21rocsparse_index_base_b, .Lfunc_end67-_ZN9rocsparseL27csrmvn_lrb_long_rows_kernelIii21rocsparse_complex_numIdES2_S2_S2_EEvbT_PjPT0_S6_jNS_24const_host_device_scalarIT4_EEPKS3_PKS5_PKT1_PKT2_S9_PT3_21rocsparse_index_base_b
                                        ; -- End function
	.set _ZN9rocsparseL27csrmvn_lrb_long_rows_kernelIii21rocsparse_complex_numIdES2_S2_S2_EEvbT_PjPT0_S6_jNS_24const_host_device_scalarIT4_EEPKS3_PKS5_PKT1_PKT2_S9_PT3_21rocsparse_index_base_b.num_vgpr, 20
	.set _ZN9rocsparseL27csrmvn_lrb_long_rows_kernelIii21rocsparse_complex_numIdES2_S2_S2_EEvbT_PjPT0_S6_jNS_24const_host_device_scalarIT4_EEPKS3_PKS5_PKT1_PKT2_S9_PT3_21rocsparse_index_base_b.num_agpr, 0
	.set _ZN9rocsparseL27csrmvn_lrb_long_rows_kernelIii21rocsparse_complex_numIdES2_S2_S2_EEvbT_PjPT0_S6_jNS_24const_host_device_scalarIT4_EEPKS3_PKS5_PKT1_PKT2_S9_PT3_21rocsparse_index_base_b.numbered_sgpr, 24
	.set _ZN9rocsparseL27csrmvn_lrb_long_rows_kernelIii21rocsparse_complex_numIdES2_S2_S2_EEvbT_PjPT0_S6_jNS_24const_host_device_scalarIT4_EEPKS3_PKS5_PKT1_PKT2_S9_PT3_21rocsparse_index_base_b.num_named_barrier, 0
	.set _ZN9rocsparseL27csrmvn_lrb_long_rows_kernelIii21rocsparse_complex_numIdES2_S2_S2_EEvbT_PjPT0_S6_jNS_24const_host_device_scalarIT4_EEPKS3_PKS5_PKT1_PKT2_S9_PT3_21rocsparse_index_base_b.private_seg_size, 0
	.set _ZN9rocsparseL27csrmvn_lrb_long_rows_kernelIii21rocsparse_complex_numIdES2_S2_S2_EEvbT_PjPT0_S6_jNS_24const_host_device_scalarIT4_EEPKS3_PKS5_PKT1_PKT2_S9_PT3_21rocsparse_index_base_b.uses_vcc, 1
	.set _ZN9rocsparseL27csrmvn_lrb_long_rows_kernelIii21rocsparse_complex_numIdES2_S2_S2_EEvbT_PjPT0_S6_jNS_24const_host_device_scalarIT4_EEPKS3_PKS5_PKT1_PKT2_S9_PT3_21rocsparse_index_base_b.uses_flat_scratch, 0
	.set _ZN9rocsparseL27csrmvn_lrb_long_rows_kernelIii21rocsparse_complex_numIdES2_S2_S2_EEvbT_PjPT0_S6_jNS_24const_host_device_scalarIT4_EEPKS3_PKS5_PKT1_PKT2_S9_PT3_21rocsparse_index_base_b.has_dyn_sized_stack, 0
	.set _ZN9rocsparseL27csrmvn_lrb_long_rows_kernelIii21rocsparse_complex_numIdES2_S2_S2_EEvbT_PjPT0_S6_jNS_24const_host_device_scalarIT4_EEPKS3_PKS5_PKT1_PKT2_S9_PT3_21rocsparse_index_base_b.has_recursion, 0
	.set _ZN9rocsparseL27csrmvn_lrb_long_rows_kernelIii21rocsparse_complex_numIdES2_S2_S2_EEvbT_PjPT0_S6_jNS_24const_host_device_scalarIT4_EEPKS3_PKS5_PKT1_PKT2_S9_PT3_21rocsparse_index_base_b.has_indirect_call, 0
	.section	.AMDGPU.csdata,"",@progbits
; Kernel info:
; codeLenInByte = 1832
; TotalNumSgprs: 26
; NumVgprs: 20
; ScratchSize: 0
; MemoryBound: 0
; FloatMode: 240
; IeeeMode: 1
; LDSByteSize: 4096 bytes/workgroup (compile time only)
; SGPRBlocks: 0
; VGPRBlocks: 1
; NumSGPRsForWavesPerEU: 26
; NumVGPRsForWavesPerEU: 20
; NamedBarCnt: 0
; Occupancy: 16
; WaveLimiterHint : 1
; COMPUTE_PGM_RSRC2:SCRATCH_EN: 0
; COMPUTE_PGM_RSRC2:USER_SGPR: 2
; COMPUTE_PGM_RSRC2:TRAP_HANDLER: 0
; COMPUTE_PGM_RSRC2:TGID_X_EN: 1
; COMPUTE_PGM_RSRC2:TGID_Y_EN: 0
; COMPUTE_PGM_RSRC2:TGID_Z_EN: 0
; COMPUTE_PGM_RSRC2:TIDIG_COMP_CNT: 0
	.section	.text._ZN9rocsparseL28csrmvn_lrb_short_rows_kernelIli21rocsparse_complex_numIdES2_S2_S2_EEvbT_PT0_S5_jNS_24const_host_device_scalarIT4_EEPKS3_PKS4_PKT1_PKT2_S8_PT3_21rocsparse_index_base_b,"axG",@progbits,_ZN9rocsparseL28csrmvn_lrb_short_rows_kernelIli21rocsparse_complex_numIdES2_S2_S2_EEvbT_PT0_S5_jNS_24const_host_device_scalarIT4_EEPKS3_PKS4_PKT1_PKT2_S8_PT3_21rocsparse_index_base_b,comdat
	.globl	_ZN9rocsparseL28csrmvn_lrb_short_rows_kernelIli21rocsparse_complex_numIdES2_S2_S2_EEvbT_PT0_S5_jNS_24const_host_device_scalarIT4_EEPKS3_PKS4_PKT1_PKT2_S8_PT3_21rocsparse_index_base_b ; -- Begin function _ZN9rocsparseL28csrmvn_lrb_short_rows_kernelIli21rocsparse_complex_numIdES2_S2_S2_EEvbT_PT0_S5_jNS_24const_host_device_scalarIT4_EEPKS3_PKS4_PKT1_PKT2_S8_PT3_21rocsparse_index_base_b
	.p2align	8
	.type	_ZN9rocsparseL28csrmvn_lrb_short_rows_kernelIli21rocsparse_complex_numIdES2_S2_S2_EEvbT_PT0_S5_jNS_24const_host_device_scalarIT4_EEPKS3_PKS4_PKT1_PKT2_S8_PT3_21rocsparse_index_base_b,@function
_ZN9rocsparseL28csrmvn_lrb_short_rows_kernelIli21rocsparse_complex_numIdES2_S2_S2_EEvbT_PT0_S5_jNS_24const_host_device_scalarIT4_EEPKS3_PKS4_PKT1_PKT2_S8_PT3_21rocsparse_index_base_b: ; @_ZN9rocsparseL28csrmvn_lrb_short_rows_kernelIli21rocsparse_complex_numIdES2_S2_S2_EEvbT_PT0_S5_jNS_24const_host_device_scalarIT4_EEPKS3_PKS4_PKT1_PKT2_S8_PT3_21rocsparse_index_base_b
; %bb.0:
	s_clause 0x1
	s_load_b64 s[16:17], s[0:1], 0x70
	s_load_b64 s[2:3], s[0:1], 0x28
	v_mov_b32_e32 v1, 0
	s_add_nc_u64 s[4:5], s[0:1], 40
	s_load_b64 s[6:7], s[0:1], 0x58
	s_wait_kmcnt 0x0
	s_bitcmp1_b32 s17, 0
	s_cselect_b32 s3, s5, s3
	s_cselect_b32 s2, s4, s2
	flat_load_b128 v[6:9], v1, s[2:3]
	s_wait_xcnt 0x0
	s_add_nc_u64 s[2:3], s[0:1], 0x58
	s_delay_alu instid0(SALU_CYCLE_1)
	s_cselect_b32 s3, s3, s7
	s_cselect_b32 s2, s2, s6
	flat_load_b128 v[2:5], v1, s[2:3]
	s_wait_loadcnt_dscnt 0x101
	v_cmp_eq_f64_e32 vcc_lo, 0, v[6:7]
	s_wait_xcnt 0x0
	v_cmp_eq_f64_e64 s2, 0, v[8:9]
	s_and_b32 s4, vcc_lo, s2
	s_mov_b32 s2, -1
	s_and_saveexec_b32 s3, s4
	s_cbranch_execz .LBB68_2
; %bb.1:
	s_wait_loadcnt_dscnt 0x0
	v_cmp_neq_f64_e32 vcc_lo, 1.0, v[2:3]
	v_cmp_neq_f64_e64 s2, 0, v[4:5]
	s_or_b32 s2, vcc_lo, s2
	s_delay_alu instid0(SALU_CYCLE_1)
	s_or_not1_b32 s2, s2, exec_lo
.LBB68_2:
	s_or_b32 exec_lo, exec_lo, s3
	s_and_saveexec_b32 s3, s2
	s_cbranch_execz .LBB68_16
; %bb.3:
	s_clause 0x1
	s_load_b32 s18, s[0:1], 0x20
	s_load_b128 s[12:15], s[0:1], 0x10
	s_and_b32 s5, ttmp6, 15
	s_getreg_b32 s6, hwreg(HW_REG_IB_STS2, 6, 4)
	s_mov_b32 s17, 0
	s_wait_kmcnt 0x0
	s_add_co_i32 s2, s18, 1
	s_clause 0x1
	s_load_b32 s3, s[14:15], s18 offset:0x0 scale_offset
	s_load_b32 s4, s[14:15], s2 offset:0x0 scale_offset
	s_wait_xcnt 0x0
	s_bfe_u32 s2, ttmp6, 0x4000c
	s_delay_alu instid0(SALU_CYCLE_1) | instskip(NEXT) | instid1(SALU_CYCLE_1)
	s_add_co_i32 s2, s2, 1
	s_mul_i32 s2, ttmp9, s2
	s_delay_alu instid0(SALU_CYCLE_1) | instskip(SKIP_4) | instid1(SALU_CYCLE_1)
	s_add_co_i32 s5, s5, s2
	s_wait_kmcnt 0x0
	s_sub_co_i32 s4, s4, s3
	s_cmp_eq_u32 s6, 0
	s_cselect_b32 s2, ttmp9, s5
	s_lshl_b32 s14, s2, 8
	s_delay_alu instid0(SALU_CYCLE_1) | instskip(NEXT) | instid1(SALU_CYCLE_1)
	s_add_co_i32 s2, s14, 0x100
	s_min_u32 s15, s4, s2
	s_cmp_gt_u32 s18, 23
	s_cbranch_scc1 .LBB68_10
; %bb.4:
	s_clause 0x1
	s_load_b32 s2, s[0:1], 0x0
	s_load_b256 s[4:11], s[0:1], 0x38
	s_lshl_b32 s19, 0x100, s18
	v_bfe_u32 v14, v0, 0, s18
	v_mov_b32_e32 v15, 0
	v_lshl_add_u32 v1, v0, 4, 0
	s_mov_b32 s20, s17
	s_wait_kmcnt 0x0
	s_bitcmp1_b32 s2, 0
	s_cselect_b32 vcc_lo, -1, 0
	s_branch .LBB68_7
.LBB68_5:                               ;   in Loop: Header=BB68_7 Depth=1
	s_or_b32 exec_lo, exec_lo, s22
	ds_store_2addr_b64 v1, v[12:13], v[16:17] offset1:1
.LBB68_6:                               ;   in Loop: Header=BB68_7 Depth=1
	s_or_b32 exec_lo, exec_lo, s21
	v_add_nc_u32_e32 v1, 0x1000, v1
	s_addk_co_i32 s20, 0x100
	s_delay_alu instid0(SALU_CYCLE_1)
	s_cmp_ge_u32 s20, s19
	s_cbranch_scc1 .LBB68_10
.LBB68_7:                               ; =>This Inner Loop Header: Depth=1
	v_add_nc_u32_e32 v10, s20, v0
	s_mov_b32 s21, exec_lo
	s_delay_alu instid0(VALU_DEP_1) | instskip(NEXT) | instid1(VALU_DEP_1)
	v_lshrrev_b32_e32 v10, s18, v10
	v_add_nc_u32_e32 v10, s14, v10
	s_delay_alu instid0(VALU_DEP_1)
	v_cmpx_gt_u32_e64 s15, v10
	s_cbranch_execz .LBB68_6
; %bb.8:                                ;   in Loop: Header=BB68_7 Depth=1
	v_add_nc_u32_e32 v10, s3, v10
	global_load_b32 v10, v10, s[12:13] scale_offset
	s_wait_loadcnt 0x0
	v_ashrrev_i32_e32 v11, 31, v10
	s_wait_xcnt 0x0
	s_delay_alu instid0(VALU_DEP_1) | instskip(SKIP_4) | instid1(VALU_DEP_2)
	v_lshl_add_u64 v[10:11], v[10:11], 3, s[4:5]
	global_load_b128 v[10:13], v[10:11], off
	s_wait_loadcnt 0x0
	v_sub_nc_u64_e32 v[16:17], v[12:13], v[10:11]
	v_mov_b64_e32 v[12:13], 0
	v_cmp_gt_i64_e64 s2, v[16:17], v[14:15]
	v_mov_b64_e32 v[16:17], 0
	s_wait_xcnt 0x0
	s_and_saveexec_b32 s22, s2
	s_cbranch_execz .LBB68_5
; %bb.9:                                ;   in Loop: Header=BB68_7 Depth=1
	v_sub_nc_u64_e64 v[10:11], v[10:11], s[16:17]
	s_delay_alu instid0(VALU_DEP_1) | instskip(NEXT) | instid1(VALU_DEP_1)
	v_add_nc_u64_e32 v[10:11], v[10:11], v[14:15]
	v_lshl_add_u64 v[12:13], v[10:11], 2, s[6:7]
	v_lshl_add_u64 v[10:11], v[10:11], 4, s[8:9]
	global_load_b32 v16, v[12:13], off
	global_load_b128 v[10:13], v[10:11], off
	s_wait_loadcnt 0x1
	v_subrev_nc_u32_e32 v16, s16, v16
	global_load_b128 v[18:21], v16, s[10:11] scale_offset
	s_wait_loadcnt 0x1
	s_wait_xcnt 0x0
	v_xor_b32_e32 v16, 0x80000000, v13
	s_delay_alu instid0(VALU_DEP_1) | instskip(NEXT) | instid1(VALU_DEP_1)
	v_cndmask_b32_e32 v13, v13, v16, vcc_lo
	v_mul_f64_e32 v[22:23], v[6:7], v[12:13]
	v_mul_f64_e64 v[24:25], v[12:13], -v[8:9]
	s_delay_alu instid0(VALU_DEP_2) | instskip(NEXT) | instid1(VALU_DEP_2)
	v_fmac_f64_e32 v[22:23], v[8:9], v[10:11]
	v_fmac_f64_e32 v[24:25], v[6:7], v[10:11]
	s_wait_loadcnt 0x0
	s_delay_alu instid0(VALU_DEP_2) | instskip(NEXT) | instid1(VALU_DEP_2)
	v_mul_f64_e64 v[12:13], v[20:21], -v[22:23]
	v_mul_f64_e32 v[16:17], v[20:21], v[24:25]
	s_delay_alu instid0(VALU_DEP_2) | instskip(NEXT) | instid1(VALU_DEP_2)
	v_fmac_f64_e32 v[12:13], v[24:25], v[18:19]
	v_fmac_f64_e32 v[16:17], v[22:23], v[18:19]
	s_branch .LBB68_5
.LBB68_10:
	s_sub_co_i32 s2, s15, s14
	s_wait_loadcnt_dscnt 0x0
	v_cmp_gt_u32_e32 vcc_lo, s2, v0
	s_barrier_signal -1
	s_barrier_wait -1
	s_and_b32 exec_lo, exec_lo, vcc_lo
	s_cbranch_execz .LBB68_16
; %bb.11:
	v_add3_u32 v1, s3, s14, v0
	s_load_b64 s[2:3], s[0:1], 0x68
	v_mov_b64_e32 v[8:9], 0
	v_lshlrev_b32_e32 v0, s18, v0
	s_wait_xcnt 0x0
	s_mov_b32 s0, 1
	global_load_b32 v10, v1, s[12:13] scale_offset
	v_lshl_add_u32 v0, v0, 4, 0
	v_mov_b64_e32 v[6:7], v[8:9]
.LBB68_12:                              ; =>This Inner Loop Header: Depth=1
	ds_load_2addr_b64 v[12:15], v0 offset1:1
	s_lshr_b32 s1, s0, s18
	s_add_co_i32 s0, s0, 1
	s_cmp_lg_u32 s1, 0
	s_wait_dscnt 0x0
	v_dual_add_f64 v[8:9], v[8:9], v[14:15] :: v_dual_add_nc_u32 v0, 16, v0
	v_add_f64_e32 v[6:7], v[6:7], v[12:13]
	s_cbranch_scc0 .LBB68_12
; %bb.13:
	v_cmp_neq_f64_e32 vcc_lo, 0, v[2:3]
	v_cmp_neq_f64_e64 s0, 0, v[4:5]
	s_wait_loadcnt 0x0
	v_ashrrev_i32_e32 v11, 31, v10
	s_wait_kmcnt 0x0
	s_delay_alu instid0(VALU_DEP_1) | instskip(SKIP_1) | instid1(SALU_CYCLE_1)
	v_lshl_add_u64 v[0:1], v[10:11], 4, s[2:3]
	s_or_b32 s1, vcc_lo, s0
	s_and_saveexec_b32 s0, s1
	s_cbranch_execz .LBB68_15
; %bb.14:
	global_load_b128 v[10:13], v[0:1], off
	s_wait_loadcnt 0x0
	v_fmac_f64_e32 v[6:7], v[2:3], v[10:11]
	v_fmac_f64_e32 v[8:9], v[4:5], v[10:11]
	s_delay_alu instid0(VALU_DEP_2) | instskip(NEXT) | instid1(VALU_DEP_2)
	v_fma_f64 v[6:7], -v[4:5], v[12:13], v[6:7]
	v_fmac_f64_e32 v[8:9], v[2:3], v[12:13]
.LBB68_15:
	s_or_b32 exec_lo, exec_lo, s0
	global_store_b128 v[0:1], v[6:9], off
.LBB68_16:
	s_endpgm
	.section	.rodata,"a",@progbits
	.p2align	6, 0x0
	.amdhsa_kernel _ZN9rocsparseL28csrmvn_lrb_short_rows_kernelIli21rocsparse_complex_numIdES2_S2_S2_EEvbT_PT0_S5_jNS_24const_host_device_scalarIT4_EEPKS3_PKS4_PKT1_PKT2_S8_PT3_21rocsparse_index_base_b
		.amdhsa_group_segment_fixed_size 0
		.amdhsa_private_segment_fixed_size 0
		.amdhsa_kernarg_size 120
		.amdhsa_user_sgpr_count 2
		.amdhsa_user_sgpr_dispatch_ptr 0
		.amdhsa_user_sgpr_queue_ptr 0
		.amdhsa_user_sgpr_kernarg_segment_ptr 1
		.amdhsa_user_sgpr_dispatch_id 0
		.amdhsa_user_sgpr_kernarg_preload_length 0
		.amdhsa_user_sgpr_kernarg_preload_offset 0
		.amdhsa_user_sgpr_private_segment_size 0
		.amdhsa_wavefront_size32 1
		.amdhsa_uses_dynamic_stack 0
		.amdhsa_enable_private_segment 0
		.amdhsa_system_sgpr_workgroup_id_x 1
		.amdhsa_system_sgpr_workgroup_id_y 0
		.amdhsa_system_sgpr_workgroup_id_z 0
		.amdhsa_system_sgpr_workgroup_info 0
		.amdhsa_system_vgpr_workitem_id 0
		.amdhsa_next_free_vgpr 26
		.amdhsa_next_free_sgpr 23
		.amdhsa_named_barrier_count 0
		.amdhsa_reserve_vcc 1
		.amdhsa_float_round_mode_32 0
		.amdhsa_float_round_mode_16_64 0
		.amdhsa_float_denorm_mode_32 3
		.amdhsa_float_denorm_mode_16_64 3
		.amdhsa_fp16_overflow 0
		.amdhsa_memory_ordered 1
		.amdhsa_forward_progress 1
		.amdhsa_inst_pref_size 8
		.amdhsa_round_robin_scheduling 0
		.amdhsa_exception_fp_ieee_invalid_op 0
		.amdhsa_exception_fp_denorm_src 0
		.amdhsa_exception_fp_ieee_div_zero 0
		.amdhsa_exception_fp_ieee_overflow 0
		.amdhsa_exception_fp_ieee_underflow 0
		.amdhsa_exception_fp_ieee_inexact 0
		.amdhsa_exception_int_div_zero 0
	.end_amdhsa_kernel
	.section	.text._ZN9rocsparseL28csrmvn_lrb_short_rows_kernelIli21rocsparse_complex_numIdES2_S2_S2_EEvbT_PT0_S5_jNS_24const_host_device_scalarIT4_EEPKS3_PKS4_PKT1_PKT2_S8_PT3_21rocsparse_index_base_b,"axG",@progbits,_ZN9rocsparseL28csrmvn_lrb_short_rows_kernelIli21rocsparse_complex_numIdES2_S2_S2_EEvbT_PT0_S5_jNS_24const_host_device_scalarIT4_EEPKS3_PKS4_PKT1_PKT2_S8_PT3_21rocsparse_index_base_b,comdat
.Lfunc_end68:
	.size	_ZN9rocsparseL28csrmvn_lrb_short_rows_kernelIli21rocsparse_complex_numIdES2_S2_S2_EEvbT_PT0_S5_jNS_24const_host_device_scalarIT4_EEPKS3_PKS4_PKT1_PKT2_S8_PT3_21rocsparse_index_base_b, .Lfunc_end68-_ZN9rocsparseL28csrmvn_lrb_short_rows_kernelIli21rocsparse_complex_numIdES2_S2_S2_EEvbT_PT0_S5_jNS_24const_host_device_scalarIT4_EEPKS3_PKS4_PKT1_PKT2_S8_PT3_21rocsparse_index_base_b
                                        ; -- End function
	.set _ZN9rocsparseL28csrmvn_lrb_short_rows_kernelIli21rocsparse_complex_numIdES2_S2_S2_EEvbT_PT0_S5_jNS_24const_host_device_scalarIT4_EEPKS3_PKS4_PKT1_PKT2_S8_PT3_21rocsparse_index_base_b.num_vgpr, 26
	.set _ZN9rocsparseL28csrmvn_lrb_short_rows_kernelIli21rocsparse_complex_numIdES2_S2_S2_EEvbT_PT0_S5_jNS_24const_host_device_scalarIT4_EEPKS3_PKS4_PKT1_PKT2_S8_PT3_21rocsparse_index_base_b.num_agpr, 0
	.set _ZN9rocsparseL28csrmvn_lrb_short_rows_kernelIli21rocsparse_complex_numIdES2_S2_S2_EEvbT_PT0_S5_jNS_24const_host_device_scalarIT4_EEPKS3_PKS4_PKT1_PKT2_S8_PT3_21rocsparse_index_base_b.numbered_sgpr, 23
	.set _ZN9rocsparseL28csrmvn_lrb_short_rows_kernelIli21rocsparse_complex_numIdES2_S2_S2_EEvbT_PT0_S5_jNS_24const_host_device_scalarIT4_EEPKS3_PKS4_PKT1_PKT2_S8_PT3_21rocsparse_index_base_b.num_named_barrier, 0
	.set _ZN9rocsparseL28csrmvn_lrb_short_rows_kernelIli21rocsparse_complex_numIdES2_S2_S2_EEvbT_PT0_S5_jNS_24const_host_device_scalarIT4_EEPKS3_PKS4_PKT1_PKT2_S8_PT3_21rocsparse_index_base_b.private_seg_size, 0
	.set _ZN9rocsparseL28csrmvn_lrb_short_rows_kernelIli21rocsparse_complex_numIdES2_S2_S2_EEvbT_PT0_S5_jNS_24const_host_device_scalarIT4_EEPKS3_PKS4_PKT1_PKT2_S8_PT3_21rocsparse_index_base_b.uses_vcc, 1
	.set _ZN9rocsparseL28csrmvn_lrb_short_rows_kernelIli21rocsparse_complex_numIdES2_S2_S2_EEvbT_PT0_S5_jNS_24const_host_device_scalarIT4_EEPKS3_PKS4_PKT1_PKT2_S8_PT3_21rocsparse_index_base_b.uses_flat_scratch, 0
	.set _ZN9rocsparseL28csrmvn_lrb_short_rows_kernelIli21rocsparse_complex_numIdES2_S2_S2_EEvbT_PT0_S5_jNS_24const_host_device_scalarIT4_EEPKS3_PKS4_PKT1_PKT2_S8_PT3_21rocsparse_index_base_b.has_dyn_sized_stack, 0
	.set _ZN9rocsparseL28csrmvn_lrb_short_rows_kernelIli21rocsparse_complex_numIdES2_S2_S2_EEvbT_PT0_S5_jNS_24const_host_device_scalarIT4_EEPKS3_PKS4_PKT1_PKT2_S8_PT3_21rocsparse_index_base_b.has_recursion, 0
	.set _ZN9rocsparseL28csrmvn_lrb_short_rows_kernelIli21rocsparse_complex_numIdES2_S2_S2_EEvbT_PT0_S5_jNS_24const_host_device_scalarIT4_EEPKS3_PKS4_PKT1_PKT2_S8_PT3_21rocsparse_index_base_b.has_indirect_call, 0
	.section	.AMDGPU.csdata,"",@progbits
; Kernel info:
; codeLenInByte = 940
; TotalNumSgprs: 25
; NumVgprs: 26
; ScratchSize: 0
; MemoryBound: 0
; FloatMode: 240
; IeeeMode: 1
; LDSByteSize: 0 bytes/workgroup (compile time only)
; SGPRBlocks: 0
; VGPRBlocks: 1
; NumSGPRsForWavesPerEU: 25
; NumVGPRsForWavesPerEU: 26
; NamedBarCnt: 0
; Occupancy: 16
; WaveLimiterHint : 1
; COMPUTE_PGM_RSRC2:SCRATCH_EN: 0
; COMPUTE_PGM_RSRC2:USER_SGPR: 2
; COMPUTE_PGM_RSRC2:TRAP_HANDLER: 0
; COMPUTE_PGM_RSRC2:TGID_X_EN: 1
; COMPUTE_PGM_RSRC2:TGID_Y_EN: 0
; COMPUTE_PGM_RSRC2:TGID_Z_EN: 0
; COMPUTE_PGM_RSRC2:TIDIG_COMP_CNT: 0
	.section	.text._ZN9rocsparseL30csrmvn_lrb_short_rows_2_kernelIli21rocsparse_complex_numIdES2_S2_S2_EEvbT_PT0_S5_jNS_24const_host_device_scalarIT4_EEPKS3_PKS4_PKT1_PKT2_S8_PT3_21rocsparse_index_base_b,"axG",@progbits,_ZN9rocsparseL30csrmvn_lrb_short_rows_2_kernelIli21rocsparse_complex_numIdES2_S2_S2_EEvbT_PT0_S5_jNS_24const_host_device_scalarIT4_EEPKS3_PKS4_PKT1_PKT2_S8_PT3_21rocsparse_index_base_b,comdat
	.globl	_ZN9rocsparseL30csrmvn_lrb_short_rows_2_kernelIli21rocsparse_complex_numIdES2_S2_S2_EEvbT_PT0_S5_jNS_24const_host_device_scalarIT4_EEPKS3_PKS4_PKT1_PKT2_S8_PT3_21rocsparse_index_base_b ; -- Begin function _ZN9rocsparseL30csrmvn_lrb_short_rows_2_kernelIli21rocsparse_complex_numIdES2_S2_S2_EEvbT_PT0_S5_jNS_24const_host_device_scalarIT4_EEPKS3_PKS4_PKT1_PKT2_S8_PT3_21rocsparse_index_base_b
	.p2align	8
	.type	_ZN9rocsparseL30csrmvn_lrb_short_rows_2_kernelIli21rocsparse_complex_numIdES2_S2_S2_EEvbT_PT0_S5_jNS_24const_host_device_scalarIT4_EEPKS3_PKS4_PKT1_PKT2_S8_PT3_21rocsparse_index_base_b,@function
_ZN9rocsparseL30csrmvn_lrb_short_rows_2_kernelIli21rocsparse_complex_numIdES2_S2_S2_EEvbT_PT0_S5_jNS_24const_host_device_scalarIT4_EEPKS3_PKS4_PKT1_PKT2_S8_PT3_21rocsparse_index_base_b: ; @_ZN9rocsparseL30csrmvn_lrb_short_rows_2_kernelIli21rocsparse_complex_numIdES2_S2_S2_EEvbT_PT0_S5_jNS_24const_host_device_scalarIT4_EEPKS3_PKS4_PKT1_PKT2_S8_PT3_21rocsparse_index_base_b
; %bb.0:
	s_clause 0x1
	s_load_b64 s[16:17], s[0:1], 0x70
	s_load_b64 s[2:3], s[0:1], 0x28
	v_mov_b32_e32 v1, 0
	s_add_nc_u64 s[4:5], s[0:1], 40
	s_load_b64 s[6:7], s[0:1], 0x58
	s_wait_kmcnt 0x0
	s_bitcmp1_b32 s17, 0
	s_cselect_b32 s3, s5, s3
	s_cselect_b32 s2, s4, s2
	flat_load_b128 v[6:9], v1, s[2:3]
	s_wait_xcnt 0x0
	s_add_nc_u64 s[2:3], s[0:1], 0x58
	s_delay_alu instid0(SALU_CYCLE_1)
	s_cselect_b32 s3, s3, s7
	s_cselect_b32 s2, s2, s6
	flat_load_b128 v[2:5], v1, s[2:3]
	s_wait_loadcnt_dscnt 0x101
	v_cmp_eq_f64_e32 vcc_lo, 0, v[6:7]
	s_wait_xcnt 0x0
	v_cmp_eq_f64_e64 s2, 0, v[8:9]
	s_and_b32 s4, vcc_lo, s2
	s_mov_b32 s2, -1
	s_and_saveexec_b32 s3, s4
	s_cbranch_execz .LBB69_2
; %bb.1:
	s_wait_loadcnt_dscnt 0x0
	v_cmp_neq_f64_e32 vcc_lo, 1.0, v[2:3]
	v_cmp_neq_f64_e64 s2, 0, v[4:5]
	s_or_b32 s2, vcc_lo, s2
	s_delay_alu instid0(SALU_CYCLE_1)
	s_or_not1_b32 s2, s2, exec_lo
.LBB69_2:
	s_or_b32 exec_lo, exec_lo, s3
	s_and_saveexec_b32 s3, s2
	s_cbranch_execz .LBB69_28
; %bb.3:
	s_clause 0x2
	s_load_b32 s18, s[0:1], 0x20
	s_load_b32 s2, s[0:1], 0x0
	s_load_b128 s[12:15], s[0:1], 0x10
	s_wait_kmcnt 0x0
	v_dual_mov_b32 v19, 0 :: v_dual_lshrrev_b32 v1, s18, v0
	s_bitcmp1_b32 s2, 0
	v_bfe_u32 v18, v0, 0, s18
	s_cselect_b32 vcc_lo, -1, 0
	s_add_co_i32 s2, s18, 1
	s_clause 0x1
	s_load_b32 s19, s[14:15], s18 offset:0x0 scale_offset
	s_load_b32 s3, s[14:15], s2 offset:0x0 scale_offset
	s_load_b256 s[4:11], s[0:1], 0x38
	s_wait_xcnt 0x0
	s_bfe_u32 s2, ttmp6, 0x4000c
	s_and_b32 s17, ttmp6, 15
	s_add_co_i32 s2, s2, 1
	s_getreg_b32 s15, hwreg(HW_REG_IB_STS2, 6, 4)
	s_mul_i32 s2, ttmp9, s2
	s_lshr_b32 s14, 0x400, s18
	s_add_co_i32 s17, s17, s2
	s_wait_kmcnt 0x0
	s_sub_co_i32 s2, s3, s19
	s_cmp_eq_u32 s15, 0
	s_cselect_b32 s3, ttmp9, s17
	s_mov_b32 s17, 0
	s_mul_i32 s15, s14, s3
	s_delay_alu instid0(SALU_CYCLE_1) | instskip(SKIP_1) | instid1(SALU_CYCLE_1)
	v_add_nc_u32_e32 v1, s15, v1
	s_add_co_i32 s3, s15, s14
	s_min_u32 s20, s2, s3
	s_mov_b32 s3, exec_lo
	s_delay_alu instid0(VALU_DEP_1)
	v_cmpx_gt_u32_e64 s20, v1
	s_cbranch_execz .LBB69_7
; %bb.4:
	v_add_nc_u32_e32 v1, s19, v1
	global_load_b32 v10, v1, s[12:13] scale_offset
	s_wait_loadcnt 0x0
	v_ashrrev_i32_e32 v11, 31, v10
	s_delay_alu instid0(VALU_DEP_1)
	v_lshl_add_u64 v[10:11], v[10:11], 3, s[4:5]
	global_load_b128 v[14:17], v[10:11], off
	s_wait_xcnt 0x0
	v_mov_b64_e32 v[10:11], 0
	s_wait_loadcnt 0x0
	v_sub_nc_u64_e32 v[12:13], v[16:17], v[14:15]
	s_delay_alu instid0(VALU_DEP_1)
	v_cmp_gt_i64_e64 s2, v[12:13], v[18:19]
	v_mov_b64_e32 v[12:13], 0
	s_and_saveexec_b32 s21, s2
	s_cbranch_execz .LBB69_6
; %bb.5:
	v_sub_nc_u64_e64 v[10:11], v[14:15], s[16:17]
	s_delay_alu instid0(VALU_DEP_1) | instskip(NEXT) | instid1(VALU_DEP_1)
	v_add_nc_u64_e32 v[10:11], v[10:11], v[18:19]
	v_lshl_add_u64 v[12:13], v[10:11], 2, s[6:7]
	v_lshl_add_u64 v[10:11], v[10:11], 4, s[8:9]
	global_load_b32 v1, v[12:13], off
	global_load_b128 v[10:13], v[10:11], off
	s_wait_loadcnt 0x1
	v_subrev_nc_u32_e32 v1, s16, v1
	global_load_b128 v[14:17], v1, s[10:11] scale_offset
	s_wait_loadcnt 0x1
	s_wait_xcnt 0x0
	v_xor_b32_e32 v1, 0x80000000, v13
	s_delay_alu instid0(VALU_DEP_1) | instskip(NEXT) | instid1(VALU_DEP_1)
	v_cndmask_b32_e32 v13, v13, v1, vcc_lo
	v_mul_f64_e32 v[20:21], v[6:7], v[12:13]
	v_mul_f64_e64 v[22:23], v[12:13], -v[8:9]
	s_delay_alu instid0(VALU_DEP_2) | instskip(NEXT) | instid1(VALU_DEP_2)
	v_fmac_f64_e32 v[20:21], v[8:9], v[10:11]
	v_fmac_f64_e32 v[22:23], v[6:7], v[10:11]
	s_wait_loadcnt 0x0
	s_delay_alu instid0(VALU_DEP_2) | instskip(NEXT) | instid1(VALU_DEP_2)
	v_mul_f64_e64 v[10:11], v[16:17], -v[20:21]
	v_mul_f64_e32 v[12:13], v[16:17], v[22:23]
	s_delay_alu instid0(VALU_DEP_2) | instskip(NEXT) | instid1(VALU_DEP_2)
	v_fmac_f64_e32 v[10:11], v[22:23], v[14:15]
	v_fmac_f64_e32 v[12:13], v[20:21], v[14:15]
.LBB69_6:
	s_or_b32 exec_lo, exec_lo, s21
	v_lshlrev_b32_e32 v1, 4, v0
	ds_store_b128 v1, v[10:13]
.LBB69_7:
	s_or_b32 exec_lo, exec_lo, s3
	s_load_b64 s[2:3], s[0:1], 0x68
	v_or_b32_e32 v1, 0x100, v0
	s_wait_xcnt 0x0
	s_mov_b32 s1, exec_lo
	s_delay_alu instid0(VALU_DEP_1) | instskip(NEXT) | instid1(VALU_DEP_1)
	v_lshrrev_b32_e32 v1, s18, v1
	v_add_nc_u32_e32 v1, s15, v1
	s_delay_alu instid0(VALU_DEP_1)
	v_cmpx_gt_u32_e64 s20, v1
	s_cbranch_execz .LBB69_11
; %bb.8:
	v_add_nc_u32_e32 v1, s19, v1
	global_load_b32 v10, v1, s[12:13] scale_offset
	s_wait_loadcnt 0x0
	v_ashrrev_i32_e32 v11, 31, v10
	s_delay_alu instid0(VALU_DEP_1)
	v_lshl_add_u64 v[10:11], v[10:11], 3, s[4:5]
	global_load_b128 v[14:17], v[10:11], off
	s_wait_xcnt 0x0
	v_mov_b64_e32 v[10:11], 0
	s_wait_loadcnt 0x0
	v_sub_nc_u64_e32 v[12:13], v[16:17], v[14:15]
	s_delay_alu instid0(VALU_DEP_1)
	v_cmp_gt_i64_e64 s0, v[12:13], v[18:19]
	v_mov_b64_e32 v[12:13], 0
	s_and_saveexec_b32 s21, s0
	s_cbranch_execz .LBB69_10
; %bb.9:
	v_sub_nc_u64_e64 v[10:11], v[14:15], s[16:17]
	s_delay_alu instid0(VALU_DEP_1) | instskip(NEXT) | instid1(VALU_DEP_1)
	v_add_nc_u64_e32 v[10:11], v[10:11], v[18:19]
	v_lshl_add_u64 v[12:13], v[10:11], 2, s[6:7]
	v_lshl_add_u64 v[10:11], v[10:11], 4, s[8:9]
	global_load_b32 v1, v[12:13], off
	global_load_b128 v[10:13], v[10:11], off
	s_wait_loadcnt 0x1
	v_subrev_nc_u32_e32 v1, s16, v1
	global_load_b128 v[14:17], v1, s[10:11] scale_offset
	s_wait_loadcnt 0x1
	s_wait_xcnt 0x0
	v_xor_b32_e32 v1, 0x80000000, v13
	s_delay_alu instid0(VALU_DEP_1) | instskip(NEXT) | instid1(VALU_DEP_1)
	v_cndmask_b32_e32 v13, v13, v1, vcc_lo
	v_mul_f64_e32 v[20:21], v[6:7], v[12:13]
	v_mul_f64_e64 v[22:23], v[12:13], -v[8:9]
	s_delay_alu instid0(VALU_DEP_2) | instskip(NEXT) | instid1(VALU_DEP_2)
	v_fmac_f64_e32 v[20:21], v[8:9], v[10:11]
	v_fmac_f64_e32 v[22:23], v[6:7], v[10:11]
	s_wait_loadcnt 0x0
	s_delay_alu instid0(VALU_DEP_2) | instskip(NEXT) | instid1(VALU_DEP_2)
	v_mul_f64_e64 v[10:11], v[16:17], -v[20:21]
	v_mul_f64_e32 v[12:13], v[16:17], v[22:23]
	s_delay_alu instid0(VALU_DEP_2) | instskip(NEXT) | instid1(VALU_DEP_2)
	v_fmac_f64_e32 v[10:11], v[22:23], v[14:15]
	v_fmac_f64_e32 v[12:13], v[20:21], v[14:15]
.LBB69_10:
	s_or_b32 exec_lo, exec_lo, s21
	v_lshlrev_b32_e32 v1, 4, v0
	ds_store_b128 v1, v[10:13] offset:4096
.LBB69_11:
	s_or_b32 exec_lo, exec_lo, s1
	v_or_b32_e32 v1, 0x200, v0
	s_mov_b32 s1, exec_lo
	s_delay_alu instid0(VALU_DEP_1) | instskip(NEXT) | instid1(VALU_DEP_1)
	v_lshrrev_b32_e32 v1, s18, v1
	v_add_nc_u32_e32 v1, s15, v1
	s_delay_alu instid0(VALU_DEP_1)
	v_cmpx_gt_u32_e64 s20, v1
	s_cbranch_execz .LBB69_15
; %bb.12:
	v_add_nc_u32_e32 v1, s19, v1
	global_load_b32 v10, v1, s[12:13] scale_offset
	s_wait_loadcnt 0x0
	v_ashrrev_i32_e32 v11, 31, v10
	s_delay_alu instid0(VALU_DEP_1)
	v_lshl_add_u64 v[10:11], v[10:11], 3, s[4:5]
	global_load_b128 v[14:17], v[10:11], off
	s_wait_xcnt 0x0
	v_mov_b64_e32 v[10:11], 0
	s_wait_loadcnt 0x0
	v_sub_nc_u64_e32 v[12:13], v[16:17], v[14:15]
	s_delay_alu instid0(VALU_DEP_1)
	v_cmp_gt_i64_e64 s0, v[12:13], v[18:19]
	v_mov_b64_e32 v[12:13], 0
	s_and_saveexec_b32 s21, s0
	s_cbranch_execz .LBB69_14
; %bb.13:
	v_sub_nc_u64_e64 v[10:11], v[14:15], s[16:17]
	s_delay_alu instid0(VALU_DEP_1) | instskip(NEXT) | instid1(VALU_DEP_1)
	v_add_nc_u64_e32 v[10:11], v[10:11], v[18:19]
	v_lshl_add_u64 v[12:13], v[10:11], 2, s[6:7]
	v_lshl_add_u64 v[10:11], v[10:11], 4, s[8:9]
	global_load_b32 v1, v[12:13], off
	global_load_b128 v[10:13], v[10:11], off
	s_wait_loadcnt 0x1
	v_subrev_nc_u32_e32 v1, s16, v1
	global_load_b128 v[14:17], v1, s[10:11] scale_offset
	s_wait_loadcnt 0x1
	s_wait_xcnt 0x0
	v_xor_b32_e32 v1, 0x80000000, v13
	s_delay_alu instid0(VALU_DEP_1) | instskip(NEXT) | instid1(VALU_DEP_1)
	v_cndmask_b32_e32 v13, v13, v1, vcc_lo
	v_mul_f64_e32 v[20:21], v[6:7], v[12:13]
	v_mul_f64_e64 v[22:23], v[12:13], -v[8:9]
	s_delay_alu instid0(VALU_DEP_2) | instskip(NEXT) | instid1(VALU_DEP_2)
	v_fmac_f64_e32 v[20:21], v[8:9], v[10:11]
	v_fmac_f64_e32 v[22:23], v[6:7], v[10:11]
	s_wait_loadcnt 0x0
	s_delay_alu instid0(VALU_DEP_2) | instskip(NEXT) | instid1(VALU_DEP_2)
	v_mul_f64_e64 v[10:11], v[16:17], -v[20:21]
	v_mul_f64_e32 v[12:13], v[16:17], v[22:23]
	s_delay_alu instid0(VALU_DEP_2) | instskip(NEXT) | instid1(VALU_DEP_2)
	v_fmac_f64_e32 v[10:11], v[22:23], v[14:15]
	v_fmac_f64_e32 v[12:13], v[20:21], v[14:15]
.LBB69_14:
	s_or_b32 exec_lo, exec_lo, s21
	v_lshlrev_b32_e32 v1, 4, v0
	ds_store_b128 v1, v[10:13] offset:8192
.LBB69_15:
	s_or_b32 exec_lo, exec_lo, s1
	v_or_b32_e32 v1, 0x300, v0
	s_mov_b32 s1, exec_lo
	s_delay_alu instid0(VALU_DEP_1) | instskip(NEXT) | instid1(VALU_DEP_1)
	v_lshrrev_b32_e32 v1, s18, v1
	v_add_nc_u32_e32 v1, s15, v1
	s_delay_alu instid0(VALU_DEP_1)
	v_cmpx_gt_u32_e64 s20, v1
	s_cbranch_execz .LBB69_19
; %bb.16:
	v_add_nc_u32_e32 v1, s19, v1
	global_load_b32 v10, v1, s[12:13] scale_offset
	s_wait_loadcnt 0x0
	v_ashrrev_i32_e32 v11, 31, v10
	s_delay_alu instid0(VALU_DEP_1)
	v_lshl_add_u64 v[10:11], v[10:11], 3, s[4:5]
	global_load_b128 v[14:17], v[10:11], off
	s_wait_xcnt 0x0
	v_mov_b64_e32 v[10:11], 0
	s_wait_loadcnt 0x0
	v_sub_nc_u64_e32 v[12:13], v[16:17], v[14:15]
	s_delay_alu instid0(VALU_DEP_1)
	v_cmp_gt_i64_e64 s0, v[12:13], v[18:19]
	v_mov_b64_e32 v[12:13], 0
	s_and_saveexec_b32 s4, s0
	s_cbranch_execz .LBB69_18
; %bb.17:
	v_sub_nc_u64_e64 v[10:11], v[14:15], s[16:17]
	s_delay_alu instid0(VALU_DEP_1) | instskip(NEXT) | instid1(VALU_DEP_1)
	v_add_nc_u64_e32 v[10:11], v[10:11], v[18:19]
	v_lshl_add_u64 v[12:13], v[10:11], 2, s[6:7]
	v_lshl_add_u64 v[10:11], v[10:11], 4, s[8:9]
	global_load_b32 v1, v[12:13], off
	global_load_b128 v[10:13], v[10:11], off
	s_wait_loadcnt 0x1
	v_subrev_nc_u32_e32 v1, s16, v1
	global_load_b128 v[14:17], v1, s[10:11] scale_offset
	s_wait_loadcnt 0x1
	s_wait_xcnt 0x0
	v_xor_b32_e32 v1, 0x80000000, v13
	s_delay_alu instid0(VALU_DEP_1) | instskip(NEXT) | instid1(VALU_DEP_1)
	v_cndmask_b32_e32 v13, v13, v1, vcc_lo
	v_mul_f64_e32 v[18:19], v[6:7], v[12:13]
	v_mul_f64_e64 v[20:21], v[12:13], -v[8:9]
	s_delay_alu instid0(VALU_DEP_2) | instskip(NEXT) | instid1(VALU_DEP_2)
	v_fmac_f64_e32 v[18:19], v[8:9], v[10:11]
	v_fmac_f64_e32 v[20:21], v[6:7], v[10:11]
	s_wait_loadcnt 0x0
	s_delay_alu instid0(VALU_DEP_2) | instskip(NEXT) | instid1(VALU_DEP_2)
	v_mul_f64_e64 v[10:11], v[16:17], -v[18:19]
	v_mul_f64_e32 v[12:13], v[16:17], v[20:21]
	s_delay_alu instid0(VALU_DEP_2) | instskip(NEXT) | instid1(VALU_DEP_2)
	v_fmac_f64_e32 v[10:11], v[20:21], v[14:15]
	v_fmac_f64_e32 v[12:13], v[18:19], v[14:15]
.LBB69_18:
	s_or_b32 exec_lo, exec_lo, s4
	v_lshlrev_b32_e32 v1, 4, v0
	ds_store_b128 v1, v[10:13] offset:12288
.LBB69_19:
	s_or_b32 exec_lo, exec_lo, s1
	s_cmp_lt_u32 s18, 11
	s_wait_loadcnt_dscnt 0x0
	s_barrier_signal -1
	s_barrier_wait -1
	s_cbranch_scc0 .LBB69_28
; %bb.20:
	v_cmp_neq_f64_e32 vcc_lo, 0, v[2:3]
	v_cmp_neq_f64_e64 s0, 0, v[4:5]
	s_sub_co_i32 s1, s20, s15
	s_add_co_i32 s19, s19, s15
	s_mov_b32 s4, 0
	s_or_b32 s0, vcc_lo, s0
	s_branch .LBB69_23
.LBB69_21:                              ;   in Loop: Header=BB69_23 Depth=1
	s_wait_xcnt 0x0
	s_or_b32 exec_lo, exec_lo, s6
	global_store_b128 v[10:11], v[6:9], off
.LBB69_22:                              ;   in Loop: Header=BB69_23 Depth=1
	s_wait_xcnt 0x0
	s_or_b32 exec_lo, exec_lo, s5
	s_addk_co_i32 s4, 0x100
	s_delay_alu instid0(SALU_CYCLE_1)
	s_cmp_lt_u32 s4, s14
	s_cbranch_scc0 .LBB69_28
.LBB69_23:                              ; =>This Loop Header: Depth=1
                                        ;     Child Loop BB69_25 Depth 2
	v_add_nc_u32_e32 v1, s4, v0
	s_mov_b32 s5, exec_lo
	s_delay_alu instid0(VALU_DEP_1)
	v_cmpx_gt_u32_e64 s1, v1
	s_cbranch_execz .LBB69_22
; %bb.24:                               ;   in Loop: Header=BB69_23 Depth=1
	v_dual_add_nc_u32 v6, s19, v1 :: v_dual_lshlrev_b32 v1, s18, v1
	v_mov_b64_e32 v[8:9], 0
	s_mov_b32 s6, 1
	global_load_b32 v10, v6, s[12:13] scale_offset
	v_lshlrev_b32_e32 v1, 4, v1
	s_wait_xcnt 0x0
	v_mov_b64_e32 v[6:7], v[8:9]
.LBB69_25:                              ;   Parent Loop BB69_23 Depth=1
                                        ; =>  This Inner Loop Header: Depth=2
	ds_load_b128 v[12:15], v1
	s_lshr_b32 s7, s6, s18
	s_add_co_i32 s6, s6, 1
	s_cmp_lg_u32 s7, 0
	s_wait_dscnt 0x0
	v_dual_add_f64 v[8:9], v[8:9], v[14:15] :: v_dual_add_nc_u32 v1, 16, v1
	v_add_f64_e32 v[6:7], v[6:7], v[12:13]
	s_cbranch_scc0 .LBB69_25
; %bb.26:                               ;   in Loop: Header=BB69_23 Depth=1
	s_wait_loadcnt 0x0
	v_ashrrev_i32_e32 v11, 31, v10
	s_wait_kmcnt 0x0
	s_delay_alu instid0(VALU_DEP_1)
	v_lshl_add_u64 v[10:11], v[10:11], 4, s[2:3]
	s_and_saveexec_b32 s6, s0
	s_cbranch_execz .LBB69_21
; %bb.27:                               ;   in Loop: Header=BB69_23 Depth=1
	global_load_b128 v[12:15], v[10:11], off
	s_wait_loadcnt 0x0
	v_fmac_f64_e32 v[6:7], v[2:3], v[12:13]
	v_fmac_f64_e32 v[8:9], v[4:5], v[12:13]
	s_delay_alu instid0(VALU_DEP_2) | instskip(NEXT) | instid1(VALU_DEP_2)
	v_fma_f64 v[6:7], -v[4:5], v[14:15], v[6:7]
	v_fmac_f64_e32 v[8:9], v[2:3], v[14:15]
	s_branch .LBB69_21
.LBB69_28:
	s_endpgm
	.section	.rodata,"a",@progbits
	.p2align	6, 0x0
	.amdhsa_kernel _ZN9rocsparseL30csrmvn_lrb_short_rows_2_kernelIli21rocsparse_complex_numIdES2_S2_S2_EEvbT_PT0_S5_jNS_24const_host_device_scalarIT4_EEPKS3_PKS4_PKT1_PKT2_S8_PT3_21rocsparse_index_base_b
		.amdhsa_group_segment_fixed_size 16384
		.amdhsa_private_segment_fixed_size 0
		.amdhsa_kernarg_size 120
		.amdhsa_user_sgpr_count 2
		.amdhsa_user_sgpr_dispatch_ptr 0
		.amdhsa_user_sgpr_queue_ptr 0
		.amdhsa_user_sgpr_kernarg_segment_ptr 1
		.amdhsa_user_sgpr_dispatch_id 0
		.amdhsa_user_sgpr_kernarg_preload_length 0
		.amdhsa_user_sgpr_kernarg_preload_offset 0
		.amdhsa_user_sgpr_private_segment_size 0
		.amdhsa_wavefront_size32 1
		.amdhsa_uses_dynamic_stack 0
		.amdhsa_enable_private_segment 0
		.amdhsa_system_sgpr_workgroup_id_x 1
		.amdhsa_system_sgpr_workgroup_id_y 0
		.amdhsa_system_sgpr_workgroup_id_z 0
		.amdhsa_system_sgpr_workgroup_info 0
		.amdhsa_system_vgpr_workitem_id 0
		.amdhsa_next_free_vgpr 24
		.amdhsa_next_free_sgpr 22
		.amdhsa_named_barrier_count 0
		.amdhsa_reserve_vcc 1
		.amdhsa_float_round_mode_32 0
		.amdhsa_float_round_mode_16_64 0
		.amdhsa_float_denorm_mode_32 3
		.amdhsa_float_denorm_mode_16_64 3
		.amdhsa_fp16_overflow 0
		.amdhsa_memory_ordered 1
		.amdhsa_forward_progress 1
		.amdhsa_inst_pref_size 15
		.amdhsa_round_robin_scheduling 0
		.amdhsa_exception_fp_ieee_invalid_op 0
		.amdhsa_exception_fp_denorm_src 0
		.amdhsa_exception_fp_ieee_div_zero 0
		.amdhsa_exception_fp_ieee_overflow 0
		.amdhsa_exception_fp_ieee_underflow 0
		.amdhsa_exception_fp_ieee_inexact 0
		.amdhsa_exception_int_div_zero 0
	.end_amdhsa_kernel
	.section	.text._ZN9rocsparseL30csrmvn_lrb_short_rows_2_kernelIli21rocsparse_complex_numIdES2_S2_S2_EEvbT_PT0_S5_jNS_24const_host_device_scalarIT4_EEPKS3_PKS4_PKT1_PKT2_S8_PT3_21rocsparse_index_base_b,"axG",@progbits,_ZN9rocsparseL30csrmvn_lrb_short_rows_2_kernelIli21rocsparse_complex_numIdES2_S2_S2_EEvbT_PT0_S5_jNS_24const_host_device_scalarIT4_EEPKS3_PKS4_PKT1_PKT2_S8_PT3_21rocsparse_index_base_b,comdat
.Lfunc_end69:
	.size	_ZN9rocsparseL30csrmvn_lrb_short_rows_2_kernelIli21rocsparse_complex_numIdES2_S2_S2_EEvbT_PT0_S5_jNS_24const_host_device_scalarIT4_EEPKS3_PKS4_PKT1_PKT2_S8_PT3_21rocsparse_index_base_b, .Lfunc_end69-_ZN9rocsparseL30csrmvn_lrb_short_rows_2_kernelIli21rocsparse_complex_numIdES2_S2_S2_EEvbT_PT0_S5_jNS_24const_host_device_scalarIT4_EEPKS3_PKS4_PKT1_PKT2_S8_PT3_21rocsparse_index_base_b
                                        ; -- End function
	.set _ZN9rocsparseL30csrmvn_lrb_short_rows_2_kernelIli21rocsparse_complex_numIdES2_S2_S2_EEvbT_PT0_S5_jNS_24const_host_device_scalarIT4_EEPKS3_PKS4_PKT1_PKT2_S8_PT3_21rocsparse_index_base_b.num_vgpr, 24
	.set _ZN9rocsparseL30csrmvn_lrb_short_rows_2_kernelIli21rocsparse_complex_numIdES2_S2_S2_EEvbT_PT0_S5_jNS_24const_host_device_scalarIT4_EEPKS3_PKS4_PKT1_PKT2_S8_PT3_21rocsparse_index_base_b.num_agpr, 0
	.set _ZN9rocsparseL30csrmvn_lrb_short_rows_2_kernelIli21rocsparse_complex_numIdES2_S2_S2_EEvbT_PT0_S5_jNS_24const_host_device_scalarIT4_EEPKS3_PKS4_PKT1_PKT2_S8_PT3_21rocsparse_index_base_b.numbered_sgpr, 22
	.set _ZN9rocsparseL30csrmvn_lrb_short_rows_2_kernelIli21rocsparse_complex_numIdES2_S2_S2_EEvbT_PT0_S5_jNS_24const_host_device_scalarIT4_EEPKS3_PKS4_PKT1_PKT2_S8_PT3_21rocsparse_index_base_b.num_named_barrier, 0
	.set _ZN9rocsparseL30csrmvn_lrb_short_rows_2_kernelIli21rocsparse_complex_numIdES2_S2_S2_EEvbT_PT0_S5_jNS_24const_host_device_scalarIT4_EEPKS3_PKS4_PKT1_PKT2_S8_PT3_21rocsparse_index_base_b.private_seg_size, 0
	.set _ZN9rocsparseL30csrmvn_lrb_short_rows_2_kernelIli21rocsparse_complex_numIdES2_S2_S2_EEvbT_PT0_S5_jNS_24const_host_device_scalarIT4_EEPKS3_PKS4_PKT1_PKT2_S8_PT3_21rocsparse_index_base_b.uses_vcc, 1
	.set _ZN9rocsparseL30csrmvn_lrb_short_rows_2_kernelIli21rocsparse_complex_numIdES2_S2_S2_EEvbT_PT0_S5_jNS_24const_host_device_scalarIT4_EEPKS3_PKS4_PKT1_PKT2_S8_PT3_21rocsparse_index_base_b.uses_flat_scratch, 0
	.set _ZN9rocsparseL30csrmvn_lrb_short_rows_2_kernelIli21rocsparse_complex_numIdES2_S2_S2_EEvbT_PT0_S5_jNS_24const_host_device_scalarIT4_EEPKS3_PKS4_PKT1_PKT2_S8_PT3_21rocsparse_index_base_b.has_dyn_sized_stack, 0
	.set _ZN9rocsparseL30csrmvn_lrb_short_rows_2_kernelIli21rocsparse_complex_numIdES2_S2_S2_EEvbT_PT0_S5_jNS_24const_host_device_scalarIT4_EEPKS3_PKS4_PKT1_PKT2_S8_PT3_21rocsparse_index_base_b.has_recursion, 0
	.set _ZN9rocsparseL30csrmvn_lrb_short_rows_2_kernelIli21rocsparse_complex_numIdES2_S2_S2_EEvbT_PT0_S5_jNS_24const_host_device_scalarIT4_EEPKS3_PKS4_PKT1_PKT2_S8_PT3_21rocsparse_index_base_b.has_indirect_call, 0
	.section	.AMDGPU.csdata,"",@progbits
; Kernel info:
; codeLenInByte = 1844
; TotalNumSgprs: 24
; NumVgprs: 24
; ScratchSize: 0
; MemoryBound: 0
; FloatMode: 240
; IeeeMode: 1
; LDSByteSize: 16384 bytes/workgroup (compile time only)
; SGPRBlocks: 0
; VGPRBlocks: 1
; NumSGPRsForWavesPerEU: 24
; NumVGPRsForWavesPerEU: 24
; NamedBarCnt: 0
; Occupancy: 16
; WaveLimiterHint : 1
; COMPUTE_PGM_RSRC2:SCRATCH_EN: 0
; COMPUTE_PGM_RSRC2:USER_SGPR: 2
; COMPUTE_PGM_RSRC2:TRAP_HANDLER: 0
; COMPUTE_PGM_RSRC2:TGID_X_EN: 1
; COMPUTE_PGM_RSRC2:TGID_Y_EN: 0
; COMPUTE_PGM_RSRC2:TGID_Z_EN: 0
; COMPUTE_PGM_RSRC2:TIDIG_COMP_CNT: 0
	.section	.text._ZN9rocsparseL41csrmvn_lrb_medium_rows_warp_reduce_kernelILj256ELj32Eli21rocsparse_complex_numIdES2_S2_S2_EEvbT1_lPT2_S5_jNS_24const_host_device_scalarIT6_EEPKS3_PKS4_PKT3_PKT4_S8_PT5_21rocsparse_index_base_b,"axG",@progbits,_ZN9rocsparseL41csrmvn_lrb_medium_rows_warp_reduce_kernelILj256ELj32Eli21rocsparse_complex_numIdES2_S2_S2_EEvbT1_lPT2_S5_jNS_24const_host_device_scalarIT6_EEPKS3_PKS4_PKT3_PKT4_S8_PT5_21rocsparse_index_base_b,comdat
	.globl	_ZN9rocsparseL41csrmvn_lrb_medium_rows_warp_reduce_kernelILj256ELj32Eli21rocsparse_complex_numIdES2_S2_S2_EEvbT1_lPT2_S5_jNS_24const_host_device_scalarIT6_EEPKS3_PKS4_PKT3_PKT4_S8_PT5_21rocsparse_index_base_b ; -- Begin function _ZN9rocsparseL41csrmvn_lrb_medium_rows_warp_reduce_kernelILj256ELj32Eli21rocsparse_complex_numIdES2_S2_S2_EEvbT1_lPT2_S5_jNS_24const_host_device_scalarIT6_EEPKS3_PKS4_PKT3_PKT4_S8_PT5_21rocsparse_index_base_b
	.p2align	8
	.type	_ZN9rocsparseL41csrmvn_lrb_medium_rows_warp_reduce_kernelILj256ELj32Eli21rocsparse_complex_numIdES2_S2_S2_EEvbT1_lPT2_S5_jNS_24const_host_device_scalarIT6_EEPKS3_PKS4_PKT3_PKT4_S8_PT5_21rocsparse_index_base_b,@function
_ZN9rocsparseL41csrmvn_lrb_medium_rows_warp_reduce_kernelILj256ELj32Eli21rocsparse_complex_numIdES2_S2_S2_EEvbT1_lPT2_S5_jNS_24const_host_device_scalarIT6_EEPKS3_PKS4_PKT3_PKT4_S8_PT5_21rocsparse_index_base_b: ; @_ZN9rocsparseL41csrmvn_lrb_medium_rows_warp_reduce_kernelILj256ELj32Eli21rocsparse_complex_numIdES2_S2_S2_EEvbT1_lPT2_S5_jNS_24const_host_device_scalarIT6_EEPKS3_PKS4_PKT3_PKT4_S8_PT5_21rocsparse_index_base_b
; %bb.0:
	s_clause 0x1
	s_load_b64 s[4:5], s[0:1], 0x78
	s_load_b64 s[2:3], s[0:1], 0x30
	v_mov_b32_e32 v1, 0
	s_add_nc_u64 s[6:7], s[0:1], 48
	s_load_b64 s[8:9], s[0:1], 0x60
	s_wait_kmcnt 0x0
	s_bitcmp1_b32 s5, 0
	s_cselect_b32 s3, s7, s3
	s_cselect_b32 s2, s6, s2
	flat_load_b128 v[6:9], v1, s[2:3]
	s_wait_xcnt 0x0
	s_add_nc_u64 s[2:3], s[0:1], 0x60
	s_delay_alu instid0(SALU_CYCLE_1)
	s_cselect_b32 s3, s3, s9
	s_cselect_b32 s2, s2, s8
	flat_load_b128 v[2:5], v1, s[2:3]
	s_wait_loadcnt_dscnt 0x101
	v_cmp_eq_f64_e32 vcc_lo, 0, v[6:7]
	s_wait_xcnt 0x0
	v_cmp_eq_f64_e64 s2, 0, v[8:9]
	s_and_b32 s5, vcc_lo, s2
	s_mov_b32 s2, -1
	s_and_saveexec_b32 s3, s5
	s_cbranch_execz .LBB70_2
; %bb.1:
	s_wait_loadcnt_dscnt 0x0
	v_cmp_neq_f64_e32 vcc_lo, 1.0, v[2:3]
	v_cmp_neq_f64_e64 s2, 0, v[4:5]
	s_or_b32 s2, vcc_lo, s2
	s_delay_alu instid0(SALU_CYCLE_1)
	s_or_not1_b32 s2, s2, exec_lo
.LBB70_2:
	s_or_b32 exec_lo, exec_lo, s3
	s_and_saveexec_b32 s3, s2
	s_cbranch_execz .LBB70_12
; %bb.3:
	s_bfe_u32 s5, ttmp6, 0x4000c
	s_load_b64 s[2:3], s[0:1], 0x10
	s_add_co_i32 s5, s5, 1
	s_and_b32 s6, ttmp6, 15
	s_mul_i32 s5, ttmp9, s5
	s_getreg_b32 s7, hwreg(HW_REG_IB_STS2, 6, 4)
	v_lshrrev_b32_e32 v1, 5, v0
	s_add_co_i32 s6, s6, s5
	s_cmp_eq_u32 s7, 0
	s_cselect_b32 s5, ttmp9, s6
	s_delay_alu instid0(VALU_DEP_1) | instid1(SALU_CYCLE_1)
	v_lshl_or_b32 v10, s5, 3, v1
	s_mov_b32 s5, 0
	s_delay_alu instid0(VALU_DEP_1) | instskip(SKIP_1) | instid1(VALU_DEP_1)
	v_ashrrev_i32_e32 v11, 31, v10
	s_wait_kmcnt 0x0
	v_cmp_gt_i64_e32 vcc_lo, s[2:3], v[10:11]
	s_and_b32 exec_lo, exec_lo, vcc_lo
	s_cbranch_execz .LBB70_12
; %bb.4:
	s_clause 0x1
	s_load_b128 s[8:11], s[0:1], 0x18
	s_load_b32 s2, s[0:1], 0x28
	v_and_b32_e32 v0, 31, v0
	s_wait_kmcnt 0x0
	s_load_b32 s2, s[10:11], s2 offset:0x0 scale_offset
	s_wait_kmcnt 0x0
	v_add_nc_u32_e32 v1, s2, v10
	s_load_b64 s[2:3], s[0:1], 0x40
	global_load_b32 v10, v1, s[8:9] scale_offset
	s_wait_xcnt 0x0
	v_mov_b32_e32 v1, 0
	s_delay_alu instid0(VALU_DEP_1) | instskip(SKIP_3) | instid1(VALU_DEP_1)
	v_sub_nc_u64_e64 v[18:19], v[0:1], s[4:5]
	s_wait_loadcnt 0x0
	v_ashrrev_i32_e32 v11, 31, v10
	s_wait_kmcnt 0x0
	v_lshl_add_u64 v[12:13], v[10:11], 3, s[2:3]
	s_mov_b32 s3, exec_lo
	global_load_b128 v[12:15], v[12:13], off
	s_wait_loadcnt 0x0
	v_sub_nc_u64_e64 v[16:17], v[14:15], s[4:5]
	v_add_nc_u64_e32 v[18:19], v[12:13], v[18:19]
	v_mov_b64_e32 v[12:13], 0
	v_mov_b64_e32 v[14:15], 0
	s_delay_alu instid0(VALU_DEP_3)
	v_cmpx_lt_i64_e64 v[18:19], v[16:17]
	s_cbranch_execz .LBB70_8
; %bb.5:
	s_clause 0x2
	s_load_b128 s[8:11], s[0:1], 0x48
	s_load_b32 s2, s[0:1], 0x0
	s_load_b64 s[6:7], s[0:1], 0x58
	v_mov_b64_e32 v[12:13], 0
	s_wait_kmcnt 0x0
	v_lshl_add_u64 v[14:15], v[18:19], 4, s[10:11]
	v_lshl_add_u64 v[22:23], v[18:19], 2, s[8:9]
	s_bitcmp1_b32 s2, 0
	s_cselect_b32 vcc_lo, -1, 0
	s_delay_alu instid0(VALU_DEP_2)
	v_add_nc_u64_e32 v[20:21], 8, v[14:15]
	v_mov_b64_e32 v[14:15], 0
.LBB70_6:                               ; =>This Inner Loop Header: Depth=1
	global_load_b32 v1, v[22:23], off
	global_load_b128 v[24:27], v[20:21], off offset:-8
	v_add_nc_u64_e32 v[18:19], 32, v[18:19]
	s_wait_xcnt 0x0
	v_add_nc_u64_e32 v[20:21], 0x200, v[20:21]
	v_add_nc_u64_e32 v[22:23], 0x80, v[22:23]
	s_delay_alu instid0(VALU_DEP_3)
	v_cmp_ge_i64_e64 s2, v[18:19], v[16:17]
	s_or_b32 s5, s2, s5
	s_wait_loadcnt 0x1
	v_subrev_nc_u32_e32 v1, s4, v1
	global_load_b128 v[28:31], v1, s[6:7] scale_offset
	s_wait_loadcnt 0x1
	s_wait_xcnt 0x0
	v_xor_b32_e32 v1, 0x80000000, v27
	s_delay_alu instid0(VALU_DEP_1) | instskip(NEXT) | instid1(VALU_DEP_1)
	v_cndmask_b32_e32 v27, v27, v1, vcc_lo
	v_mul_f64_e64 v[32:33], v[26:27], -v[8:9]
	v_mul_f64_e32 v[26:27], v[6:7], v[26:27]
	s_delay_alu instid0(VALU_DEP_2) | instskip(NEXT) | instid1(VALU_DEP_2)
	v_fmac_f64_e32 v[32:33], v[6:7], v[24:25]
	v_fmac_f64_e32 v[26:27], v[8:9], v[24:25]
	s_wait_loadcnt 0x0
	s_delay_alu instid0(VALU_DEP_2) | instskip(NEXT) | instid1(VALU_DEP_2)
	v_fmac_f64_e32 v[14:15], v[32:33], v[28:29]
	v_fmac_f64_e32 v[12:13], v[26:27], v[28:29]
	s_delay_alu instid0(VALU_DEP_2) | instskip(NEXT) | instid1(VALU_DEP_2)
	v_fma_f64 v[14:15], -v[26:27], v[30:31], v[14:15]
	v_fmac_f64_e32 v[12:13], v[32:33], v[30:31]
	s_and_not1_b32 exec_lo, exec_lo, s5
	s_cbranch_execnz .LBB70_6
; %bb.7:
	s_or_b32 exec_lo, exec_lo, s5
.LBB70_8:
	s_delay_alu instid0(SALU_CYCLE_1) | instskip(SKIP_2) | instid1(VALU_DEP_1)
	s_or_b32 exec_lo, exec_lo, s3
	v_mbcnt_lo_u32_b32 v1, -1, 0
	s_load_b64 s[2:3], s[0:1], 0x70
	v_xor_b32_e32 v6, 16, v1
	s_delay_alu instid0(VALU_DEP_1) | instskip(SKIP_1) | instid1(VALU_DEP_1)
	v_cmp_gt_i32_e32 vcc_lo, 32, v6
	v_cndmask_b32_e32 v6, v1, v6, vcc_lo
	v_lshlrev_b32_e32 v9, 2, v6
	ds_bpermute_b32 v6, v9, v14
	ds_bpermute_b32 v7, v9, v15
	;; [unrolled: 1-line block ×4, first 2 shown]
	s_wait_dscnt 0x2
	v_add_f64_e32 v[6:7], v[14:15], v[6:7]
	s_wait_dscnt 0x0
	v_add_f64_e32 v[8:9], v[12:13], v[8:9]
	v_xor_b32_e32 v12, 8, v1
	s_delay_alu instid0(VALU_DEP_1) | instskip(SKIP_1) | instid1(VALU_DEP_1)
	v_cmp_gt_i32_e32 vcc_lo, 32, v12
	v_cndmask_b32_e32 v12, v1, v12, vcc_lo
	v_lshlrev_b32_e32 v15, 2, v12
	ds_bpermute_b32 v12, v15, v6
	ds_bpermute_b32 v13, v15, v7
	;; [unrolled: 1-line block ×4, first 2 shown]
	s_wait_dscnt 0x2
	v_add_f64_e32 v[6:7], v[6:7], v[12:13]
	v_xor_b32_e32 v12, 4, v1
	s_delay_alu instid0(VALU_DEP_1) | instskip(SKIP_2) | instid1(VALU_DEP_1)
	v_cmp_gt_i32_e32 vcc_lo, 32, v12
	v_cndmask_b32_e32 v12, v1, v12, vcc_lo
	s_wait_dscnt 0x0
	v_dual_add_f64 v[8:9], v[8:9], v[14:15] :: v_dual_lshlrev_b32 v15, 2, v12
	ds_bpermute_b32 v12, v15, v6
	ds_bpermute_b32 v13, v15, v7
	;; [unrolled: 1-line block ×4, first 2 shown]
	s_wait_dscnt 0x2
	v_add_f64_e32 v[6:7], v[6:7], v[12:13]
	v_xor_b32_e32 v12, 2, v1
	s_delay_alu instid0(VALU_DEP_1) | instskip(SKIP_2) | instid1(VALU_DEP_1)
	v_cmp_gt_i32_e32 vcc_lo, 32, v12
	v_cndmask_b32_e32 v12, v1, v12, vcc_lo
	s_wait_dscnt 0x0
	v_dual_add_f64 v[8:9], v[8:9], v[14:15] :: v_dual_lshlrev_b32 v15, 2, v12
	ds_bpermute_b32 v12, v15, v6
	ds_bpermute_b32 v13, v15, v7
	s_wait_dscnt 0x0
	v_add_f64_e32 v[6:7], v[6:7], v[12:13]
	v_xor_b32_e32 v12, 1, v1
	ds_bpermute_b32 v14, v15, v8
	ds_bpermute_b32 v15, v15, v9
	v_cmp_gt_i32_e32 vcc_lo, 32, v12
	v_cndmask_b32_e32 v1, v1, v12, vcc_lo
	v_cmp_eq_u32_e32 vcc_lo, 31, v0
	s_wait_dscnt 0x0
	s_delay_alu instid0(VALU_DEP_2)
	v_dual_add_f64 v[8:9], v[8:9], v[14:15] :: v_dual_lshlrev_b32 v1, 2, v1
	ds_bpermute_b32 v12, v1, v6
	ds_bpermute_b32 v13, v1, v7
	;; [unrolled: 1-line block ×4, first 2 shown]
	s_and_b32 exec_lo, exec_lo, vcc_lo
	s_cbranch_execz .LBB70_12
; %bb.9:
	v_cmp_neq_f64_e32 vcc_lo, 0, v[2:3]
	s_wait_xcnt 0x0
	v_cmp_neq_f64_e64 s0, 0, v[4:5]
	s_wait_dscnt 0x2
	v_add_f64_e32 v[6:7], v[6:7], v[12:13]
	s_wait_dscnt 0x0
	v_add_f64_e32 v[8:9], v[8:9], v[14:15]
	s_wait_kmcnt 0x0
	v_lshl_add_u64 v[0:1], v[10:11], 4, s[2:3]
	s_or_b32 s1, vcc_lo, s0
	s_delay_alu instid0(SALU_CYCLE_1)
	s_and_saveexec_b32 s0, s1
	s_cbranch_execz .LBB70_11
; %bb.10:
	global_load_b128 v[10:13], v[0:1], off
	s_wait_loadcnt 0x0
	v_fmac_f64_e32 v[6:7], v[2:3], v[10:11]
	v_fmac_f64_e32 v[8:9], v[4:5], v[10:11]
	s_delay_alu instid0(VALU_DEP_2) | instskip(NEXT) | instid1(VALU_DEP_2)
	v_fma_f64 v[6:7], -v[4:5], v[12:13], v[6:7]
	v_fmac_f64_e32 v[8:9], v[2:3], v[12:13]
.LBB70_11:
	s_or_b32 exec_lo, exec_lo, s0
	global_store_b128 v[0:1], v[6:9], off
.LBB70_12:
	s_endpgm
	.section	.rodata,"a",@progbits
	.p2align	6, 0x0
	.amdhsa_kernel _ZN9rocsparseL41csrmvn_lrb_medium_rows_warp_reduce_kernelILj256ELj32Eli21rocsparse_complex_numIdES2_S2_S2_EEvbT1_lPT2_S5_jNS_24const_host_device_scalarIT6_EEPKS3_PKS4_PKT3_PKT4_S8_PT5_21rocsparse_index_base_b
		.amdhsa_group_segment_fixed_size 0
		.amdhsa_private_segment_fixed_size 0
		.amdhsa_kernarg_size 128
		.amdhsa_user_sgpr_count 2
		.amdhsa_user_sgpr_dispatch_ptr 0
		.amdhsa_user_sgpr_queue_ptr 0
		.amdhsa_user_sgpr_kernarg_segment_ptr 1
		.amdhsa_user_sgpr_dispatch_id 0
		.amdhsa_user_sgpr_kernarg_preload_length 0
		.amdhsa_user_sgpr_kernarg_preload_offset 0
		.amdhsa_user_sgpr_private_segment_size 0
		.amdhsa_wavefront_size32 1
		.amdhsa_uses_dynamic_stack 0
		.amdhsa_enable_private_segment 0
		.amdhsa_system_sgpr_workgroup_id_x 1
		.amdhsa_system_sgpr_workgroup_id_y 0
		.amdhsa_system_sgpr_workgroup_id_z 0
		.amdhsa_system_sgpr_workgroup_info 0
		.amdhsa_system_vgpr_workitem_id 0
		.amdhsa_next_free_vgpr 34
		.amdhsa_next_free_sgpr 12
		.amdhsa_named_barrier_count 0
		.amdhsa_reserve_vcc 1
		.amdhsa_float_round_mode_32 0
		.amdhsa_float_round_mode_16_64 0
		.amdhsa_float_denorm_mode_32 3
		.amdhsa_float_denorm_mode_16_64 3
		.amdhsa_fp16_overflow 0
		.amdhsa_memory_ordered 1
		.amdhsa_forward_progress 1
		.amdhsa_inst_pref_size 10
		.amdhsa_round_robin_scheduling 0
		.amdhsa_exception_fp_ieee_invalid_op 0
		.amdhsa_exception_fp_denorm_src 0
		.amdhsa_exception_fp_ieee_div_zero 0
		.amdhsa_exception_fp_ieee_overflow 0
		.amdhsa_exception_fp_ieee_underflow 0
		.amdhsa_exception_fp_ieee_inexact 0
		.amdhsa_exception_int_div_zero 0
	.end_amdhsa_kernel
	.section	.text._ZN9rocsparseL41csrmvn_lrb_medium_rows_warp_reduce_kernelILj256ELj32Eli21rocsparse_complex_numIdES2_S2_S2_EEvbT1_lPT2_S5_jNS_24const_host_device_scalarIT6_EEPKS3_PKS4_PKT3_PKT4_S8_PT5_21rocsparse_index_base_b,"axG",@progbits,_ZN9rocsparseL41csrmvn_lrb_medium_rows_warp_reduce_kernelILj256ELj32Eli21rocsparse_complex_numIdES2_S2_S2_EEvbT1_lPT2_S5_jNS_24const_host_device_scalarIT6_EEPKS3_PKS4_PKT3_PKT4_S8_PT5_21rocsparse_index_base_b,comdat
.Lfunc_end70:
	.size	_ZN9rocsparseL41csrmvn_lrb_medium_rows_warp_reduce_kernelILj256ELj32Eli21rocsparse_complex_numIdES2_S2_S2_EEvbT1_lPT2_S5_jNS_24const_host_device_scalarIT6_EEPKS3_PKS4_PKT3_PKT4_S8_PT5_21rocsparse_index_base_b, .Lfunc_end70-_ZN9rocsparseL41csrmvn_lrb_medium_rows_warp_reduce_kernelILj256ELj32Eli21rocsparse_complex_numIdES2_S2_S2_EEvbT1_lPT2_S5_jNS_24const_host_device_scalarIT6_EEPKS3_PKS4_PKT3_PKT4_S8_PT5_21rocsparse_index_base_b
                                        ; -- End function
	.set _ZN9rocsparseL41csrmvn_lrb_medium_rows_warp_reduce_kernelILj256ELj32Eli21rocsparse_complex_numIdES2_S2_S2_EEvbT1_lPT2_S5_jNS_24const_host_device_scalarIT6_EEPKS3_PKS4_PKT3_PKT4_S8_PT5_21rocsparse_index_base_b.num_vgpr, 34
	.set _ZN9rocsparseL41csrmvn_lrb_medium_rows_warp_reduce_kernelILj256ELj32Eli21rocsparse_complex_numIdES2_S2_S2_EEvbT1_lPT2_S5_jNS_24const_host_device_scalarIT6_EEPKS3_PKS4_PKT3_PKT4_S8_PT5_21rocsparse_index_base_b.num_agpr, 0
	.set _ZN9rocsparseL41csrmvn_lrb_medium_rows_warp_reduce_kernelILj256ELj32Eli21rocsparse_complex_numIdES2_S2_S2_EEvbT1_lPT2_S5_jNS_24const_host_device_scalarIT6_EEPKS3_PKS4_PKT3_PKT4_S8_PT5_21rocsparse_index_base_b.numbered_sgpr, 12
	.set _ZN9rocsparseL41csrmvn_lrb_medium_rows_warp_reduce_kernelILj256ELj32Eli21rocsparse_complex_numIdES2_S2_S2_EEvbT1_lPT2_S5_jNS_24const_host_device_scalarIT6_EEPKS3_PKS4_PKT3_PKT4_S8_PT5_21rocsparse_index_base_b.num_named_barrier, 0
	.set _ZN9rocsparseL41csrmvn_lrb_medium_rows_warp_reduce_kernelILj256ELj32Eli21rocsparse_complex_numIdES2_S2_S2_EEvbT1_lPT2_S5_jNS_24const_host_device_scalarIT6_EEPKS3_PKS4_PKT3_PKT4_S8_PT5_21rocsparse_index_base_b.private_seg_size, 0
	.set _ZN9rocsparseL41csrmvn_lrb_medium_rows_warp_reduce_kernelILj256ELj32Eli21rocsparse_complex_numIdES2_S2_S2_EEvbT1_lPT2_S5_jNS_24const_host_device_scalarIT6_EEPKS3_PKS4_PKT3_PKT4_S8_PT5_21rocsparse_index_base_b.uses_vcc, 1
	.set _ZN9rocsparseL41csrmvn_lrb_medium_rows_warp_reduce_kernelILj256ELj32Eli21rocsparse_complex_numIdES2_S2_S2_EEvbT1_lPT2_S5_jNS_24const_host_device_scalarIT6_EEPKS3_PKS4_PKT3_PKT4_S8_PT5_21rocsparse_index_base_b.uses_flat_scratch, 0
	.set _ZN9rocsparseL41csrmvn_lrb_medium_rows_warp_reduce_kernelILj256ELj32Eli21rocsparse_complex_numIdES2_S2_S2_EEvbT1_lPT2_S5_jNS_24const_host_device_scalarIT6_EEPKS3_PKS4_PKT3_PKT4_S8_PT5_21rocsparse_index_base_b.has_dyn_sized_stack, 0
	.set _ZN9rocsparseL41csrmvn_lrb_medium_rows_warp_reduce_kernelILj256ELj32Eli21rocsparse_complex_numIdES2_S2_S2_EEvbT1_lPT2_S5_jNS_24const_host_device_scalarIT6_EEPKS3_PKS4_PKT3_PKT4_S8_PT5_21rocsparse_index_base_b.has_recursion, 0
	.set _ZN9rocsparseL41csrmvn_lrb_medium_rows_warp_reduce_kernelILj256ELj32Eli21rocsparse_complex_numIdES2_S2_S2_EEvbT1_lPT2_S5_jNS_24const_host_device_scalarIT6_EEPKS3_PKS4_PKT3_PKT4_S8_PT5_21rocsparse_index_base_b.has_indirect_call, 0
	.section	.AMDGPU.csdata,"",@progbits
; Kernel info:
; codeLenInByte = 1164
; TotalNumSgprs: 14
; NumVgprs: 34
; ScratchSize: 0
; MemoryBound: 0
; FloatMode: 240
; IeeeMode: 1
; LDSByteSize: 0 bytes/workgroup (compile time only)
; SGPRBlocks: 0
; VGPRBlocks: 2
; NumSGPRsForWavesPerEU: 14
; NumVGPRsForWavesPerEU: 34
; NamedBarCnt: 0
; Occupancy: 16
; WaveLimiterHint : 1
; COMPUTE_PGM_RSRC2:SCRATCH_EN: 0
; COMPUTE_PGM_RSRC2:USER_SGPR: 2
; COMPUTE_PGM_RSRC2:TRAP_HANDLER: 0
; COMPUTE_PGM_RSRC2:TGID_X_EN: 1
; COMPUTE_PGM_RSRC2:TGID_Y_EN: 0
; COMPUTE_PGM_RSRC2:TGID_Z_EN: 0
; COMPUTE_PGM_RSRC2:TIDIG_COMP_CNT: 0
	.section	.text._ZN9rocsparseL41csrmvn_lrb_medium_rows_warp_reduce_kernelILj256ELj64Eli21rocsparse_complex_numIdES2_S2_S2_EEvbT1_lPT2_S5_jNS_24const_host_device_scalarIT6_EEPKS3_PKS4_PKT3_PKT4_S8_PT5_21rocsparse_index_base_b,"axG",@progbits,_ZN9rocsparseL41csrmvn_lrb_medium_rows_warp_reduce_kernelILj256ELj64Eli21rocsparse_complex_numIdES2_S2_S2_EEvbT1_lPT2_S5_jNS_24const_host_device_scalarIT6_EEPKS3_PKS4_PKT3_PKT4_S8_PT5_21rocsparse_index_base_b,comdat
	.globl	_ZN9rocsparseL41csrmvn_lrb_medium_rows_warp_reduce_kernelILj256ELj64Eli21rocsparse_complex_numIdES2_S2_S2_EEvbT1_lPT2_S5_jNS_24const_host_device_scalarIT6_EEPKS3_PKS4_PKT3_PKT4_S8_PT5_21rocsparse_index_base_b ; -- Begin function _ZN9rocsparseL41csrmvn_lrb_medium_rows_warp_reduce_kernelILj256ELj64Eli21rocsparse_complex_numIdES2_S2_S2_EEvbT1_lPT2_S5_jNS_24const_host_device_scalarIT6_EEPKS3_PKS4_PKT3_PKT4_S8_PT5_21rocsparse_index_base_b
	.p2align	8
	.type	_ZN9rocsparseL41csrmvn_lrb_medium_rows_warp_reduce_kernelILj256ELj64Eli21rocsparse_complex_numIdES2_S2_S2_EEvbT1_lPT2_S5_jNS_24const_host_device_scalarIT6_EEPKS3_PKS4_PKT3_PKT4_S8_PT5_21rocsparse_index_base_b,@function
_ZN9rocsparseL41csrmvn_lrb_medium_rows_warp_reduce_kernelILj256ELj64Eli21rocsparse_complex_numIdES2_S2_S2_EEvbT1_lPT2_S5_jNS_24const_host_device_scalarIT6_EEPKS3_PKS4_PKT3_PKT4_S8_PT5_21rocsparse_index_base_b: ; @_ZN9rocsparseL41csrmvn_lrb_medium_rows_warp_reduce_kernelILj256ELj64Eli21rocsparse_complex_numIdES2_S2_S2_EEvbT1_lPT2_S5_jNS_24const_host_device_scalarIT6_EEPKS3_PKS4_PKT3_PKT4_S8_PT5_21rocsparse_index_base_b
; %bb.0:
	s_clause 0x1
	s_load_b64 s[4:5], s[0:1], 0x78
	s_load_b64 s[2:3], s[0:1], 0x30
	v_mov_b32_e32 v1, 0
	s_add_nc_u64 s[6:7], s[0:1], 48
	s_load_b64 s[8:9], s[0:1], 0x60
	s_wait_kmcnt 0x0
	s_bitcmp1_b32 s5, 0
	s_cselect_b32 s3, s7, s3
	s_cselect_b32 s2, s6, s2
	flat_load_b128 v[6:9], v1, s[2:3]
	s_wait_xcnt 0x0
	s_add_nc_u64 s[2:3], s[0:1], 0x60
	s_delay_alu instid0(SALU_CYCLE_1)
	s_cselect_b32 s3, s3, s9
	s_cselect_b32 s2, s2, s8
	flat_load_b128 v[2:5], v1, s[2:3]
	s_wait_loadcnt_dscnt 0x101
	v_cmp_eq_f64_e32 vcc_lo, 0, v[6:7]
	s_wait_xcnt 0x0
	v_cmp_eq_f64_e64 s2, 0, v[8:9]
	s_and_b32 s5, vcc_lo, s2
	s_mov_b32 s2, -1
	s_and_saveexec_b32 s3, s5
	s_cbranch_execz .LBB71_2
; %bb.1:
	s_wait_loadcnt_dscnt 0x0
	v_cmp_neq_f64_e32 vcc_lo, 1.0, v[2:3]
	v_cmp_neq_f64_e64 s2, 0, v[4:5]
	s_or_b32 s2, vcc_lo, s2
	s_delay_alu instid0(SALU_CYCLE_1)
	s_or_not1_b32 s2, s2, exec_lo
.LBB71_2:
	s_or_b32 exec_lo, exec_lo, s3
	s_and_saveexec_b32 s3, s2
	s_cbranch_execz .LBB71_12
; %bb.3:
	s_bfe_u32 s5, ttmp6, 0x4000c
	s_load_b64 s[2:3], s[0:1], 0x10
	s_add_co_i32 s5, s5, 1
	s_and_b32 s6, ttmp6, 15
	s_mul_i32 s5, ttmp9, s5
	s_getreg_b32 s7, hwreg(HW_REG_IB_STS2, 6, 4)
	v_lshrrev_b32_e32 v1, 6, v0
	s_add_co_i32 s6, s6, s5
	s_cmp_eq_u32 s7, 0
	s_cselect_b32 s5, ttmp9, s6
	s_delay_alu instid0(VALU_DEP_1) | instid1(SALU_CYCLE_1)
	v_lshl_or_b32 v10, s5, 2, v1
	s_mov_b32 s5, 0
	s_delay_alu instid0(VALU_DEP_1) | instskip(SKIP_1) | instid1(VALU_DEP_1)
	v_ashrrev_i32_e32 v11, 31, v10
	s_wait_kmcnt 0x0
	v_cmp_gt_i64_e32 vcc_lo, s[2:3], v[10:11]
	s_and_b32 exec_lo, exec_lo, vcc_lo
	s_cbranch_execz .LBB71_12
; %bb.4:
	s_clause 0x1
	s_load_b128 s[8:11], s[0:1], 0x18
	s_load_b32 s2, s[0:1], 0x28
	v_and_b32_e32 v0, 63, v0
	s_wait_kmcnt 0x0
	s_load_b32 s2, s[10:11], s2 offset:0x0 scale_offset
	s_wait_kmcnt 0x0
	v_add_nc_u32_e32 v1, s2, v10
	s_load_b64 s[2:3], s[0:1], 0x40
	global_load_b32 v10, v1, s[8:9] scale_offset
	s_wait_xcnt 0x0
	v_mov_b32_e32 v1, 0
	s_delay_alu instid0(VALU_DEP_1) | instskip(SKIP_3) | instid1(VALU_DEP_1)
	v_sub_nc_u64_e64 v[18:19], v[0:1], s[4:5]
	s_wait_loadcnt 0x0
	v_ashrrev_i32_e32 v11, 31, v10
	s_wait_kmcnt 0x0
	v_lshl_add_u64 v[12:13], v[10:11], 3, s[2:3]
	s_mov_b32 s3, exec_lo
	global_load_b128 v[12:15], v[12:13], off
	s_wait_loadcnt 0x0
	v_sub_nc_u64_e64 v[16:17], v[14:15], s[4:5]
	v_add_nc_u64_e32 v[18:19], v[12:13], v[18:19]
	v_mov_b64_e32 v[12:13], 0
	v_mov_b64_e32 v[14:15], 0
	s_delay_alu instid0(VALU_DEP_3)
	v_cmpx_lt_i64_e64 v[18:19], v[16:17]
	s_cbranch_execz .LBB71_8
; %bb.5:
	s_clause 0x2
	s_load_b128 s[8:11], s[0:1], 0x48
	s_load_b32 s2, s[0:1], 0x0
	s_load_b64 s[6:7], s[0:1], 0x58
	v_mov_b64_e32 v[12:13], 0
	s_wait_kmcnt 0x0
	v_lshl_add_u64 v[14:15], v[18:19], 4, s[10:11]
	v_lshl_add_u64 v[22:23], v[18:19], 2, s[8:9]
	s_bitcmp1_b32 s2, 0
	s_cselect_b32 vcc_lo, -1, 0
	s_delay_alu instid0(VALU_DEP_2)
	v_add_nc_u64_e32 v[20:21], 8, v[14:15]
	v_mov_b64_e32 v[14:15], 0
.LBB71_6:                               ; =>This Inner Loop Header: Depth=1
	global_load_b32 v1, v[22:23], off
	global_load_b128 v[24:27], v[20:21], off offset:-8
	v_add_nc_u64_e32 v[18:19], 64, v[18:19]
	s_wait_xcnt 0x0
	v_add_nc_u64_e32 v[20:21], 0x400, v[20:21]
	v_add_nc_u64_e32 v[22:23], 0x100, v[22:23]
	s_delay_alu instid0(VALU_DEP_3)
	v_cmp_ge_i64_e64 s2, v[18:19], v[16:17]
	s_or_b32 s5, s2, s5
	s_wait_loadcnt 0x1
	v_subrev_nc_u32_e32 v1, s4, v1
	global_load_b128 v[28:31], v1, s[6:7] scale_offset
	s_wait_loadcnt 0x1
	s_wait_xcnt 0x0
	v_xor_b32_e32 v1, 0x80000000, v27
	s_delay_alu instid0(VALU_DEP_1) | instskip(NEXT) | instid1(VALU_DEP_1)
	v_cndmask_b32_e32 v27, v27, v1, vcc_lo
	v_mul_f64_e64 v[32:33], v[26:27], -v[8:9]
	v_mul_f64_e32 v[26:27], v[6:7], v[26:27]
	s_delay_alu instid0(VALU_DEP_2) | instskip(NEXT) | instid1(VALU_DEP_2)
	v_fmac_f64_e32 v[32:33], v[6:7], v[24:25]
	v_fmac_f64_e32 v[26:27], v[8:9], v[24:25]
	s_wait_loadcnt 0x0
	s_delay_alu instid0(VALU_DEP_2) | instskip(NEXT) | instid1(VALU_DEP_2)
	v_fmac_f64_e32 v[14:15], v[32:33], v[28:29]
	v_fmac_f64_e32 v[12:13], v[26:27], v[28:29]
	s_delay_alu instid0(VALU_DEP_2) | instskip(NEXT) | instid1(VALU_DEP_2)
	v_fma_f64 v[14:15], -v[26:27], v[30:31], v[14:15]
	v_fmac_f64_e32 v[12:13], v[32:33], v[30:31]
	s_and_not1_b32 exec_lo, exec_lo, s5
	s_cbranch_execnz .LBB71_6
; %bb.7:
	s_or_b32 exec_lo, exec_lo, s5
.LBB71_8:
	s_delay_alu instid0(SALU_CYCLE_1) | instskip(SKIP_2) | instid1(VALU_DEP_1)
	s_or_b32 exec_lo, exec_lo, s3
	v_mbcnt_lo_u32_b32 v1, -1, 0
	s_load_b64 s[2:3], s[0:1], 0x70
	v_or_b32_e32 v6, 32, v1
	s_delay_alu instid0(VALU_DEP_1) | instskip(SKIP_1) | instid1(VALU_DEP_1)
	v_cmp_gt_i32_e32 vcc_lo, 32, v6
	v_cndmask_b32_e32 v6, v1, v6, vcc_lo
	v_lshlrev_b32_e32 v9, 2, v6
	ds_bpermute_b32 v6, v9, v14
	ds_bpermute_b32 v7, v9, v15
	;; [unrolled: 1-line block ×4, first 2 shown]
	s_wait_dscnt 0x2
	v_add_f64_e32 v[6:7], v[14:15], v[6:7]
	s_wait_dscnt 0x0
	v_add_f64_e32 v[8:9], v[12:13], v[8:9]
	v_xor_b32_e32 v12, 16, v1
	s_delay_alu instid0(VALU_DEP_1) | instskip(SKIP_1) | instid1(VALU_DEP_1)
	v_cmp_gt_i32_e32 vcc_lo, 32, v12
	v_cndmask_b32_e32 v12, v1, v12, vcc_lo
	v_lshlrev_b32_e32 v15, 2, v12
	ds_bpermute_b32 v12, v15, v6
	ds_bpermute_b32 v13, v15, v7
	;; [unrolled: 1-line block ×4, first 2 shown]
	s_wait_dscnt 0x2
	v_add_f64_e32 v[6:7], v[6:7], v[12:13]
	v_xor_b32_e32 v12, 8, v1
	s_delay_alu instid0(VALU_DEP_1) | instskip(SKIP_2) | instid1(VALU_DEP_1)
	v_cmp_gt_i32_e32 vcc_lo, 32, v12
	v_cndmask_b32_e32 v12, v1, v12, vcc_lo
	s_wait_dscnt 0x0
	v_dual_add_f64 v[8:9], v[8:9], v[14:15] :: v_dual_lshlrev_b32 v15, 2, v12
	ds_bpermute_b32 v12, v15, v6
	ds_bpermute_b32 v13, v15, v7
	;; [unrolled: 1-line block ×4, first 2 shown]
	s_wait_dscnt 0x2
	v_add_f64_e32 v[6:7], v[6:7], v[12:13]
	v_xor_b32_e32 v12, 4, v1
	s_delay_alu instid0(VALU_DEP_1) | instskip(SKIP_2) | instid1(VALU_DEP_1)
	v_cmp_gt_i32_e32 vcc_lo, 32, v12
	v_cndmask_b32_e32 v12, v1, v12, vcc_lo
	s_wait_dscnt 0x0
	v_dual_add_f64 v[8:9], v[8:9], v[14:15] :: v_dual_lshlrev_b32 v15, 2, v12
	ds_bpermute_b32 v12, v15, v6
	ds_bpermute_b32 v13, v15, v7
	s_wait_dscnt 0x0
	v_add_f64_e32 v[6:7], v[6:7], v[12:13]
	v_xor_b32_e32 v12, 2, v1
	ds_bpermute_b32 v14, v15, v8
	ds_bpermute_b32 v15, v15, v9
	v_cmp_gt_i32_e32 vcc_lo, 32, v12
	v_cndmask_b32_e32 v12, v1, v12, vcc_lo
	s_wait_dscnt 0x0
	s_delay_alu instid0(VALU_DEP_1)
	v_dual_add_f64 v[8:9], v[8:9], v[14:15] :: v_dual_lshlrev_b32 v15, 2, v12
	ds_bpermute_b32 v12, v15, v6
	ds_bpermute_b32 v13, v15, v7
	s_wait_dscnt 0x0
	v_add_f64_e32 v[6:7], v[6:7], v[12:13]
	v_xor_b32_e32 v12, 1, v1
	ds_bpermute_b32 v14, v15, v8
	ds_bpermute_b32 v15, v15, v9
	v_cmp_gt_i32_e32 vcc_lo, 32, v12
	v_cndmask_b32_e32 v1, v1, v12, vcc_lo
	v_cmp_eq_u32_e32 vcc_lo, 63, v0
	s_wait_dscnt 0x0
	s_delay_alu instid0(VALU_DEP_2)
	v_dual_add_f64 v[8:9], v[8:9], v[14:15] :: v_dual_lshlrev_b32 v1, 2, v1
	ds_bpermute_b32 v12, v1, v6
	ds_bpermute_b32 v13, v1, v7
	;; [unrolled: 1-line block ×4, first 2 shown]
	s_and_b32 exec_lo, exec_lo, vcc_lo
	s_cbranch_execz .LBB71_12
; %bb.9:
	v_cmp_neq_f64_e32 vcc_lo, 0, v[2:3]
	s_wait_xcnt 0x0
	v_cmp_neq_f64_e64 s0, 0, v[4:5]
	s_wait_dscnt 0x2
	v_add_f64_e32 v[6:7], v[6:7], v[12:13]
	s_wait_dscnt 0x0
	v_add_f64_e32 v[8:9], v[8:9], v[14:15]
	s_wait_kmcnt 0x0
	v_lshl_add_u64 v[0:1], v[10:11], 4, s[2:3]
	s_or_b32 s1, vcc_lo, s0
	s_delay_alu instid0(SALU_CYCLE_1)
	s_and_saveexec_b32 s0, s1
	s_cbranch_execz .LBB71_11
; %bb.10:
	global_load_b128 v[10:13], v[0:1], off
	s_wait_loadcnt 0x0
	v_fmac_f64_e32 v[6:7], v[2:3], v[10:11]
	v_fmac_f64_e32 v[8:9], v[4:5], v[10:11]
	s_delay_alu instid0(VALU_DEP_2) | instskip(NEXT) | instid1(VALU_DEP_2)
	v_fma_f64 v[6:7], -v[4:5], v[12:13], v[6:7]
	v_fmac_f64_e32 v[8:9], v[2:3], v[12:13]
.LBB71_11:
	s_or_b32 exec_lo, exec_lo, s0
	global_store_b128 v[0:1], v[6:9], off
.LBB71_12:
	s_endpgm
	.section	.rodata,"a",@progbits
	.p2align	6, 0x0
	.amdhsa_kernel _ZN9rocsparseL41csrmvn_lrb_medium_rows_warp_reduce_kernelILj256ELj64Eli21rocsparse_complex_numIdES2_S2_S2_EEvbT1_lPT2_S5_jNS_24const_host_device_scalarIT6_EEPKS3_PKS4_PKT3_PKT4_S8_PT5_21rocsparse_index_base_b
		.amdhsa_group_segment_fixed_size 0
		.amdhsa_private_segment_fixed_size 0
		.amdhsa_kernarg_size 128
		.amdhsa_user_sgpr_count 2
		.amdhsa_user_sgpr_dispatch_ptr 0
		.amdhsa_user_sgpr_queue_ptr 0
		.amdhsa_user_sgpr_kernarg_segment_ptr 1
		.amdhsa_user_sgpr_dispatch_id 0
		.amdhsa_user_sgpr_kernarg_preload_length 0
		.amdhsa_user_sgpr_kernarg_preload_offset 0
		.amdhsa_user_sgpr_private_segment_size 0
		.amdhsa_wavefront_size32 1
		.amdhsa_uses_dynamic_stack 0
		.amdhsa_enable_private_segment 0
		.amdhsa_system_sgpr_workgroup_id_x 1
		.amdhsa_system_sgpr_workgroup_id_y 0
		.amdhsa_system_sgpr_workgroup_id_z 0
		.amdhsa_system_sgpr_workgroup_info 0
		.amdhsa_system_vgpr_workitem_id 0
		.amdhsa_next_free_vgpr 34
		.amdhsa_next_free_sgpr 12
		.amdhsa_named_barrier_count 0
		.amdhsa_reserve_vcc 1
		.amdhsa_float_round_mode_32 0
		.amdhsa_float_round_mode_16_64 0
		.amdhsa_float_denorm_mode_32 3
		.amdhsa_float_denorm_mode_16_64 3
		.amdhsa_fp16_overflow 0
		.amdhsa_memory_ordered 1
		.amdhsa_forward_progress 1
		.amdhsa_inst_pref_size 10
		.amdhsa_round_robin_scheduling 0
		.amdhsa_exception_fp_ieee_invalid_op 0
		.amdhsa_exception_fp_denorm_src 0
		.amdhsa_exception_fp_ieee_div_zero 0
		.amdhsa_exception_fp_ieee_overflow 0
		.amdhsa_exception_fp_ieee_underflow 0
		.amdhsa_exception_fp_ieee_inexact 0
		.amdhsa_exception_int_div_zero 0
	.end_amdhsa_kernel
	.section	.text._ZN9rocsparseL41csrmvn_lrb_medium_rows_warp_reduce_kernelILj256ELj64Eli21rocsparse_complex_numIdES2_S2_S2_EEvbT1_lPT2_S5_jNS_24const_host_device_scalarIT6_EEPKS3_PKS4_PKT3_PKT4_S8_PT5_21rocsparse_index_base_b,"axG",@progbits,_ZN9rocsparseL41csrmvn_lrb_medium_rows_warp_reduce_kernelILj256ELj64Eli21rocsparse_complex_numIdES2_S2_S2_EEvbT1_lPT2_S5_jNS_24const_host_device_scalarIT6_EEPKS3_PKS4_PKT3_PKT4_S8_PT5_21rocsparse_index_base_b,comdat
.Lfunc_end71:
	.size	_ZN9rocsparseL41csrmvn_lrb_medium_rows_warp_reduce_kernelILj256ELj64Eli21rocsparse_complex_numIdES2_S2_S2_EEvbT1_lPT2_S5_jNS_24const_host_device_scalarIT6_EEPKS3_PKS4_PKT3_PKT4_S8_PT5_21rocsparse_index_base_b, .Lfunc_end71-_ZN9rocsparseL41csrmvn_lrb_medium_rows_warp_reduce_kernelILj256ELj64Eli21rocsparse_complex_numIdES2_S2_S2_EEvbT1_lPT2_S5_jNS_24const_host_device_scalarIT6_EEPKS3_PKS4_PKT3_PKT4_S8_PT5_21rocsparse_index_base_b
                                        ; -- End function
	.set _ZN9rocsparseL41csrmvn_lrb_medium_rows_warp_reduce_kernelILj256ELj64Eli21rocsparse_complex_numIdES2_S2_S2_EEvbT1_lPT2_S5_jNS_24const_host_device_scalarIT6_EEPKS3_PKS4_PKT3_PKT4_S8_PT5_21rocsparse_index_base_b.num_vgpr, 34
	.set _ZN9rocsparseL41csrmvn_lrb_medium_rows_warp_reduce_kernelILj256ELj64Eli21rocsparse_complex_numIdES2_S2_S2_EEvbT1_lPT2_S5_jNS_24const_host_device_scalarIT6_EEPKS3_PKS4_PKT3_PKT4_S8_PT5_21rocsparse_index_base_b.num_agpr, 0
	.set _ZN9rocsparseL41csrmvn_lrb_medium_rows_warp_reduce_kernelILj256ELj64Eli21rocsparse_complex_numIdES2_S2_S2_EEvbT1_lPT2_S5_jNS_24const_host_device_scalarIT6_EEPKS3_PKS4_PKT3_PKT4_S8_PT5_21rocsparse_index_base_b.numbered_sgpr, 12
	.set _ZN9rocsparseL41csrmvn_lrb_medium_rows_warp_reduce_kernelILj256ELj64Eli21rocsparse_complex_numIdES2_S2_S2_EEvbT1_lPT2_S5_jNS_24const_host_device_scalarIT6_EEPKS3_PKS4_PKT3_PKT4_S8_PT5_21rocsparse_index_base_b.num_named_barrier, 0
	.set _ZN9rocsparseL41csrmvn_lrb_medium_rows_warp_reduce_kernelILj256ELj64Eli21rocsparse_complex_numIdES2_S2_S2_EEvbT1_lPT2_S5_jNS_24const_host_device_scalarIT6_EEPKS3_PKS4_PKT3_PKT4_S8_PT5_21rocsparse_index_base_b.private_seg_size, 0
	.set _ZN9rocsparseL41csrmvn_lrb_medium_rows_warp_reduce_kernelILj256ELj64Eli21rocsparse_complex_numIdES2_S2_S2_EEvbT1_lPT2_S5_jNS_24const_host_device_scalarIT6_EEPKS3_PKS4_PKT3_PKT4_S8_PT5_21rocsparse_index_base_b.uses_vcc, 1
	.set _ZN9rocsparseL41csrmvn_lrb_medium_rows_warp_reduce_kernelILj256ELj64Eli21rocsparse_complex_numIdES2_S2_S2_EEvbT1_lPT2_S5_jNS_24const_host_device_scalarIT6_EEPKS3_PKS4_PKT3_PKT4_S8_PT5_21rocsparse_index_base_b.uses_flat_scratch, 0
	.set _ZN9rocsparseL41csrmvn_lrb_medium_rows_warp_reduce_kernelILj256ELj64Eli21rocsparse_complex_numIdES2_S2_S2_EEvbT1_lPT2_S5_jNS_24const_host_device_scalarIT6_EEPKS3_PKS4_PKT3_PKT4_S8_PT5_21rocsparse_index_base_b.has_dyn_sized_stack, 0
	.set _ZN9rocsparseL41csrmvn_lrb_medium_rows_warp_reduce_kernelILj256ELj64Eli21rocsparse_complex_numIdES2_S2_S2_EEvbT1_lPT2_S5_jNS_24const_host_device_scalarIT6_EEPKS3_PKS4_PKT3_PKT4_S8_PT5_21rocsparse_index_base_b.has_recursion, 0
	.set _ZN9rocsparseL41csrmvn_lrb_medium_rows_warp_reduce_kernelILj256ELj64Eli21rocsparse_complex_numIdES2_S2_S2_EEvbT1_lPT2_S5_jNS_24const_host_device_scalarIT6_EEPKS3_PKS4_PKT3_PKT4_S8_PT5_21rocsparse_index_base_b.has_indirect_call, 0
	.section	.AMDGPU.csdata,"",@progbits
; Kernel info:
; codeLenInByte = 1236
; TotalNumSgprs: 14
; NumVgprs: 34
; ScratchSize: 0
; MemoryBound: 0
; FloatMode: 240
; IeeeMode: 1
; LDSByteSize: 0 bytes/workgroup (compile time only)
; SGPRBlocks: 0
; VGPRBlocks: 2
; NumSGPRsForWavesPerEU: 14
; NumVGPRsForWavesPerEU: 34
; NamedBarCnt: 0
; Occupancy: 16
; WaveLimiterHint : 1
; COMPUTE_PGM_RSRC2:SCRATCH_EN: 0
; COMPUTE_PGM_RSRC2:USER_SGPR: 2
; COMPUTE_PGM_RSRC2:TRAP_HANDLER: 0
; COMPUTE_PGM_RSRC2:TGID_X_EN: 1
; COMPUTE_PGM_RSRC2:TGID_Y_EN: 0
; COMPUTE_PGM_RSRC2:TGID_Z_EN: 0
; COMPUTE_PGM_RSRC2:TIDIG_COMP_CNT: 0
	.section	.text._ZN9rocsparseL29csrmvn_lrb_medium_rows_kernelILj256Eli21rocsparse_complex_numIdES2_S2_S2_EEvbT0_PT1_S5_jNS_24const_host_device_scalarIT5_EEPKS3_PKS4_PKT2_PKT3_S8_PT4_21rocsparse_index_base_b,"axG",@progbits,_ZN9rocsparseL29csrmvn_lrb_medium_rows_kernelILj256Eli21rocsparse_complex_numIdES2_S2_S2_EEvbT0_PT1_S5_jNS_24const_host_device_scalarIT5_EEPKS3_PKS4_PKT2_PKT3_S8_PT4_21rocsparse_index_base_b,comdat
	.globl	_ZN9rocsparseL29csrmvn_lrb_medium_rows_kernelILj256Eli21rocsparse_complex_numIdES2_S2_S2_EEvbT0_PT1_S5_jNS_24const_host_device_scalarIT5_EEPKS3_PKS4_PKT2_PKT3_S8_PT4_21rocsparse_index_base_b ; -- Begin function _ZN9rocsparseL29csrmvn_lrb_medium_rows_kernelILj256Eli21rocsparse_complex_numIdES2_S2_S2_EEvbT0_PT1_S5_jNS_24const_host_device_scalarIT5_EEPKS3_PKS4_PKT2_PKT3_S8_PT4_21rocsparse_index_base_b
	.p2align	8
	.type	_ZN9rocsparseL29csrmvn_lrb_medium_rows_kernelILj256Eli21rocsparse_complex_numIdES2_S2_S2_EEvbT0_PT1_S5_jNS_24const_host_device_scalarIT5_EEPKS3_PKS4_PKT2_PKT3_S8_PT4_21rocsparse_index_base_b,@function
_ZN9rocsparseL29csrmvn_lrb_medium_rows_kernelILj256Eli21rocsparse_complex_numIdES2_S2_S2_EEvbT0_PT1_S5_jNS_24const_host_device_scalarIT5_EEPKS3_PKS4_PKT2_PKT3_S8_PT4_21rocsparse_index_base_b: ; @_ZN9rocsparseL29csrmvn_lrb_medium_rows_kernelILj256Eli21rocsparse_complex_numIdES2_S2_S2_EEvbT0_PT1_S5_jNS_24const_host_device_scalarIT5_EEPKS3_PKS4_PKT2_PKT3_S8_PT4_21rocsparse_index_base_b
; %bb.0:
	s_clause 0x1
	s_load_b64 s[6:7], s[0:1], 0x70
	s_load_b64 s[2:3], s[0:1], 0x28
	v_mov_b32_e32 v1, 0
	s_add_nc_u64 s[4:5], s[0:1], 40
	s_load_b64 s[8:9], s[0:1], 0x58
	s_wait_kmcnt 0x0
	s_bitcmp1_b32 s7, 0
	s_cselect_b32 s3, s5, s3
	s_cselect_b32 s2, s4, s2
	flat_load_b128 v[6:9], v1, s[2:3]
	s_wait_xcnt 0x0
	s_add_nc_u64 s[2:3], s[0:1], 0x58
	s_delay_alu instid0(SALU_CYCLE_1)
	s_cselect_b32 s3, s3, s9
	s_cselect_b32 s2, s2, s8
	flat_load_b128 v[2:5], v1, s[2:3]
	s_wait_loadcnt_dscnt 0x101
	v_cmp_eq_f64_e32 vcc_lo, 0, v[6:7]
	s_wait_xcnt 0x0
	v_cmp_eq_f64_e64 s2, 0, v[8:9]
	s_and_b32 s4, vcc_lo, s2
	s_mov_b32 s2, -1
	s_and_saveexec_b32 s3, s4
	s_cbranch_execz .LBB72_2
; %bb.1:
	s_wait_loadcnt_dscnt 0x0
	v_cmp_neq_f64_e32 vcc_lo, 1.0, v[2:3]
	v_cmp_neq_f64_e64 s2, 0, v[4:5]
	s_or_b32 s2, vcc_lo, s2
	s_delay_alu instid0(SALU_CYCLE_1)
	s_or_not1_b32 s2, s2, exec_lo
.LBB72_2:
	s_or_b32 exec_lo, exec_lo, s3
	s_and_saveexec_b32 s3, s2
	s_cbranch_execz .LBB72_27
; %bb.3:
	s_clause 0x1
	s_load_b128 s[8:11], s[0:1], 0x10
	s_load_b32 s2, s[0:1], 0x20
	s_bfe_u32 s3, ttmp6, 0x4000c
	s_and_b32 s4, ttmp6, 15
	s_add_co_i32 s3, s3, 1
	s_getreg_b32 s5, hwreg(HW_REG_IB_STS2, 6, 4)
	s_mul_i32 s3, ttmp9, s3
	v_mov_b32_e32 v1, 0
	s_add_co_i32 s4, s4, s3
	s_cmp_eq_u32 s5, 0
	s_mov_b32 s7, 0
	s_cselect_b32 s3, ttmp9, s4
	v_sub_nc_u64_e64 v[10:11], v[0:1], s[6:7]
	v_mov_b64_e32 v[12:13], 0
	s_wait_kmcnt 0x0
	s_load_b32 s2, s[10:11], s2 offset:0x0 scale_offset
	s_wait_kmcnt 0x0
	s_add_co_i32 s2, s2, s3
	s_delay_alu instid0(SALU_CYCLE_1) | instskip(NEXT) | instid1(SALU_CYCLE_1)
	s_ashr_i32 s3, s2, 31
	s_lshl_b64 s[2:3], s[2:3], 2
	s_delay_alu instid0(SALU_CYCLE_1) | instskip(SKIP_4) | instid1(SALU_CYCLE_1)
	s_add_nc_u64 s[2:3], s[8:9], s[2:3]
	s_load_b32 s4, s[2:3], 0x0
	s_load_b64 s[8:9], s[0:1], 0x38
	s_wait_kmcnt 0x0
	s_ashr_i32 s5, s4, 31
	s_lshl_b64 s[2:3], s[4:5], 3
	s_delay_alu instid0(SALU_CYCLE_1)
	s_add_nc_u64 s[2:3], s[8:9], s[2:3]
	s_load_b128 s[8:11], s[2:3], 0x0
	s_wait_xcnt 0x0
	s_mov_b32 s3, exec_lo
	s_wait_kmcnt 0x0
	v_add_nc_u64_e32 v[14:15], s[8:9], v[10:11]
	v_mov_b64_e32 v[10:11], 0
	s_sub_nc_u64 s[8:9], s[10:11], s[6:7]
	s_delay_alu instid0(VALU_DEP_2) | instid1(SALU_CYCLE_1)
	v_cmpx_gt_i64_e64 s[8:9], v[14:15]
	s_cbranch_execz .LBB72_7
; %bb.4:
	s_clause 0x2
	s_load_b128 s[12:15], s[0:1], 0x40
	s_load_b32 s2, s[0:1], 0x0
	s_load_b64 s[10:11], s[0:1], 0x50
	v_mov_b64_e32 v[12:13], 0
	s_wait_kmcnt 0x0
	v_lshl_add_u64 v[10:11], v[14:15], 4, s[14:15]
	v_lshl_add_u64 v[18:19], v[14:15], 2, s[12:13]
	s_bitcmp1_b32 s2, 0
	s_cselect_b32 vcc_lo, -1, 0
	s_delay_alu instid0(VALU_DEP_2)
	v_add_nc_u64_e32 v[16:17], 8, v[10:11]
	v_mov_b64_e32 v[10:11], v[12:13]
.LBB72_5:                               ; =>This Inner Loop Header: Depth=1
	global_load_b32 v1, v[18:19], off
	global_load_b128 v[20:23], v[16:17], off offset:-8
	v_add_nc_u64_e32 v[14:15], 0x100, v[14:15]
	s_wait_xcnt 0x0
	v_add_nc_u64_e32 v[16:17], 0x1000, v[16:17]
	v_add_nc_u64_e32 v[18:19], 0x400, v[18:19]
	s_delay_alu instid0(VALU_DEP_3)
	v_cmp_le_i64_e64 s2, s[8:9], v[14:15]
	s_or_b32 s7, s2, s7
	s_wait_loadcnt 0x1
	v_subrev_nc_u32_e32 v1, s6, v1
	global_load_b128 v[24:27], v1, s[10:11] scale_offset
	s_wait_loadcnt 0x1
	s_wait_xcnt 0x0
	v_xor_b32_e32 v1, 0x80000000, v23
	s_delay_alu instid0(VALU_DEP_1) | instskip(NEXT) | instid1(VALU_DEP_1)
	v_cndmask_b32_e32 v23, v23, v1, vcc_lo
	v_mul_f64_e64 v[28:29], v[22:23], -v[8:9]
	v_mul_f64_e32 v[22:23], v[6:7], v[22:23]
	s_delay_alu instid0(VALU_DEP_2) | instskip(NEXT) | instid1(VALU_DEP_2)
	v_fmac_f64_e32 v[28:29], v[6:7], v[20:21]
	v_fmac_f64_e32 v[22:23], v[8:9], v[20:21]
	s_wait_loadcnt 0x0
	s_delay_alu instid0(VALU_DEP_2) | instskip(NEXT) | instid1(VALU_DEP_2)
	v_fmac_f64_e32 v[10:11], v[28:29], v[24:25]
	v_fmac_f64_e32 v[12:13], v[22:23], v[24:25]
	s_delay_alu instid0(VALU_DEP_2) | instskip(NEXT) | instid1(VALU_DEP_2)
	v_fma_f64 v[10:11], -v[22:23], v[26:27], v[10:11]
	v_fmac_f64_e32 v[12:13], v[28:29], v[26:27]
	s_and_not1_b32 exec_lo, exec_lo, s7
	s_cbranch_execnz .LBB72_5
; %bb.6:
	s_or_b32 exec_lo, exec_lo, s7
.LBB72_7:
	s_delay_alu instid0(SALU_CYCLE_1)
	s_or_b32 exec_lo, exec_lo, s3
	s_load_b64 s[2:3], s[0:1], 0x68
	v_lshlrev_b32_e32 v1, 4, v0
	s_wait_xcnt 0x0
	s_mov_b32 s0, exec_lo
	ds_store_b128 v1, v[10:13]
	s_wait_loadcnt_dscnt 0x0
	s_barrier_signal -1
	s_barrier_wait -1
	v_cmpx_gt_u32_e32 0x80, v0
	s_cbranch_execz .LBB72_9
; %bb.8:
	ds_load_b128 v[6:9], v1 offset:2048
	ds_load_b128 v[10:13], v1
	s_wait_dscnt 0x0
	v_add_f64_e32 v[6:7], v[6:7], v[10:11]
	v_add_f64_e32 v[8:9], v[8:9], v[12:13]
	ds_store_b128 v1, v[6:9]
.LBB72_9:
	s_or_b32 exec_lo, exec_lo, s0
	s_delay_alu instid0(SALU_CYCLE_1)
	s_mov_b32 s0, exec_lo
	s_wait_dscnt 0x0
	s_barrier_signal -1
	s_barrier_wait -1
	v_cmpx_gt_u32_e32 64, v0
	s_cbranch_execz .LBB72_11
; %bb.10:
	ds_load_b128 v[6:9], v1 offset:1024
	ds_load_b128 v[10:13], v1
	s_wait_dscnt 0x0
	v_add_f64_e32 v[6:7], v[6:7], v[10:11]
	v_add_f64_e32 v[8:9], v[8:9], v[12:13]
	ds_store_b128 v1, v[6:9]
.LBB72_11:
	s_or_b32 exec_lo, exec_lo, s0
	s_delay_alu instid0(SALU_CYCLE_1)
	s_mov_b32 s0, exec_lo
	s_wait_dscnt 0x0
	;; [unrolled: 16-line block ×6, first 2 shown]
	s_barrier_signal -1
	s_barrier_wait -1
	v_cmpx_gt_u32_e32 2, v0
	s_cbranch_execz .LBB72_21
; %bb.20:
	ds_load_b128 v[6:9], v1
	ds_load_b128 v[10:13], v1 offset:32
	s_wait_dscnt 0x0
	v_add_f64_e32 v[6:7], v[10:11], v[6:7]
	v_add_f64_e32 v[8:9], v[12:13], v[8:9]
	ds_store_b128 v1, v[6:9]
.LBB72_21:
	s_or_b32 exec_lo, exec_lo, s0
	v_cmp_eq_u32_e32 vcc_lo, 0, v0
	s_wait_dscnt 0x0
	s_barrier_signal -1
	s_barrier_wait -1
	s_and_saveexec_b32 s0, vcc_lo
	s_cbranch_execz .LBB72_23
; %bb.22:
	v_mov_b32_e32 v0, 0
	ds_load_b128 v[6:9], v0
	ds_load_b128 v[10:13], v0 offset:16
	s_wait_dscnt 0x0
	v_add_f64_e32 v[6:7], v[10:11], v[6:7]
	v_add_f64_e32 v[8:9], v[12:13], v[8:9]
	ds_store_b128 v0, v[6:9]
.LBB72_23:
	s_or_b32 exec_lo, exec_lo, s0
	s_wait_dscnt 0x0
	s_barrier_signal -1
	s_barrier_wait -1
	s_and_b32 exec_lo, exec_lo, vcc_lo
	s_cbranch_execz .LBB72_27
; %bb.24:
	v_cmp_neq_f64_e32 vcc_lo, 0, v[2:3]
	v_cmp_neq_f64_e64 s0, 0, v[4:5]
	v_mov_b32_e32 v0, 0
	ds_load_b128 v[6:9], v0
	s_or_b32 s1, vcc_lo, s0
	s_delay_alu instid0(SALU_CYCLE_1)
	s_and_saveexec_b32 s0, s1
	s_cbranch_execz .LBB72_26
; %bb.25:
	s_lshl_b64 s[6:7], s[4:5], 4
	s_wait_kmcnt 0x0
	s_add_nc_u64 s[6:7], s[2:3], s[6:7]
	s_load_b128 s[8:11], s[6:7], 0x0
	s_wait_dscnt 0x0
	s_wait_kmcnt 0x0
	v_fmac_f64_e32 v[6:7], s[8:9], v[2:3]
	v_fmac_f64_e32 v[8:9], s[8:9], v[4:5]
	s_delay_alu instid0(VALU_DEP_2) | instskip(NEXT) | instid1(VALU_DEP_2)
	v_fma_f64 v[6:7], -v[4:5], s[10:11], v[6:7]
	v_fmac_f64_e32 v[8:9], s[10:11], v[2:3]
.LBB72_26:
	s_or_b32 exec_lo, exec_lo, s0
	s_lshl_b64 s[0:1], s[4:5], 4
	s_wait_kmcnt 0x0
	s_add_nc_u64 s[0:1], s[2:3], s[0:1]
	s_wait_dscnt 0x0
	global_store_b128 v0, v[6:9], s[0:1]
.LBB72_27:
	s_endpgm
	.section	.rodata,"a",@progbits
	.p2align	6, 0x0
	.amdhsa_kernel _ZN9rocsparseL29csrmvn_lrb_medium_rows_kernelILj256Eli21rocsparse_complex_numIdES2_S2_S2_EEvbT0_PT1_S5_jNS_24const_host_device_scalarIT5_EEPKS3_PKS4_PKT2_PKT3_S8_PT4_21rocsparse_index_base_b
		.amdhsa_group_segment_fixed_size 4096
		.amdhsa_private_segment_fixed_size 0
		.amdhsa_kernarg_size 120
		.amdhsa_user_sgpr_count 2
		.amdhsa_user_sgpr_dispatch_ptr 0
		.amdhsa_user_sgpr_queue_ptr 0
		.amdhsa_user_sgpr_kernarg_segment_ptr 1
		.amdhsa_user_sgpr_dispatch_id 0
		.amdhsa_user_sgpr_kernarg_preload_length 0
		.amdhsa_user_sgpr_kernarg_preload_offset 0
		.amdhsa_user_sgpr_private_segment_size 0
		.amdhsa_wavefront_size32 1
		.amdhsa_uses_dynamic_stack 0
		.amdhsa_enable_private_segment 0
		.amdhsa_system_sgpr_workgroup_id_x 1
		.amdhsa_system_sgpr_workgroup_id_y 0
		.amdhsa_system_sgpr_workgroup_id_z 0
		.amdhsa_system_sgpr_workgroup_info 0
		.amdhsa_system_vgpr_workitem_id 0
		.amdhsa_next_free_vgpr 30
		.amdhsa_next_free_sgpr 16
		.amdhsa_named_barrier_count 0
		.amdhsa_reserve_vcc 1
		.amdhsa_float_round_mode_32 0
		.amdhsa_float_round_mode_16_64 0
		.amdhsa_float_denorm_mode_32 3
		.amdhsa_float_denorm_mode_16_64 3
		.amdhsa_fp16_overflow 0
		.amdhsa_memory_ordered 1
		.amdhsa_forward_progress 1
		.amdhsa_inst_pref_size 11
		.amdhsa_round_robin_scheduling 0
		.amdhsa_exception_fp_ieee_invalid_op 0
		.amdhsa_exception_fp_denorm_src 0
		.amdhsa_exception_fp_ieee_div_zero 0
		.amdhsa_exception_fp_ieee_overflow 0
		.amdhsa_exception_fp_ieee_underflow 0
		.amdhsa_exception_fp_ieee_inexact 0
		.amdhsa_exception_int_div_zero 0
	.end_amdhsa_kernel
	.section	.text._ZN9rocsparseL29csrmvn_lrb_medium_rows_kernelILj256Eli21rocsparse_complex_numIdES2_S2_S2_EEvbT0_PT1_S5_jNS_24const_host_device_scalarIT5_EEPKS3_PKS4_PKT2_PKT3_S8_PT4_21rocsparse_index_base_b,"axG",@progbits,_ZN9rocsparseL29csrmvn_lrb_medium_rows_kernelILj256Eli21rocsparse_complex_numIdES2_S2_S2_EEvbT0_PT1_S5_jNS_24const_host_device_scalarIT5_EEPKS3_PKS4_PKT2_PKT3_S8_PT4_21rocsparse_index_base_b,comdat
.Lfunc_end72:
	.size	_ZN9rocsparseL29csrmvn_lrb_medium_rows_kernelILj256Eli21rocsparse_complex_numIdES2_S2_S2_EEvbT0_PT1_S5_jNS_24const_host_device_scalarIT5_EEPKS3_PKS4_PKT2_PKT3_S8_PT4_21rocsparse_index_base_b, .Lfunc_end72-_ZN9rocsparseL29csrmvn_lrb_medium_rows_kernelILj256Eli21rocsparse_complex_numIdES2_S2_S2_EEvbT0_PT1_S5_jNS_24const_host_device_scalarIT5_EEPKS3_PKS4_PKT2_PKT3_S8_PT4_21rocsparse_index_base_b
                                        ; -- End function
	.set _ZN9rocsparseL29csrmvn_lrb_medium_rows_kernelILj256Eli21rocsparse_complex_numIdES2_S2_S2_EEvbT0_PT1_S5_jNS_24const_host_device_scalarIT5_EEPKS3_PKS4_PKT2_PKT3_S8_PT4_21rocsparse_index_base_b.num_vgpr, 30
	.set _ZN9rocsparseL29csrmvn_lrb_medium_rows_kernelILj256Eli21rocsparse_complex_numIdES2_S2_S2_EEvbT0_PT1_S5_jNS_24const_host_device_scalarIT5_EEPKS3_PKS4_PKT2_PKT3_S8_PT4_21rocsparse_index_base_b.num_agpr, 0
	.set _ZN9rocsparseL29csrmvn_lrb_medium_rows_kernelILj256Eli21rocsparse_complex_numIdES2_S2_S2_EEvbT0_PT1_S5_jNS_24const_host_device_scalarIT5_EEPKS3_PKS4_PKT2_PKT3_S8_PT4_21rocsparse_index_base_b.numbered_sgpr, 16
	.set _ZN9rocsparseL29csrmvn_lrb_medium_rows_kernelILj256Eli21rocsparse_complex_numIdES2_S2_S2_EEvbT0_PT1_S5_jNS_24const_host_device_scalarIT5_EEPKS3_PKS4_PKT2_PKT3_S8_PT4_21rocsparse_index_base_b.num_named_barrier, 0
	.set _ZN9rocsparseL29csrmvn_lrb_medium_rows_kernelILj256Eli21rocsparse_complex_numIdES2_S2_S2_EEvbT0_PT1_S5_jNS_24const_host_device_scalarIT5_EEPKS3_PKS4_PKT2_PKT3_S8_PT4_21rocsparse_index_base_b.private_seg_size, 0
	.set _ZN9rocsparseL29csrmvn_lrb_medium_rows_kernelILj256Eli21rocsparse_complex_numIdES2_S2_S2_EEvbT0_PT1_S5_jNS_24const_host_device_scalarIT5_EEPKS3_PKS4_PKT2_PKT3_S8_PT4_21rocsparse_index_base_b.uses_vcc, 1
	.set _ZN9rocsparseL29csrmvn_lrb_medium_rows_kernelILj256Eli21rocsparse_complex_numIdES2_S2_S2_EEvbT0_PT1_S5_jNS_24const_host_device_scalarIT5_EEPKS3_PKS4_PKT2_PKT3_S8_PT4_21rocsparse_index_base_b.uses_flat_scratch, 0
	.set _ZN9rocsparseL29csrmvn_lrb_medium_rows_kernelILj256Eli21rocsparse_complex_numIdES2_S2_S2_EEvbT0_PT1_S5_jNS_24const_host_device_scalarIT5_EEPKS3_PKS4_PKT2_PKT3_S8_PT4_21rocsparse_index_base_b.has_dyn_sized_stack, 0
	.set _ZN9rocsparseL29csrmvn_lrb_medium_rows_kernelILj256Eli21rocsparse_complex_numIdES2_S2_S2_EEvbT0_PT1_S5_jNS_24const_host_device_scalarIT5_EEPKS3_PKS4_PKT2_PKT3_S8_PT4_21rocsparse_index_base_b.has_recursion, 0
	.set _ZN9rocsparseL29csrmvn_lrb_medium_rows_kernelILj256Eli21rocsparse_complex_numIdES2_S2_S2_EEvbT0_PT1_S5_jNS_24const_host_device_scalarIT5_EEPKS3_PKS4_PKT2_PKT3_S8_PT4_21rocsparse_index_base_b.has_indirect_call, 0
	.section	.AMDGPU.csdata,"",@progbits
; Kernel info:
; codeLenInByte = 1352
; TotalNumSgprs: 18
; NumVgprs: 30
; ScratchSize: 0
; MemoryBound: 0
; FloatMode: 240
; IeeeMode: 1
; LDSByteSize: 4096 bytes/workgroup (compile time only)
; SGPRBlocks: 0
; VGPRBlocks: 1
; NumSGPRsForWavesPerEU: 18
; NumVGPRsForWavesPerEU: 30
; NamedBarCnt: 0
; Occupancy: 16
; WaveLimiterHint : 1
; COMPUTE_PGM_RSRC2:SCRATCH_EN: 0
; COMPUTE_PGM_RSRC2:USER_SGPR: 2
; COMPUTE_PGM_RSRC2:TRAP_HANDLER: 0
; COMPUTE_PGM_RSRC2:TGID_X_EN: 1
; COMPUTE_PGM_RSRC2:TGID_Y_EN: 0
; COMPUTE_PGM_RSRC2:TGID_Z_EN: 0
; COMPUTE_PGM_RSRC2:TIDIG_COMP_CNT: 0
	.section	.text._ZN9rocsparseL27csrmvn_lrb_long_rows_kernelIli21rocsparse_complex_numIdES2_S2_S2_EEvbT_PjPT0_S6_jNS_24const_host_device_scalarIT4_EEPKS3_PKS5_PKT1_PKT2_S9_PT3_21rocsparse_index_base_b,"axG",@progbits,_ZN9rocsparseL27csrmvn_lrb_long_rows_kernelIli21rocsparse_complex_numIdES2_S2_S2_EEvbT_PjPT0_S6_jNS_24const_host_device_scalarIT4_EEPKS3_PKS5_PKT1_PKT2_S9_PT3_21rocsparse_index_base_b,comdat
	.globl	_ZN9rocsparseL27csrmvn_lrb_long_rows_kernelIli21rocsparse_complex_numIdES2_S2_S2_EEvbT_PjPT0_S6_jNS_24const_host_device_scalarIT4_EEPKS3_PKS5_PKT1_PKT2_S9_PT3_21rocsparse_index_base_b ; -- Begin function _ZN9rocsparseL27csrmvn_lrb_long_rows_kernelIli21rocsparse_complex_numIdES2_S2_S2_EEvbT_PjPT0_S6_jNS_24const_host_device_scalarIT4_EEPKS3_PKS5_PKT1_PKT2_S9_PT3_21rocsparse_index_base_b
	.p2align	8
	.type	_ZN9rocsparseL27csrmvn_lrb_long_rows_kernelIli21rocsparse_complex_numIdES2_S2_S2_EEvbT_PjPT0_S6_jNS_24const_host_device_scalarIT4_EEPKS3_PKS5_PKT1_PKT2_S9_PT3_21rocsparse_index_base_b,@function
_ZN9rocsparseL27csrmvn_lrb_long_rows_kernelIli21rocsparse_complex_numIdES2_S2_S2_EEvbT_PjPT0_S6_jNS_24const_host_device_scalarIT4_EEPKS3_PKS5_PKT1_PKT2_S9_PT3_21rocsparse_index_base_b: ; @_ZN9rocsparseL27csrmvn_lrb_long_rows_kernelIli21rocsparse_complex_numIdES2_S2_S2_EEvbT_PjPT0_S6_jNS_24const_host_device_scalarIT4_EEPKS3_PKS5_PKT1_PKT2_S9_PT3_21rocsparse_index_base_b
; %bb.0:
	s_clause 0x1
	s_load_b64 s[20:21], s[0:1], 0x78
	s_load_b64 s[2:3], s[0:1], 0x30
	v_mov_b32_e32 v1, 0
	s_add_nc_u64 s[4:5], s[0:1], 48
	s_load_b64 s[6:7], s[0:1], 0x60
	s_wait_kmcnt 0x0
	s_bitcmp1_b32 s21, 0
	s_cselect_b32 s3, s5, s3
	s_cselect_b32 s2, s4, s2
	flat_load_b128 v[2:5], v1, s[2:3]
	s_wait_xcnt 0x0
	s_add_nc_u64 s[2:3], s[0:1], 0x60
	s_delay_alu instid0(SALU_CYCLE_1)
	s_cselect_b32 s3, s3, s7
	s_cselect_b32 s2, s2, s6
	flat_load_b128 v[10:13], v1, s[2:3]
	s_wait_loadcnt_dscnt 0x101
	v_cmp_eq_f64_e32 vcc_lo, 0, v[2:3]
	s_wait_xcnt 0x0
	v_cmp_eq_f64_e64 s2, 0, v[4:5]
	s_and_b32 s4, vcc_lo, s2
	s_mov_b32 s2, -1
	s_and_saveexec_b32 s3, s4
	s_cbranch_execz .LBB73_2
; %bb.1:
	s_wait_loadcnt_dscnt 0x0
	v_cmp_neq_f64_e32 vcc_lo, 1.0, v[10:11]
	v_cmp_neq_f64_e64 s2, 0, v[12:13]
	s_or_b32 s2, vcc_lo, s2
	s_delay_alu instid0(SALU_CYCLE_1)
	s_or_not1_b32 s2, s2, exec_lo
.LBB73_2:
	s_or_b32 exec_lo, exec_lo, s3
	s_and_saveexec_b32 s3, s2
	s_cbranch_execz .LBB73_38
; %bb.3:
	s_load_b96 s[4:6], s[0:1], 0x20
	s_bfe_u32 s8, ttmp6, 0x4000c
	s_and_b32 s7, ttmp6, 15
	s_add_co_i32 s8, s8, 1
	s_getreg_b32 s9, hwreg(HW_REG_IB_STS2, 6, 4)
	s_mul_i32 s8, ttmp9, s8
	v_mov_b64_e32 v[6:7], 0
	s_add_co_i32 s7, s7, s8
	v_mov_b64_e32 v[8:9], 0
	s_mov_b32 s23, 0
	s_wait_kmcnt 0x0
	s_lshl_b32 s2, -1, s6
	s_load_b32 s8, s[4:5], s6 offset:0x0 scale_offset
	s_not_b32 s2, s2
	s_delay_alu instid0(SALU_CYCLE_1) | instskip(NEXT) | instid1(SALU_CYCLE_1)
	s_mul_hi_u32 s2, s2, 0x2aaaaaab
	s_lshr_b32 s2, s2, 7
	s_delay_alu instid0(SALU_CYCLE_1) | instskip(SKIP_2) | instid1(SALU_CYCLE_3)
	s_add_co_i32 s21, s2, 1
	s_not_b32 s2, s2
	s_cvt_f32_u32 s3, s21
	v_rcp_iflag_f32_e32 v1, s3
	v_nop
	s_delay_alu instid0(TRANS32_DEP_1) | instskip(SKIP_1) | instid1(SALU_CYCLE_3)
	v_readfirstlane_b32 s3, v1
	s_mul_f32 s3, s3, 0x4f7ffffe
	s_cvt_u32_f32 s3, s3
	s_delay_alu instid0(SALU_CYCLE_3) | instskip(NEXT) | instid1(SALU_CYCLE_1)
	s_mul_i32 s2, s2, s3
	s_mul_hi_u32 s2, s3, s2
	s_delay_alu instid0(SALU_CYCLE_1)
	s_add_co_i32 s3, s3, s2
	s_cmp_eq_u32 s9, 0
	s_cselect_b32 s12, ttmp9, s7
	s_wait_xcnt 0x0
	s_load_b128 s[4:7], s[0:1], 0x10
	s_mul_hi_u32 s2, s12, s3
	s_delay_alu instid0(SALU_CYCLE_1) | instskip(SKIP_2) | instid1(SALU_CYCLE_1)
	s_mul_i32 s3, s2, s21
	s_add_co_i32 s9, s2, 1
	s_sub_co_i32 s3, s12, s3
	s_sub_co_i32 s10, s3, s21
	s_cmp_ge_u32 s3, s21
	s_cselect_b32 s2, s9, s2
	s_cselect_b32 s3, s10, s3
	s_add_co_i32 s9, s2, 1
	s_cmp_ge_u32 s3, s21
	s_cselect_b32 s22, s9, s2
	s_ashr_i32 s13, s12, 31
	s_wait_kmcnt 0x0
	s_add_co_i32 s2, s22, s8
	s_lshl_b64 s[14:15], s[12:13], 2
	s_ashr_i32 s3, s2, 31
	s_add_nc_u64 s[16:17], s[4:5], s[14:15]
	s_lshl_b64 s[2:3], s[2:3], 2
	s_delay_alu instid0(SALU_CYCLE_1)
	s_add_nc_u64 s[8:9], s[6:7], s[2:3]
	s_load_b32 s2, s[8:9], 0x0
	s_clause 0x1
	s_load_b64 s[10:11], s[0:1], 0x40
	s_load_b64 s[6:7], s[0:1], 0x70
	s_wait_kmcnt 0x0
	s_ashr_i32 s3, s2, 31
	s_delay_alu instid0(SALU_CYCLE_1) | instskip(NEXT) | instid1(SALU_CYCLE_1)
	s_lshl_b64 s[8:9], s[2:3], 3
	s_add_nc_u64 s[18:19], s[10:11], s[8:9]
	s_load_b128 s[8:11], s[18:19], 0x0
	s_load_b32 s24, s[16:17], 0x0
	s_wait_xcnt 0x0
	s_mul_i32 s18, s22, s21
	s_mov_b32 s21, exec_lo
	s_sub_co_i32 s19, s12, s18
	s_delay_alu instid0(SALU_CYCLE_1) | instskip(NEXT) | instid1(VALU_DEP_1)
	v_or_b32_e32 v1, s19, v0
	v_cmpx_eq_u32_e32 0, v1
	s_cbranch_execz .LBB73_7
; %bb.4:
	s_wait_loadcnt_dscnt 0x0
	v_add_f64_e32 v[10:11], -1.0, v[10:11]
	s_lshl_b64 s[12:13], s[2:3], 4
	s_mov_b32 s22, exec_lo
	s_add_nc_u64 s[26:27], s[6:7], s[12:13]
	v_mbcnt_lo_u32_b32 v1, s22, 0
	s_load_b128 s[12:15], s[26:27], 0x0
	global_wb scope:SCOPE_DEV
	s_wait_storecnt 0x0
	global_inv scope:SCOPE_DEV
	s_wait_kmcnt 0x0
	v_mul_f64_e64 v[6:7], s[14:15], -v[12:13]
	v_mul_f64_e32 v[8:9], s[14:15], v[10:11]
	s_mov_b32 s14, exec_lo
	v_cmpx_eq_u32_e32 0, v1
	s_cbranch_execz .LBB73_6
; %bb.5:
	s_bcnt1_i32_b32 s15, s22
	s_delay_alu instid0(SALU_CYCLE_1) | instskip(NEXT) | instid1(SALU_CYCLE_1)
	s_and_b32 s15, s15, 1
	v_dual_mov_b32 v1, s18 :: v_dual_mov_b32 v14, s15
	global_atomic_xor_b32 v1, v14, s[4:5] scale_offset scope:SCOPE_DEV
.LBB73_6:
	s_wait_xcnt 0x0
	s_or_b32 exec_lo, exec_lo, s14
	s_delay_alu instid0(VALU_DEP_3) | instskip(NEXT) | instid1(VALU_DEP_3)
	v_fmac_f64_e32 v[6:7], s[12:13], v[10:11]
	v_fmac_f64_e32 v[8:9], s[12:13], v[12:13]
.LBB73_7:
	s_or_b32 exec_lo, exec_lo, s21
	s_mul_i32 s22, s19, 3
	s_mov_b32 s21, s23
	s_lshl_b64 s[12:13], s[22:23], 8
	s_wait_kmcnt 0x0
	s_sub_nc_u64 s[8:9], s[8:9], s[20:21]
	s_sub_nc_u64 s[10:11], s[10:11], s[20:21]
	s_add_nc_u64 s[8:9], s[8:9], s[12:13]
	v_mov_b32_e32 v1, 0
	s_add_nc_u64 s[12:13], s[8:9], 0x300
	s_wait_loadcnt_dscnt 0x0
	v_min_i64 v[10:11], s[12:13], s[10:11]
	s_mov_b32 s10, exec_lo
	v_add_nc_u64_e32 v[12:13], s[8:9], v[0:1]
	s_delay_alu instid0(VALU_DEP_1)
	v_cmpx_lt_i64_e64 v[12:13], v[10:11]
	s_cbranch_execz .LBB73_11
; %bb.8:
	s_clause 0x2
	s_load_b128 s[12:15], s[0:1], 0x48
	s_load_b32 s11, s[0:1], 0x0
	s_load_b64 s[8:9], s[0:1], 0x58
	s_wait_xcnt 0x0
	s_mov_b32 s1, 0
	s_wait_kmcnt 0x0
	v_lshl_add_u64 v[14:15], v[12:13], 4, s[14:15]
	v_lshl_add_u64 v[16:17], v[12:13], 2, s[12:13]
	s_bitcmp1_b32 s11, 0
	s_cselect_b32 vcc_lo, -1, 0
	s_delay_alu instid0(VALU_DEP_2)
	v_add_nc_u64_e32 v[14:15], 8, v[14:15]
.LBB73_9:                               ; =>This Inner Loop Header: Depth=1
	global_load_b32 v1, v[16:17], off
	global_load_b128 v[18:21], v[14:15], off offset:-8
	v_add_nc_u64_e32 v[12:13], 0x100, v[12:13]
	s_wait_xcnt 0x0
	v_add_nc_u64_e32 v[14:15], 0x1000, v[14:15]
	v_add_nc_u64_e32 v[16:17], 0x400, v[16:17]
	s_delay_alu instid0(VALU_DEP_3)
	v_cmp_ge_i64_e64 s0, v[12:13], v[10:11]
	s_or_b32 s1, s0, s1
	s_wait_loadcnt 0x1
	v_subrev_nc_u32_e32 v1, s20, v1
	global_load_b128 v[22:25], v1, s[8:9] scale_offset
	s_wait_loadcnt 0x1
	s_wait_xcnt 0x0
	v_xor_b32_e32 v1, 0x80000000, v21
	s_delay_alu instid0(VALU_DEP_1) | instskip(NEXT) | instid1(VALU_DEP_1)
	v_cndmask_b32_e32 v21, v21, v1, vcc_lo
	v_mul_f64_e64 v[26:27], v[20:21], -v[4:5]
	v_mul_f64_e32 v[20:21], v[2:3], v[20:21]
	s_delay_alu instid0(VALU_DEP_2) | instskip(NEXT) | instid1(VALU_DEP_2)
	v_fmac_f64_e32 v[26:27], v[2:3], v[18:19]
	v_fmac_f64_e32 v[20:21], v[4:5], v[18:19]
	s_wait_loadcnt 0x0
	s_delay_alu instid0(VALU_DEP_2) | instskip(NEXT) | instid1(VALU_DEP_2)
	v_fmac_f64_e32 v[6:7], v[26:27], v[22:23]
	v_fmac_f64_e32 v[8:9], v[20:21], v[22:23]
	s_delay_alu instid0(VALU_DEP_2) | instskip(NEXT) | instid1(VALU_DEP_2)
	v_fma_f64 v[6:7], -v[20:21], v[24:25], v[6:7]
	v_fmac_f64_e32 v[8:9], v[26:27], v[24:25]
	s_and_not1_b32 exec_lo, exec_lo, s1
	s_cbranch_execnz .LBB73_9
; %bb.10:
	s_or_b32 exec_lo, exec_lo, s1
.LBB73_11:
	s_delay_alu instid0(SALU_CYCLE_1)
	s_or_b32 exec_lo, exec_lo, s10
	v_lshlrev_b32_e32 v1, 4, v0
	s_mov_b32 s0, exec_lo
	ds_store_b128 v1, v[6:9]
	s_wait_storecnt_dscnt 0x0
	s_barrier_signal -1
	s_barrier_wait -1
	v_cmpx_gt_u32_e32 0x80, v0
	s_cbranch_execz .LBB73_13
; %bb.12:
	ds_load_b128 v[2:5], v1 offset:2048
	ds_load_b128 v[6:9], v1
	s_wait_dscnt 0x0
	v_add_f64_e32 v[2:3], v[2:3], v[6:7]
	v_add_f64_e32 v[4:5], v[4:5], v[8:9]
	ds_store_b128 v1, v[2:5]
.LBB73_13:
	s_or_b32 exec_lo, exec_lo, s0
	s_delay_alu instid0(SALU_CYCLE_1)
	s_mov_b32 s0, exec_lo
	s_wait_dscnt 0x0
	s_barrier_signal -1
	s_barrier_wait -1
	v_cmpx_gt_u32_e32 64, v0
	s_cbranch_execz .LBB73_15
; %bb.14:
	ds_load_b128 v[2:5], v1 offset:1024
	ds_load_b128 v[6:9], v1
	s_wait_dscnt 0x0
	v_add_f64_e32 v[2:3], v[2:3], v[6:7]
	v_add_f64_e32 v[4:5], v[4:5], v[8:9]
	ds_store_b128 v1, v[2:5]
.LBB73_15:
	s_or_b32 exec_lo, exec_lo, s0
	s_delay_alu instid0(SALU_CYCLE_1)
	s_mov_b32 s0, exec_lo
	s_wait_dscnt 0x0
	;; [unrolled: 16-line block ×6, first 2 shown]
	s_barrier_signal -1
	s_barrier_wait -1
	v_cmpx_gt_u32_e32 2, v0
	s_cbranch_execz .LBB73_25
; %bb.24:
	ds_load_b128 v[2:5], v1
	ds_load_b128 v[6:9], v1 offset:32
	s_wait_dscnt 0x0
	v_add_f64_e32 v[2:3], v[6:7], v[2:3]
	v_add_f64_e32 v[4:5], v[8:9], v[4:5]
	ds_store_b128 v1, v[2:5]
.LBB73_25:
	s_or_b32 exec_lo, exec_lo, s0
	v_cmp_eq_u32_e32 vcc_lo, 0, v0
	s_wait_dscnt 0x0
	s_barrier_signal -1
	s_barrier_wait -1
	s_and_saveexec_b32 s0, vcc_lo
	s_cbranch_execz .LBB73_27
; %bb.26:
	v_mov_b32_e32 v8, 0
	ds_load_b128 v[0:3], v8
	ds_load_b128 v[4:7], v8 offset:16
	s_wait_dscnt 0x0
	v_add_f64_e32 v[0:1], v[4:5], v[0:1]
	v_add_f64_e32 v[2:3], v[6:7], v[2:3]
	ds_store_b128 v8, v[0:3]
.LBB73_27:
	s_or_b32 exec_lo, exec_lo, s0
	s_wait_dscnt 0x0
	s_barrier_signal -1
	s_barrier_wait -1
	s_and_b32 exec_lo, exec_lo, vcc_lo
	s_cbranch_execz .LBB73_38
; %bb.28:
	s_cmp_eq_u32 s19, 0
	s_cbranch_scc1 .LBB73_34
; %bb.29:
	s_ashr_i32 s19, s18, 31
	v_mov_b32_e32 v0, 0
	s_lshl_b64 s[0:1], s[18:19], 2
	s_delay_alu instid0(SALU_CYCLE_1)
	s_add_nc_u64 s[0:1], s[4:5], s[0:1]
	s_branch .LBB73_31
.LBB73_30:                              ;   in Loop: Header=BB73_31 Depth=1
	s_wait_xcnt 0x0
	s_or_b32 exec_lo, exec_lo, s4
	s_wait_loadcnt 0x0
	v_readfirstlane_b32 s4, v1
	s_cmp_eq_u32 s4, s24
	s_cbranch_scc0 .LBB73_33
.LBB73_31:                              ; =>This Inner Loop Header: Depth=1
	v_mbcnt_lo_u32_b32 v1, exec_lo, 0
	s_delay_alu instid0(VALU_DEP_1)
	v_cmp_eq_u32_e32 vcc_lo, 0, v1
                                        ; implicit-def: $vgpr1
	s_and_saveexec_b32 s4, vcc_lo
	s_cbranch_execz .LBB73_30
; %bb.32:                               ;   in Loop: Header=BB73_31 Depth=1
	global_load_b32 v1, v0, s[0:1] scope:SCOPE_DEV
	s_branch .LBB73_30
.LBB73_33:
	v_mov_b32_e32 v0, 0
	global_load_u16 v1, v0, s[16:17]
	s_wait_loadcnt 0x0
	v_xor_b32_e32 v1, 1, v1
	global_store_b16 v0, v1, s[16:17]
.LBB73_34:
	v_mov_b32_e32 v4, 0
	s_mov_b32 s4, exec_lo
	s_lshl_b64 s[0:1], s[2:3], 4
	v_mbcnt_lo_u32_b32 v5, s4, 0
	s_add_nc_u64 s[0:1], s[6:7], s[0:1]
	s_wait_xcnt 0x0
	ds_load_b128 v[0:3], v4
	s_mov_b32 s2, exec_lo
	v_cmpx_eq_u32_e32 0, v5
	s_cbranch_execz .LBB73_36
; %bb.35:
	s_bcnt1_i32_b32 s3, s4
	s_delay_alu instid0(SALU_CYCLE_1) | instskip(SKIP_1) | instid1(VALU_DEP_1)
	v_cvt_f64_u32_e32 v[6:7], s3
	s_wait_dscnt 0x0
	v_mul_f64_e32 v[0:1], v[0:1], v[6:7]
	global_atomic_add_f64 v4, v[0:1], s[0:1] scope:SCOPE_DEV
.LBB73_36:
	s_wait_xcnt 0x0
	s_or_b32 exec_lo, exec_lo, s2
	s_delay_alu instid0(SALU_CYCLE_1) | instskip(SKIP_2) | instid1(VALU_DEP_1)
	s_mov_b32 s2, exec_lo
	s_wait_dscnt 0x0
	v_mbcnt_lo_u32_b32 v0, s2, 0
	v_cmp_eq_u32_e32 vcc_lo, 0, v0
	s_and_b32 s3, exec_lo, vcc_lo
	s_delay_alu instid0(SALU_CYCLE_1)
	s_mov_b32 exec_lo, s3
	s_cbranch_execz .LBB73_38
; %bb.37:
	s_bcnt1_i32_b32 s2, s2
	s_delay_alu instid0(SALU_CYCLE_1) | instskip(NEXT) | instid1(VALU_DEP_1)
	v_cvt_f64_u32_e32 v[0:1], s2
	v_dual_mul_f64 v[0:1], v[2:3], v[0:1] :: v_dual_mov_b32 v2, 0
	global_atomic_add_f64 v2, v[0:1], s[0:1] offset:8 scope:SCOPE_DEV
.LBB73_38:
	s_endpgm
	.section	.rodata,"a",@progbits
	.p2align	6, 0x0
	.amdhsa_kernel _ZN9rocsparseL27csrmvn_lrb_long_rows_kernelIli21rocsparse_complex_numIdES2_S2_S2_EEvbT_PjPT0_S6_jNS_24const_host_device_scalarIT4_EEPKS3_PKS5_PKT1_PKT2_S9_PT3_21rocsparse_index_base_b
		.amdhsa_group_segment_fixed_size 4096
		.amdhsa_private_segment_fixed_size 0
		.amdhsa_kernarg_size 128
		.amdhsa_user_sgpr_count 2
		.amdhsa_user_sgpr_dispatch_ptr 0
		.amdhsa_user_sgpr_queue_ptr 0
		.amdhsa_user_sgpr_kernarg_segment_ptr 1
		.amdhsa_user_sgpr_dispatch_id 0
		.amdhsa_user_sgpr_kernarg_preload_length 0
		.amdhsa_user_sgpr_kernarg_preload_offset 0
		.amdhsa_user_sgpr_private_segment_size 0
		.amdhsa_wavefront_size32 1
		.amdhsa_uses_dynamic_stack 0
		.amdhsa_enable_private_segment 0
		.amdhsa_system_sgpr_workgroup_id_x 1
		.amdhsa_system_sgpr_workgroup_id_y 0
		.amdhsa_system_sgpr_workgroup_id_z 0
		.amdhsa_system_sgpr_workgroup_info 0
		.amdhsa_system_vgpr_workitem_id 0
		.amdhsa_next_free_vgpr 28
		.amdhsa_next_free_sgpr 28
		.amdhsa_named_barrier_count 0
		.amdhsa_reserve_vcc 1
		.amdhsa_float_round_mode_32 0
		.amdhsa_float_round_mode_16_64 0
		.amdhsa_float_denorm_mode_32 3
		.amdhsa_float_denorm_mode_16_64 3
		.amdhsa_fp16_overflow 0
		.amdhsa_memory_ordered 1
		.amdhsa_forward_progress 1
		.amdhsa_inst_pref_size 15
		.amdhsa_round_robin_scheduling 0
		.amdhsa_exception_fp_ieee_invalid_op 0
		.amdhsa_exception_fp_denorm_src 0
		.amdhsa_exception_fp_ieee_div_zero 0
		.amdhsa_exception_fp_ieee_overflow 0
		.amdhsa_exception_fp_ieee_underflow 0
		.amdhsa_exception_fp_ieee_inexact 0
		.amdhsa_exception_int_div_zero 0
	.end_amdhsa_kernel
	.section	.text._ZN9rocsparseL27csrmvn_lrb_long_rows_kernelIli21rocsparse_complex_numIdES2_S2_S2_EEvbT_PjPT0_S6_jNS_24const_host_device_scalarIT4_EEPKS3_PKS5_PKT1_PKT2_S9_PT3_21rocsparse_index_base_b,"axG",@progbits,_ZN9rocsparseL27csrmvn_lrb_long_rows_kernelIli21rocsparse_complex_numIdES2_S2_S2_EEvbT_PjPT0_S6_jNS_24const_host_device_scalarIT4_EEPKS3_PKS5_PKT1_PKT2_S9_PT3_21rocsparse_index_base_b,comdat
.Lfunc_end73:
	.size	_ZN9rocsparseL27csrmvn_lrb_long_rows_kernelIli21rocsparse_complex_numIdES2_S2_S2_EEvbT_PjPT0_S6_jNS_24const_host_device_scalarIT4_EEPKS3_PKS5_PKT1_PKT2_S9_PT3_21rocsparse_index_base_b, .Lfunc_end73-_ZN9rocsparseL27csrmvn_lrb_long_rows_kernelIli21rocsparse_complex_numIdES2_S2_S2_EEvbT_PjPT0_S6_jNS_24const_host_device_scalarIT4_EEPKS3_PKS5_PKT1_PKT2_S9_PT3_21rocsparse_index_base_b
                                        ; -- End function
	.set _ZN9rocsparseL27csrmvn_lrb_long_rows_kernelIli21rocsparse_complex_numIdES2_S2_S2_EEvbT_PjPT0_S6_jNS_24const_host_device_scalarIT4_EEPKS3_PKS5_PKT1_PKT2_S9_PT3_21rocsparse_index_base_b.num_vgpr, 28
	.set _ZN9rocsparseL27csrmvn_lrb_long_rows_kernelIli21rocsparse_complex_numIdES2_S2_S2_EEvbT_PjPT0_S6_jNS_24const_host_device_scalarIT4_EEPKS3_PKS5_PKT1_PKT2_S9_PT3_21rocsparse_index_base_b.num_agpr, 0
	.set _ZN9rocsparseL27csrmvn_lrb_long_rows_kernelIli21rocsparse_complex_numIdES2_S2_S2_EEvbT_PjPT0_S6_jNS_24const_host_device_scalarIT4_EEPKS3_PKS5_PKT1_PKT2_S9_PT3_21rocsparse_index_base_b.numbered_sgpr, 28
	.set _ZN9rocsparseL27csrmvn_lrb_long_rows_kernelIli21rocsparse_complex_numIdES2_S2_S2_EEvbT_PjPT0_S6_jNS_24const_host_device_scalarIT4_EEPKS3_PKS5_PKT1_PKT2_S9_PT3_21rocsparse_index_base_b.num_named_barrier, 0
	.set _ZN9rocsparseL27csrmvn_lrb_long_rows_kernelIli21rocsparse_complex_numIdES2_S2_S2_EEvbT_PjPT0_S6_jNS_24const_host_device_scalarIT4_EEPKS3_PKS5_PKT1_PKT2_S9_PT3_21rocsparse_index_base_b.private_seg_size, 0
	.set _ZN9rocsparseL27csrmvn_lrb_long_rows_kernelIli21rocsparse_complex_numIdES2_S2_S2_EEvbT_PjPT0_S6_jNS_24const_host_device_scalarIT4_EEPKS3_PKS5_PKT1_PKT2_S9_PT3_21rocsparse_index_base_b.uses_vcc, 1
	.set _ZN9rocsparseL27csrmvn_lrb_long_rows_kernelIli21rocsparse_complex_numIdES2_S2_S2_EEvbT_PjPT0_S6_jNS_24const_host_device_scalarIT4_EEPKS3_PKS5_PKT1_PKT2_S9_PT3_21rocsparse_index_base_b.uses_flat_scratch, 0
	.set _ZN9rocsparseL27csrmvn_lrb_long_rows_kernelIli21rocsparse_complex_numIdES2_S2_S2_EEvbT_PjPT0_S6_jNS_24const_host_device_scalarIT4_EEPKS3_PKS5_PKT1_PKT2_S9_PT3_21rocsparse_index_base_b.has_dyn_sized_stack, 0
	.set _ZN9rocsparseL27csrmvn_lrb_long_rows_kernelIli21rocsparse_complex_numIdES2_S2_S2_EEvbT_PjPT0_S6_jNS_24const_host_device_scalarIT4_EEPKS3_PKS5_PKT1_PKT2_S9_PT3_21rocsparse_index_base_b.has_recursion, 0
	.set _ZN9rocsparseL27csrmvn_lrb_long_rows_kernelIli21rocsparse_complex_numIdES2_S2_S2_EEvbT_PjPT0_S6_jNS_24const_host_device_scalarIT4_EEPKS3_PKS5_PKT1_PKT2_S9_PT3_21rocsparse_index_base_b.has_indirect_call, 0
	.section	.AMDGPU.csdata,"",@progbits
; Kernel info:
; codeLenInByte = 1884
; TotalNumSgprs: 30
; NumVgprs: 28
; ScratchSize: 0
; MemoryBound: 0
; FloatMode: 240
; IeeeMode: 1
; LDSByteSize: 4096 bytes/workgroup (compile time only)
; SGPRBlocks: 0
; VGPRBlocks: 1
; NumSGPRsForWavesPerEU: 30
; NumVGPRsForWavesPerEU: 28
; NamedBarCnt: 0
; Occupancy: 16
; WaveLimiterHint : 1
; COMPUTE_PGM_RSRC2:SCRATCH_EN: 0
; COMPUTE_PGM_RSRC2:USER_SGPR: 2
; COMPUTE_PGM_RSRC2:TRAP_HANDLER: 0
; COMPUTE_PGM_RSRC2:TGID_X_EN: 1
; COMPUTE_PGM_RSRC2:TGID_Y_EN: 0
; COMPUTE_PGM_RSRC2:TGID_Z_EN: 0
; COMPUTE_PGM_RSRC2:TIDIG_COMP_CNT: 0
	.section	.text._ZN9rocsparseL28csrmvn_lrb_short_rows_kernelIll21rocsparse_complex_numIdES2_S2_S2_EEvbT_PT0_S5_jNS_24const_host_device_scalarIT4_EEPKS3_PKS4_PKT1_PKT2_S8_PT3_21rocsparse_index_base_b,"axG",@progbits,_ZN9rocsparseL28csrmvn_lrb_short_rows_kernelIll21rocsparse_complex_numIdES2_S2_S2_EEvbT_PT0_S5_jNS_24const_host_device_scalarIT4_EEPKS3_PKS4_PKT1_PKT2_S8_PT3_21rocsparse_index_base_b,comdat
	.globl	_ZN9rocsparseL28csrmvn_lrb_short_rows_kernelIll21rocsparse_complex_numIdES2_S2_S2_EEvbT_PT0_S5_jNS_24const_host_device_scalarIT4_EEPKS3_PKS4_PKT1_PKT2_S8_PT3_21rocsparse_index_base_b ; -- Begin function _ZN9rocsparseL28csrmvn_lrb_short_rows_kernelIll21rocsparse_complex_numIdES2_S2_S2_EEvbT_PT0_S5_jNS_24const_host_device_scalarIT4_EEPKS3_PKS4_PKT1_PKT2_S8_PT3_21rocsparse_index_base_b
	.p2align	8
	.type	_ZN9rocsparseL28csrmvn_lrb_short_rows_kernelIll21rocsparse_complex_numIdES2_S2_S2_EEvbT_PT0_S5_jNS_24const_host_device_scalarIT4_EEPKS3_PKS4_PKT1_PKT2_S8_PT3_21rocsparse_index_base_b,@function
_ZN9rocsparseL28csrmvn_lrb_short_rows_kernelIll21rocsparse_complex_numIdES2_S2_S2_EEvbT_PT0_S5_jNS_24const_host_device_scalarIT4_EEPKS3_PKS4_PKT1_PKT2_S8_PT3_21rocsparse_index_base_b: ; @_ZN9rocsparseL28csrmvn_lrb_short_rows_kernelIll21rocsparse_complex_numIdES2_S2_S2_EEvbT_PT0_S5_jNS_24const_host_device_scalarIT4_EEPKS3_PKS4_PKT1_PKT2_S8_PT3_21rocsparse_index_base_b
; %bb.0:
	s_clause 0x1
	s_load_b64 s[16:17], s[0:1], 0x70
	s_load_b64 s[2:3], s[0:1], 0x28
	v_mov_b32_e32 v1, 0
	s_add_nc_u64 s[4:5], s[0:1], 40
	s_load_b64 s[6:7], s[0:1], 0x58
	s_wait_kmcnt 0x0
	s_bitcmp1_b32 s17, 0
	s_cselect_b32 s3, s5, s3
	s_cselect_b32 s2, s4, s2
	flat_load_b128 v[6:9], v1, s[2:3]
	s_wait_xcnt 0x0
	s_add_nc_u64 s[2:3], s[0:1], 0x58
	s_delay_alu instid0(SALU_CYCLE_1)
	s_cselect_b32 s3, s3, s7
	s_cselect_b32 s2, s2, s6
	flat_load_b128 v[2:5], v1, s[2:3]
	s_wait_loadcnt_dscnt 0x101
	v_cmp_eq_f64_e32 vcc_lo, 0, v[6:7]
	s_wait_xcnt 0x0
	v_cmp_eq_f64_e64 s2, 0, v[8:9]
	s_and_b32 s4, vcc_lo, s2
	s_mov_b32 s2, -1
	s_and_saveexec_b32 s3, s4
	s_cbranch_execz .LBB74_2
; %bb.1:
	s_wait_loadcnt_dscnt 0x0
	v_cmp_neq_f64_e32 vcc_lo, 1.0, v[2:3]
	v_cmp_neq_f64_e64 s2, 0, v[4:5]
	s_or_b32 s2, vcc_lo, s2
	s_delay_alu instid0(SALU_CYCLE_1)
	s_or_not1_b32 s2, s2, exec_lo
.LBB74_2:
	s_or_b32 exec_lo, exec_lo, s3
	s_and_saveexec_b32 s3, s2
	s_cbranch_execz .LBB74_16
; %bb.3:
	s_clause 0x1
	s_load_b32 s22, s[0:1], 0x20
	s_load_b128 s[12:15], s[0:1], 0x10
	s_mov_b32 s17, 0
	s_getreg_b32 s5, hwreg(HW_REG_IB_STS2, 6, 4)
	s_mov_b32 s3, s17
	s_wait_kmcnt 0x0
	s_add_co_i32 s2, s22, 1
	s_delay_alu instid0(SALU_CYCLE_1) | instskip(NEXT) | instid1(SALU_CYCLE_1)
	s_lshl_b64 s[2:3], s[2:3], 3
	s_add_nc_u64 s[2:3], s[14:15], s[2:3]
	s_clause 0x1
	s_load_b64 s[18:19], s[14:15], s22 offset:0x0 scale_offset
	s_load_b32 s4, s[2:3], 0x0
	s_wait_xcnt 0x0
	s_bfe_u32 s2, ttmp6, 0x4000c
	s_and_b32 s3, ttmp6, 15
	s_add_co_i32 s2, s2, 1
	s_delay_alu instid0(SALU_CYCLE_1) | instskip(NEXT) | instid1(SALU_CYCLE_1)
	s_mul_i32 s2, ttmp9, s2
	s_add_co_i32 s3, s3, s2
	s_wait_kmcnt 0x0
	s_sub_co_i32 s4, s4, s18
	s_cmp_eq_u32 s5, 0
	s_cselect_b32 s2, ttmp9, s3
	s_delay_alu instid0(SALU_CYCLE_1) | instskip(NEXT) | instid1(SALU_CYCLE_1)
	s_lshl_b32 s14, s2, 8
	s_add_co_i32 s2, s14, 0x100
	s_delay_alu instid0(SALU_CYCLE_1)
	s_min_u32 s3, s4, s2
	s_cmp_gt_u32 s22, 23
	s_cbranch_scc1 .LBB74_10
; %bb.4:
	s_clause 0x1
	s_load_b32 s2, s[0:1], 0x0
	s_load_b256 s[4:11], s[0:1], 0x38
	s_lshl_b32 s15, 0x100, s22
	v_bfe_u32 v14, v0, 0, s22
	v_mov_b32_e32 v15, 0
	v_lshl_add_u32 v1, v0, 4, 0
	s_mov_b32 s23, s17
	s_wait_kmcnt 0x0
	s_bitcmp1_b32 s2, 0
	s_cselect_b32 vcc_lo, -1, 0
	s_lshl_b64 s[20:21], s[18:19], 3
	s_delay_alu instid0(SALU_CYCLE_1)
	s_add_nc_u64 s[20:21], s[12:13], s[20:21]
	s_branch .LBB74_7
.LBB74_5:                               ;   in Loop: Header=BB74_7 Depth=1
	s_or_b32 exec_lo, exec_lo, s25
	ds_store_2addr_b64 v1, v[12:13], v[16:17] offset1:1
.LBB74_6:                               ;   in Loop: Header=BB74_7 Depth=1
	s_or_b32 exec_lo, exec_lo, s24
	v_add_nc_u32_e32 v1, 0x1000, v1
	s_addk_co_i32 s23, 0x100
	s_delay_alu instid0(SALU_CYCLE_1)
	s_cmp_ge_u32 s23, s15
	s_cbranch_scc1 .LBB74_10
.LBB74_7:                               ; =>This Inner Loop Header: Depth=1
	v_add_nc_u32_e32 v10, s23, v0
	s_mov_b32 s24, exec_lo
	s_delay_alu instid0(VALU_DEP_1) | instskip(NEXT) | instid1(VALU_DEP_1)
	v_lshrrev_b32_e32 v10, s22, v10
	v_add_nc_u32_e32 v10, s14, v10
	s_delay_alu instid0(VALU_DEP_1)
	v_cmpx_gt_u32_e64 s3, v10
	s_cbranch_execz .LBB74_6
; %bb.8:                                ;   in Loop: Header=BB74_7 Depth=1
	global_load_b64 v[10:11], v10, s[20:21] scale_offset
	s_wait_loadcnt 0x0
	s_wait_xcnt 0x0
	v_lshl_add_u64 v[10:11], v[10:11], 3, s[4:5]
	global_load_b128 v[10:13], v[10:11], off
	s_wait_loadcnt 0x0
	v_sub_nc_u64_e32 v[16:17], v[12:13], v[10:11]
	v_mov_b64_e32 v[12:13], 0
	s_delay_alu instid0(VALU_DEP_2)
	v_cmp_gt_i64_e64 s2, v[16:17], v[14:15]
	v_mov_b64_e32 v[16:17], 0
	s_wait_xcnt 0x0
	s_and_saveexec_b32 s25, s2
	s_cbranch_execz .LBB74_5
; %bb.9:                                ;   in Loop: Header=BB74_7 Depth=1
	v_sub_nc_u64_e64 v[10:11], v[10:11], s[16:17]
	s_delay_alu instid0(VALU_DEP_1) | instskip(NEXT) | instid1(VALU_DEP_1)
	v_add_nc_u64_e32 v[10:11], v[10:11], v[14:15]
	v_lshl_add_u64 v[12:13], v[10:11], 3, s[6:7]
	v_lshl_add_u64 v[10:11], v[10:11], 4, s[8:9]
	global_load_b64 v[16:17], v[12:13], off
	global_load_b128 v[10:13], v[10:11], off
	s_wait_loadcnt 0x1
	v_sub_nc_u64_e64 v[16:17], v[16:17], s[16:17]
	s_delay_alu instid0(VALU_DEP_1) | instskip(SKIP_4) | instid1(VALU_DEP_1)
	v_lshl_add_u64 v[16:17], v[16:17], 4, s[10:11]
	global_load_b128 v[18:21], v[16:17], off
	s_wait_loadcnt 0x1
	s_wait_xcnt 0x0
	v_xor_b32_e32 v16, 0x80000000, v13
	v_cndmask_b32_e32 v13, v13, v16, vcc_lo
	s_delay_alu instid0(VALU_DEP_1) | instskip(SKIP_1) | instid1(VALU_DEP_2)
	v_mul_f64_e32 v[22:23], v[6:7], v[12:13]
	v_mul_f64_e64 v[24:25], v[12:13], -v[8:9]
	v_fmac_f64_e32 v[22:23], v[8:9], v[10:11]
	s_delay_alu instid0(VALU_DEP_2) | instskip(SKIP_1) | instid1(VALU_DEP_2)
	v_fmac_f64_e32 v[24:25], v[6:7], v[10:11]
	s_wait_loadcnt 0x0
	v_mul_f64_e64 v[12:13], v[20:21], -v[22:23]
	s_delay_alu instid0(VALU_DEP_2) | instskip(NEXT) | instid1(VALU_DEP_2)
	v_mul_f64_e32 v[16:17], v[20:21], v[24:25]
	v_fmac_f64_e32 v[12:13], v[24:25], v[18:19]
	s_delay_alu instid0(VALU_DEP_2)
	v_fmac_f64_e32 v[16:17], v[22:23], v[18:19]
	s_branch .LBB74_5
.LBB74_10:
	s_sub_co_i32 s2, s3, s14
	s_wait_loadcnt_dscnt 0x0
	v_cmp_gt_u32_e32 vcc_lo, s2, v0
	s_barrier_signal -1
	s_barrier_wait -1
	s_and_b32 exec_lo, exec_lo, vcc_lo
	s_cbranch_execz .LBB74_16
; %bb.11:
	s_lshl_b64 s[2:3], s[18:19], 3
	s_mov_b32 s15, 0
	s_add_nc_u64 s[2:3], s[12:13], s[2:3]
	s_lshl_b64 s[4:5], s[14:15], 3
	v_mov_b64_e32 v[8:9], 0
	s_add_nc_u64 s[2:3], s[2:3], s[4:5]
	global_load_b64 v[10:11], v0, s[2:3] scale_offset
	s_wait_xcnt 0x0
	s_load_b64 s[2:3], s[0:1], 0x68
	v_lshlrev_b32_e32 v0, s22, v0
	s_wait_xcnt 0x0
	s_mov_b32 s0, 1
	v_mov_b64_e32 v[6:7], v[8:9]
	s_delay_alu instid0(VALU_DEP_2)
	v_lshl_add_u32 v0, v0, 4, 0
.LBB74_12:                              ; =>This Inner Loop Header: Depth=1
	ds_load_2addr_b64 v[12:15], v0 offset1:1
	s_lshr_b32 s1, s0, s22
	s_add_co_i32 s0, s0, 1
	s_cmp_lg_u32 s1, 0
	s_wait_dscnt 0x0
	v_dual_add_f64 v[8:9], v[8:9], v[14:15] :: v_dual_add_nc_u32 v0, 16, v0
	v_add_f64_e32 v[6:7], v[6:7], v[12:13]
	s_cbranch_scc0 .LBB74_12
; %bb.13:
	v_cmp_neq_f64_e32 vcc_lo, 0, v[2:3]
	v_cmp_neq_f64_e64 s0, 0, v[4:5]
	s_wait_loadcnt 0x0
	s_wait_kmcnt 0x0
	v_lshl_add_u64 v[0:1], v[10:11], 4, s[2:3]
	s_or_b32 s1, vcc_lo, s0
	s_delay_alu instid0(SALU_CYCLE_1)
	s_and_saveexec_b32 s0, s1
	s_cbranch_execz .LBB74_15
; %bb.14:
	global_load_b128 v[10:13], v[0:1], off
	s_wait_loadcnt 0x0
	v_fmac_f64_e32 v[6:7], v[2:3], v[10:11]
	v_fmac_f64_e32 v[8:9], v[4:5], v[10:11]
	s_delay_alu instid0(VALU_DEP_2) | instskip(NEXT) | instid1(VALU_DEP_2)
	v_fma_f64 v[6:7], -v[4:5], v[12:13], v[6:7]
	v_fmac_f64_e32 v[8:9], v[2:3], v[12:13]
.LBB74_15:
	s_or_b32 exec_lo, exec_lo, s0
	global_store_b128 v[0:1], v[6:9], off
.LBB74_16:
	s_endpgm
	.section	.rodata,"a",@progbits
	.p2align	6, 0x0
	.amdhsa_kernel _ZN9rocsparseL28csrmvn_lrb_short_rows_kernelIll21rocsparse_complex_numIdES2_S2_S2_EEvbT_PT0_S5_jNS_24const_host_device_scalarIT4_EEPKS3_PKS4_PKT1_PKT2_S8_PT3_21rocsparse_index_base_b
		.amdhsa_group_segment_fixed_size 0
		.amdhsa_private_segment_fixed_size 0
		.amdhsa_kernarg_size 120
		.amdhsa_user_sgpr_count 2
		.amdhsa_user_sgpr_dispatch_ptr 0
		.amdhsa_user_sgpr_queue_ptr 0
		.amdhsa_user_sgpr_kernarg_segment_ptr 1
		.amdhsa_user_sgpr_dispatch_id 0
		.amdhsa_user_sgpr_kernarg_preload_length 0
		.amdhsa_user_sgpr_kernarg_preload_offset 0
		.amdhsa_user_sgpr_private_segment_size 0
		.amdhsa_wavefront_size32 1
		.amdhsa_uses_dynamic_stack 0
		.amdhsa_enable_private_segment 0
		.amdhsa_system_sgpr_workgroup_id_x 1
		.amdhsa_system_sgpr_workgroup_id_y 0
		.amdhsa_system_sgpr_workgroup_id_z 0
		.amdhsa_system_sgpr_workgroup_info 0
		.amdhsa_system_vgpr_workitem_id 0
		.amdhsa_next_free_vgpr 26
		.amdhsa_next_free_sgpr 26
		.amdhsa_named_barrier_count 0
		.amdhsa_reserve_vcc 1
		.amdhsa_float_round_mode_32 0
		.amdhsa_float_round_mode_16_64 0
		.amdhsa_float_denorm_mode_32 3
		.amdhsa_float_denorm_mode_16_64 3
		.amdhsa_fp16_overflow 0
		.amdhsa_memory_ordered 1
		.amdhsa_forward_progress 1
		.amdhsa_inst_pref_size 8
		.amdhsa_round_robin_scheduling 0
		.amdhsa_exception_fp_ieee_invalid_op 0
		.amdhsa_exception_fp_denorm_src 0
		.amdhsa_exception_fp_ieee_div_zero 0
		.amdhsa_exception_fp_ieee_overflow 0
		.amdhsa_exception_fp_ieee_underflow 0
		.amdhsa_exception_fp_ieee_inexact 0
		.amdhsa_exception_int_div_zero 0
	.end_amdhsa_kernel
	.section	.text._ZN9rocsparseL28csrmvn_lrb_short_rows_kernelIll21rocsparse_complex_numIdES2_S2_S2_EEvbT_PT0_S5_jNS_24const_host_device_scalarIT4_EEPKS3_PKS4_PKT1_PKT2_S8_PT3_21rocsparse_index_base_b,"axG",@progbits,_ZN9rocsparseL28csrmvn_lrb_short_rows_kernelIll21rocsparse_complex_numIdES2_S2_S2_EEvbT_PT0_S5_jNS_24const_host_device_scalarIT4_EEPKS3_PKS4_PKT1_PKT2_S8_PT3_21rocsparse_index_base_b,comdat
.Lfunc_end74:
	.size	_ZN9rocsparseL28csrmvn_lrb_short_rows_kernelIll21rocsparse_complex_numIdES2_S2_S2_EEvbT_PT0_S5_jNS_24const_host_device_scalarIT4_EEPKS3_PKS4_PKT1_PKT2_S8_PT3_21rocsparse_index_base_b, .Lfunc_end74-_ZN9rocsparseL28csrmvn_lrb_short_rows_kernelIll21rocsparse_complex_numIdES2_S2_S2_EEvbT_PT0_S5_jNS_24const_host_device_scalarIT4_EEPKS3_PKS4_PKT1_PKT2_S8_PT3_21rocsparse_index_base_b
                                        ; -- End function
	.set _ZN9rocsparseL28csrmvn_lrb_short_rows_kernelIll21rocsparse_complex_numIdES2_S2_S2_EEvbT_PT0_S5_jNS_24const_host_device_scalarIT4_EEPKS3_PKS4_PKT1_PKT2_S8_PT3_21rocsparse_index_base_b.num_vgpr, 26
	.set _ZN9rocsparseL28csrmvn_lrb_short_rows_kernelIll21rocsparse_complex_numIdES2_S2_S2_EEvbT_PT0_S5_jNS_24const_host_device_scalarIT4_EEPKS3_PKS4_PKT1_PKT2_S8_PT3_21rocsparse_index_base_b.num_agpr, 0
	.set _ZN9rocsparseL28csrmvn_lrb_short_rows_kernelIll21rocsparse_complex_numIdES2_S2_S2_EEvbT_PT0_S5_jNS_24const_host_device_scalarIT4_EEPKS3_PKS4_PKT1_PKT2_S8_PT3_21rocsparse_index_base_b.numbered_sgpr, 26
	.set _ZN9rocsparseL28csrmvn_lrb_short_rows_kernelIll21rocsparse_complex_numIdES2_S2_S2_EEvbT_PT0_S5_jNS_24const_host_device_scalarIT4_EEPKS3_PKS4_PKT1_PKT2_S8_PT3_21rocsparse_index_base_b.num_named_barrier, 0
	.set _ZN9rocsparseL28csrmvn_lrb_short_rows_kernelIll21rocsparse_complex_numIdES2_S2_S2_EEvbT_PT0_S5_jNS_24const_host_device_scalarIT4_EEPKS3_PKS4_PKT1_PKT2_S8_PT3_21rocsparse_index_base_b.private_seg_size, 0
	.set _ZN9rocsparseL28csrmvn_lrb_short_rows_kernelIll21rocsparse_complex_numIdES2_S2_S2_EEvbT_PT0_S5_jNS_24const_host_device_scalarIT4_EEPKS3_PKS4_PKT1_PKT2_S8_PT3_21rocsparse_index_base_b.uses_vcc, 1
	.set _ZN9rocsparseL28csrmvn_lrb_short_rows_kernelIll21rocsparse_complex_numIdES2_S2_S2_EEvbT_PT0_S5_jNS_24const_host_device_scalarIT4_EEPKS3_PKS4_PKT1_PKT2_S8_PT3_21rocsparse_index_base_b.uses_flat_scratch, 0
	.set _ZN9rocsparseL28csrmvn_lrb_short_rows_kernelIll21rocsparse_complex_numIdES2_S2_S2_EEvbT_PT0_S5_jNS_24const_host_device_scalarIT4_EEPKS3_PKS4_PKT1_PKT2_S8_PT3_21rocsparse_index_base_b.has_dyn_sized_stack, 0
	.set _ZN9rocsparseL28csrmvn_lrb_short_rows_kernelIll21rocsparse_complex_numIdES2_S2_S2_EEvbT_PT0_S5_jNS_24const_host_device_scalarIT4_EEPKS3_PKS4_PKT1_PKT2_S8_PT3_21rocsparse_index_base_b.has_recursion, 0
	.set _ZN9rocsparseL28csrmvn_lrb_short_rows_kernelIll21rocsparse_complex_numIdES2_S2_S2_EEvbT_PT0_S5_jNS_24const_host_device_scalarIT4_EEPKS3_PKS4_PKT1_PKT2_S8_PT3_21rocsparse_index_base_b.has_indirect_call, 0
	.section	.AMDGPU.csdata,"",@progbits
; Kernel info:
; codeLenInByte = 992
; TotalNumSgprs: 28
; NumVgprs: 26
; ScratchSize: 0
; MemoryBound: 0
; FloatMode: 240
; IeeeMode: 1
; LDSByteSize: 0 bytes/workgroup (compile time only)
; SGPRBlocks: 0
; VGPRBlocks: 1
; NumSGPRsForWavesPerEU: 28
; NumVGPRsForWavesPerEU: 26
; NamedBarCnt: 0
; Occupancy: 16
; WaveLimiterHint : 1
; COMPUTE_PGM_RSRC2:SCRATCH_EN: 0
; COMPUTE_PGM_RSRC2:USER_SGPR: 2
; COMPUTE_PGM_RSRC2:TRAP_HANDLER: 0
; COMPUTE_PGM_RSRC2:TGID_X_EN: 1
; COMPUTE_PGM_RSRC2:TGID_Y_EN: 0
; COMPUTE_PGM_RSRC2:TGID_Z_EN: 0
; COMPUTE_PGM_RSRC2:TIDIG_COMP_CNT: 0
	.section	.text._ZN9rocsparseL30csrmvn_lrb_short_rows_2_kernelIll21rocsparse_complex_numIdES2_S2_S2_EEvbT_PT0_S5_jNS_24const_host_device_scalarIT4_EEPKS3_PKS4_PKT1_PKT2_S8_PT3_21rocsparse_index_base_b,"axG",@progbits,_ZN9rocsparseL30csrmvn_lrb_short_rows_2_kernelIll21rocsparse_complex_numIdES2_S2_S2_EEvbT_PT0_S5_jNS_24const_host_device_scalarIT4_EEPKS3_PKS4_PKT1_PKT2_S8_PT3_21rocsparse_index_base_b,comdat
	.globl	_ZN9rocsparseL30csrmvn_lrb_short_rows_2_kernelIll21rocsparse_complex_numIdES2_S2_S2_EEvbT_PT0_S5_jNS_24const_host_device_scalarIT4_EEPKS3_PKS4_PKT1_PKT2_S8_PT3_21rocsparse_index_base_b ; -- Begin function _ZN9rocsparseL30csrmvn_lrb_short_rows_2_kernelIll21rocsparse_complex_numIdES2_S2_S2_EEvbT_PT0_S5_jNS_24const_host_device_scalarIT4_EEPKS3_PKS4_PKT1_PKT2_S8_PT3_21rocsparse_index_base_b
	.p2align	8
	.type	_ZN9rocsparseL30csrmvn_lrb_short_rows_2_kernelIll21rocsparse_complex_numIdES2_S2_S2_EEvbT_PT0_S5_jNS_24const_host_device_scalarIT4_EEPKS3_PKS4_PKT1_PKT2_S8_PT3_21rocsparse_index_base_b,@function
_ZN9rocsparseL30csrmvn_lrb_short_rows_2_kernelIll21rocsparse_complex_numIdES2_S2_S2_EEvbT_PT0_S5_jNS_24const_host_device_scalarIT4_EEPKS3_PKS4_PKT1_PKT2_S8_PT3_21rocsparse_index_base_b: ; @_ZN9rocsparseL30csrmvn_lrb_short_rows_2_kernelIll21rocsparse_complex_numIdES2_S2_S2_EEvbT_PT0_S5_jNS_24const_host_device_scalarIT4_EEPKS3_PKS4_PKT1_PKT2_S8_PT3_21rocsparse_index_base_b
; %bb.0:
	s_clause 0x1
	s_load_b64 s[16:17], s[0:1], 0x70
	s_load_b64 s[2:3], s[0:1], 0x28
	v_mov_b32_e32 v1, 0
	s_add_nc_u64 s[4:5], s[0:1], 40
	s_load_b64 s[6:7], s[0:1], 0x58
	s_wait_kmcnt 0x0
	s_bitcmp1_b32 s17, 0
	s_cselect_b32 s3, s5, s3
	s_cselect_b32 s2, s4, s2
	flat_load_b128 v[6:9], v1, s[2:3]
	s_wait_xcnt 0x0
	s_add_nc_u64 s[2:3], s[0:1], 0x58
	s_delay_alu instid0(SALU_CYCLE_1)
	s_cselect_b32 s3, s3, s7
	s_cselect_b32 s2, s2, s6
	flat_load_b128 v[2:5], v1, s[2:3]
	s_wait_loadcnt_dscnt 0x101
	v_cmp_eq_f64_e32 vcc_lo, 0, v[6:7]
	s_wait_xcnt 0x0
	v_cmp_eq_f64_e64 s2, 0, v[8:9]
	s_and_b32 s4, vcc_lo, s2
	s_mov_b32 s2, -1
	s_and_saveexec_b32 s3, s4
	s_cbranch_execz .LBB75_2
; %bb.1:
	s_wait_loadcnt_dscnt 0x0
	v_cmp_neq_f64_e32 vcc_lo, 1.0, v[2:3]
	v_cmp_neq_f64_e64 s2, 0, v[4:5]
	s_or_b32 s2, vcc_lo, s2
	s_delay_alu instid0(SALU_CYCLE_1)
	s_or_not1_b32 s2, s2, exec_lo
.LBB75_2:
	s_or_b32 exec_lo, exec_lo, s3
	s_and_saveexec_b32 s3, s2
	s_cbranch_execz .LBB75_28
; %bb.3:
	s_clause 0x2
	s_load_b32 s18, s[0:1], 0x20
	s_load_b32 s2, s[0:1], 0x0
	s_load_b128 s[12:15], s[0:1], 0x10
	s_mov_b32 s3, 0
	s_wait_kmcnt 0x0
	v_dual_mov_b32 v19, 0 :: v_dual_lshrrev_b32 v1, s18, v0
	s_bitcmp1_b32 s2, 0
	v_bfe_u32 v18, v0, 0, s18
	s_cselect_b32 vcc_lo, -1, 0
	s_add_co_i32 s2, s18, 1
	s_and_b32 s17, ttmp6, 15
	s_lshl_b64 s[4:5], s[2:3], 3
	s_lshr_b32 s19, 0x400, s18
	s_add_nc_u64 s[20:21], s[14:15], s[4:5]
	s_clause 0x1
	s_load_b64 s[22:23], s[14:15], s18 offset:0x0 scale_offset
	s_load_b32 s2, s[20:21], 0x0
	s_load_b256 s[4:11], s[0:1], 0x38
	s_wait_xcnt 0x0
	s_bfe_u32 s14, ttmp6, 0x4000c
	s_getreg_b32 s15, hwreg(HW_REG_IB_STS2, 6, 4)
	s_add_co_i32 s14, s14, 1
	s_delay_alu instid0(SALU_CYCLE_1) | instskip(NEXT) | instid1(SALU_CYCLE_1)
	s_mul_i32 s14, ttmp9, s14
	s_add_co_i32 s17, s17, s14
	s_wait_kmcnt 0x0
	s_sub_co_i32 s2, s2, s22
	s_cmp_eq_u32 s15, 0
	s_cselect_b32 s14, ttmp9, s17
	s_lshl_b64 s[22:23], s[22:23], 3
	s_mul_i32 s14, s19, s14
	s_add_nc_u64 s[12:13], s[12:13], s[22:23]
	v_add_nc_u32_e32 v1, s14, v1
	s_add_co_i32 s15, s14, s19
	s_mov_b32 s17, s3
	s_min_u32 s20, s2, s15
	s_mov_b32 s3, exec_lo
	v_cmpx_gt_u32_e64 s20, v1
	s_cbranch_execz .LBB75_7
; %bb.4:
	global_load_b64 v[10:11], v1, s[12:13] scale_offset
	s_wait_loadcnt 0x0
	v_lshl_add_u64 v[10:11], v[10:11], 3, s[4:5]
	global_load_b128 v[14:17], v[10:11], off
	s_wait_xcnt 0x0
	v_mov_b64_e32 v[10:11], 0
	s_wait_loadcnt 0x0
	v_sub_nc_u64_e32 v[12:13], v[16:17], v[14:15]
	s_delay_alu instid0(VALU_DEP_1)
	v_cmp_gt_i64_e64 s2, v[12:13], v[18:19]
	v_mov_b64_e32 v[12:13], 0
	s_and_saveexec_b32 s15, s2
	s_cbranch_execz .LBB75_6
; %bb.5:
	v_sub_nc_u64_e64 v[10:11], v[14:15], s[16:17]
	s_delay_alu instid0(VALU_DEP_1) | instskip(NEXT) | instid1(VALU_DEP_1)
	v_add_nc_u64_e32 v[10:11], v[10:11], v[18:19]
	v_lshl_add_u64 v[12:13], v[10:11], 3, s[6:7]
	v_lshl_add_u64 v[10:11], v[10:11], 4, s[8:9]
	global_load_b64 v[14:15], v[12:13], off
	global_load_b128 v[10:13], v[10:11], off
	s_wait_loadcnt 0x1
	v_sub_nc_u64_e64 v[14:15], v[14:15], s[16:17]
	s_wait_loadcnt 0x0
	v_xor_b32_e32 v1, 0x80000000, v13
	s_delay_alu instid0(VALU_DEP_1) | instskip(NEXT) | instid1(VALU_DEP_3)
	v_cndmask_b32_e32 v13, v13, v1, vcc_lo
	v_lshl_add_u64 v[14:15], v[14:15], 4, s[10:11]
	s_delay_alu instid0(VALU_DEP_2) | instskip(SKIP_3) | instid1(VALU_DEP_2)
	v_mul_f64_e32 v[20:21], v[6:7], v[12:13]
	global_load_b128 v[14:17], v[14:15], off
	v_mul_f64_e64 v[22:23], v[12:13], -v[8:9]
	v_fmac_f64_e32 v[20:21], v[8:9], v[10:11]
	v_fmac_f64_e32 v[22:23], v[6:7], v[10:11]
	s_wait_loadcnt 0x0
	s_delay_alu instid0(VALU_DEP_2) | instskip(NEXT) | instid1(VALU_DEP_2)
	v_mul_f64_e64 v[10:11], v[16:17], -v[20:21]
	v_mul_f64_e32 v[12:13], v[16:17], v[22:23]
	s_delay_alu instid0(VALU_DEP_2) | instskip(NEXT) | instid1(VALU_DEP_2)
	v_fmac_f64_e32 v[10:11], v[22:23], v[14:15]
	v_fmac_f64_e32 v[12:13], v[20:21], v[14:15]
.LBB75_6:
	s_or_b32 exec_lo, exec_lo, s15
	v_lshlrev_b32_e32 v1, 4, v0
	ds_store_b128 v1, v[10:13]
.LBB75_7:
	s_or_b32 exec_lo, exec_lo, s3
	s_load_b64 s[2:3], s[0:1], 0x68
	v_or_b32_e32 v1, 0x100, v0
	s_wait_xcnt 0x0
	s_mov_b32 s1, exec_lo
	s_delay_alu instid0(VALU_DEP_1) | instskip(NEXT) | instid1(VALU_DEP_1)
	v_lshrrev_b32_e32 v1, s18, v1
	v_add_nc_u32_e32 v1, s14, v1
	s_delay_alu instid0(VALU_DEP_1)
	v_cmpx_gt_u32_e64 s20, v1
	s_cbranch_execz .LBB75_11
; %bb.8:
	global_load_b64 v[10:11], v1, s[12:13] scale_offset
	s_wait_loadcnt 0x0
	v_lshl_add_u64 v[10:11], v[10:11], 3, s[4:5]
	global_load_b128 v[14:17], v[10:11], off
	s_wait_xcnt 0x0
	v_mov_b64_e32 v[10:11], 0
	s_wait_loadcnt 0x0
	v_sub_nc_u64_e32 v[12:13], v[16:17], v[14:15]
	s_delay_alu instid0(VALU_DEP_1)
	v_cmp_gt_i64_e64 s0, v[12:13], v[18:19]
	v_mov_b64_e32 v[12:13], 0
	s_and_saveexec_b32 s15, s0
	s_cbranch_execz .LBB75_10
; %bb.9:
	v_sub_nc_u64_e64 v[10:11], v[14:15], s[16:17]
	s_delay_alu instid0(VALU_DEP_1) | instskip(NEXT) | instid1(VALU_DEP_1)
	v_add_nc_u64_e32 v[10:11], v[10:11], v[18:19]
	v_lshl_add_u64 v[12:13], v[10:11], 3, s[6:7]
	v_lshl_add_u64 v[10:11], v[10:11], 4, s[8:9]
	global_load_b64 v[14:15], v[12:13], off
	global_load_b128 v[10:13], v[10:11], off
	s_wait_loadcnt 0x1
	v_sub_nc_u64_e64 v[14:15], v[14:15], s[16:17]
	s_wait_loadcnt 0x0
	v_xor_b32_e32 v1, 0x80000000, v13
	s_delay_alu instid0(VALU_DEP_1) | instskip(NEXT) | instid1(VALU_DEP_3)
	v_cndmask_b32_e32 v13, v13, v1, vcc_lo
	v_lshl_add_u64 v[14:15], v[14:15], 4, s[10:11]
	s_delay_alu instid0(VALU_DEP_2) | instskip(SKIP_3) | instid1(VALU_DEP_2)
	v_mul_f64_e32 v[20:21], v[6:7], v[12:13]
	global_load_b128 v[14:17], v[14:15], off
	v_mul_f64_e64 v[22:23], v[12:13], -v[8:9]
	v_fmac_f64_e32 v[20:21], v[8:9], v[10:11]
	v_fmac_f64_e32 v[22:23], v[6:7], v[10:11]
	s_wait_loadcnt 0x0
	s_delay_alu instid0(VALU_DEP_2) | instskip(NEXT) | instid1(VALU_DEP_2)
	v_mul_f64_e64 v[10:11], v[16:17], -v[20:21]
	v_mul_f64_e32 v[12:13], v[16:17], v[22:23]
	s_delay_alu instid0(VALU_DEP_2) | instskip(NEXT) | instid1(VALU_DEP_2)
	v_fmac_f64_e32 v[10:11], v[22:23], v[14:15]
	v_fmac_f64_e32 v[12:13], v[20:21], v[14:15]
.LBB75_10:
	s_or_b32 exec_lo, exec_lo, s15
	v_lshlrev_b32_e32 v1, 4, v0
	ds_store_b128 v1, v[10:13] offset:4096
.LBB75_11:
	s_or_b32 exec_lo, exec_lo, s1
	v_or_b32_e32 v1, 0x200, v0
	s_mov_b32 s1, exec_lo
	s_delay_alu instid0(VALU_DEP_1) | instskip(NEXT) | instid1(VALU_DEP_1)
	v_lshrrev_b32_e32 v1, s18, v1
	v_add_nc_u32_e32 v1, s14, v1
	s_delay_alu instid0(VALU_DEP_1)
	v_cmpx_gt_u32_e64 s20, v1
	s_cbranch_execz .LBB75_15
; %bb.12:
	global_load_b64 v[10:11], v1, s[12:13] scale_offset
	s_wait_loadcnt 0x0
	v_lshl_add_u64 v[10:11], v[10:11], 3, s[4:5]
	global_load_b128 v[14:17], v[10:11], off
	s_wait_xcnt 0x0
	v_mov_b64_e32 v[10:11], 0
	s_wait_loadcnt 0x0
	v_sub_nc_u64_e32 v[12:13], v[16:17], v[14:15]
	s_delay_alu instid0(VALU_DEP_1)
	v_cmp_gt_i64_e64 s0, v[12:13], v[18:19]
	v_mov_b64_e32 v[12:13], 0
	s_and_saveexec_b32 s15, s0
	s_cbranch_execz .LBB75_14
; %bb.13:
	v_sub_nc_u64_e64 v[10:11], v[14:15], s[16:17]
	s_delay_alu instid0(VALU_DEP_1) | instskip(NEXT) | instid1(VALU_DEP_1)
	v_add_nc_u64_e32 v[10:11], v[10:11], v[18:19]
	v_lshl_add_u64 v[12:13], v[10:11], 3, s[6:7]
	v_lshl_add_u64 v[10:11], v[10:11], 4, s[8:9]
	global_load_b64 v[14:15], v[12:13], off
	global_load_b128 v[10:13], v[10:11], off
	s_wait_loadcnt 0x1
	v_sub_nc_u64_e64 v[14:15], v[14:15], s[16:17]
	s_wait_loadcnt 0x0
	v_xor_b32_e32 v1, 0x80000000, v13
	s_delay_alu instid0(VALU_DEP_1) | instskip(NEXT) | instid1(VALU_DEP_3)
	v_cndmask_b32_e32 v13, v13, v1, vcc_lo
	v_lshl_add_u64 v[14:15], v[14:15], 4, s[10:11]
	s_delay_alu instid0(VALU_DEP_2) | instskip(SKIP_3) | instid1(VALU_DEP_2)
	v_mul_f64_e32 v[20:21], v[6:7], v[12:13]
	global_load_b128 v[14:17], v[14:15], off
	v_mul_f64_e64 v[22:23], v[12:13], -v[8:9]
	v_fmac_f64_e32 v[20:21], v[8:9], v[10:11]
	v_fmac_f64_e32 v[22:23], v[6:7], v[10:11]
	s_wait_loadcnt 0x0
	s_delay_alu instid0(VALU_DEP_2) | instskip(NEXT) | instid1(VALU_DEP_2)
	v_mul_f64_e64 v[10:11], v[16:17], -v[20:21]
	v_mul_f64_e32 v[12:13], v[16:17], v[22:23]
	s_delay_alu instid0(VALU_DEP_2) | instskip(NEXT) | instid1(VALU_DEP_2)
	v_fmac_f64_e32 v[10:11], v[22:23], v[14:15]
	v_fmac_f64_e32 v[12:13], v[20:21], v[14:15]
.LBB75_14:
	s_or_b32 exec_lo, exec_lo, s15
	v_lshlrev_b32_e32 v1, 4, v0
	ds_store_b128 v1, v[10:13] offset:8192
.LBB75_15:
	s_or_b32 exec_lo, exec_lo, s1
	v_or_b32_e32 v1, 0x300, v0
	s_mov_b32 s1, exec_lo
	s_delay_alu instid0(VALU_DEP_1) | instskip(NEXT) | instid1(VALU_DEP_1)
	v_lshrrev_b32_e32 v1, s18, v1
	v_add_nc_u32_e32 v1, s14, v1
	s_delay_alu instid0(VALU_DEP_1)
	v_cmpx_gt_u32_e64 s20, v1
	s_cbranch_execz .LBB75_19
; %bb.16:
	global_load_b64 v[10:11], v1, s[12:13] scale_offset
	s_wait_loadcnt 0x0
	v_lshl_add_u64 v[10:11], v[10:11], 3, s[4:5]
	global_load_b128 v[14:17], v[10:11], off
	s_wait_xcnt 0x0
	v_mov_b64_e32 v[10:11], 0
	s_wait_loadcnt 0x0
	v_sub_nc_u64_e32 v[12:13], v[16:17], v[14:15]
	s_delay_alu instid0(VALU_DEP_1)
	v_cmp_gt_i64_e64 s0, v[12:13], v[18:19]
	v_mov_b64_e32 v[12:13], 0
	s_and_saveexec_b32 s4, s0
	s_cbranch_execz .LBB75_18
; %bb.17:
	v_sub_nc_u64_e64 v[10:11], v[14:15], s[16:17]
	s_delay_alu instid0(VALU_DEP_1) | instskip(NEXT) | instid1(VALU_DEP_1)
	v_add_nc_u64_e32 v[10:11], v[10:11], v[18:19]
	v_lshl_add_u64 v[12:13], v[10:11], 3, s[6:7]
	v_lshl_add_u64 v[10:11], v[10:11], 4, s[8:9]
	global_load_b64 v[14:15], v[12:13], off
	global_load_b128 v[10:13], v[10:11], off
	s_wait_loadcnt 0x1
	v_sub_nc_u64_e64 v[14:15], v[14:15], s[16:17]
	s_wait_loadcnt 0x0
	v_xor_b32_e32 v1, 0x80000000, v13
	s_delay_alu instid0(VALU_DEP_1) | instskip(NEXT) | instid1(VALU_DEP_3)
	v_cndmask_b32_e32 v13, v13, v1, vcc_lo
	v_lshl_add_u64 v[14:15], v[14:15], 4, s[10:11]
	s_delay_alu instid0(VALU_DEP_2) | instskip(SKIP_3) | instid1(VALU_DEP_2)
	v_mul_f64_e32 v[18:19], v[6:7], v[12:13]
	global_load_b128 v[14:17], v[14:15], off
	v_mul_f64_e64 v[20:21], v[12:13], -v[8:9]
	v_fmac_f64_e32 v[18:19], v[8:9], v[10:11]
	v_fmac_f64_e32 v[20:21], v[6:7], v[10:11]
	s_wait_loadcnt 0x0
	s_delay_alu instid0(VALU_DEP_2) | instskip(NEXT) | instid1(VALU_DEP_2)
	v_mul_f64_e64 v[10:11], v[16:17], -v[18:19]
	v_mul_f64_e32 v[12:13], v[16:17], v[20:21]
	s_delay_alu instid0(VALU_DEP_2) | instskip(NEXT) | instid1(VALU_DEP_2)
	v_fmac_f64_e32 v[10:11], v[20:21], v[14:15]
	v_fmac_f64_e32 v[12:13], v[18:19], v[14:15]
.LBB75_18:
	s_or_b32 exec_lo, exec_lo, s4
	v_lshlrev_b32_e32 v1, 4, v0
	ds_store_b128 v1, v[10:13] offset:12288
.LBB75_19:
	s_or_b32 exec_lo, exec_lo, s1
	s_cmp_lt_u32 s18, 11
	s_wait_loadcnt_dscnt 0x0
	s_barrier_signal -1
	s_barrier_wait -1
	s_cbranch_scc0 .LBB75_28
; %bb.20:
	v_cmp_neq_f64_e32 vcc_lo, 0, v[2:3]
	v_cmp_neq_f64_e64 s0, 0, v[4:5]
	s_mov_b32 s15, 0
	s_sub_co_i32 s1, s20, s14
	s_lshl_b64 s[4:5], s[14:15], 3
	s_delay_alu instid0(SALU_CYCLE_1)
	s_add_nc_u64 s[4:5], s[12:13], s[4:5]
	s_or_b32 s0, vcc_lo, s0
	s_branch .LBB75_23
.LBB75_21:                              ;   in Loop: Header=BB75_23 Depth=1
	s_wait_xcnt 0x0
	s_or_b32 exec_lo, exec_lo, s7
	global_store_b128 v[10:11], v[6:9], off
.LBB75_22:                              ;   in Loop: Header=BB75_23 Depth=1
	s_wait_xcnt 0x0
	s_or_b32 exec_lo, exec_lo, s6
	s_addk_co_i32 s15, 0x100
	s_delay_alu instid0(SALU_CYCLE_1)
	s_cmp_lt_u32 s15, s19
	s_cbranch_scc0 .LBB75_28
.LBB75_23:                              ; =>This Loop Header: Depth=1
                                        ;     Child Loop BB75_25 Depth 2
	v_add_nc_u32_e32 v1, s15, v0
	s_mov_b32 s6, exec_lo
	s_delay_alu instid0(VALU_DEP_1)
	v_cmpx_gt_u32_e64 s1, v1
	s_cbranch_execz .LBB75_22
; %bb.24:                               ;   in Loop: Header=BB75_23 Depth=1
	global_load_b64 v[10:11], v1, s[4:5] scale_offset
	v_mov_b64_e32 v[8:9], 0
	s_wait_xcnt 0x0
	v_lshlrev_b32_e32 v1, s18, v1
	s_mov_b32 s7, 1
	s_delay_alu instid0(VALU_DEP_1) | instskip(NEXT) | instid1(VALU_DEP_3)
	v_lshlrev_b32_e32 v1, 4, v1
	v_mov_b64_e32 v[6:7], v[8:9]
.LBB75_25:                              ;   Parent Loop BB75_23 Depth=1
                                        ; =>  This Inner Loop Header: Depth=2
	ds_load_b128 v[12:15], v1
	s_lshr_b32 s8, s7, s18
	s_add_co_i32 s7, s7, 1
	s_cmp_lg_u32 s8, 0
	s_wait_dscnt 0x0
	v_dual_add_f64 v[8:9], v[8:9], v[14:15] :: v_dual_add_nc_u32 v1, 16, v1
	v_add_f64_e32 v[6:7], v[6:7], v[12:13]
	s_cbranch_scc0 .LBB75_25
; %bb.26:                               ;   in Loop: Header=BB75_23 Depth=1
	s_wait_loadcnt 0x0
	s_wait_kmcnt 0x0
	v_lshl_add_u64 v[10:11], v[10:11], 4, s[2:3]
	s_and_saveexec_b32 s7, s0
	s_cbranch_execz .LBB75_21
; %bb.27:                               ;   in Loop: Header=BB75_23 Depth=1
	global_load_b128 v[12:15], v[10:11], off
	s_wait_loadcnt 0x0
	v_fmac_f64_e32 v[6:7], v[2:3], v[12:13]
	v_fmac_f64_e32 v[8:9], v[4:5], v[12:13]
	s_delay_alu instid0(VALU_DEP_2) | instskip(NEXT) | instid1(VALU_DEP_2)
	v_fma_f64 v[6:7], -v[4:5], v[14:15], v[6:7]
	v_fmac_f64_e32 v[8:9], v[2:3], v[14:15]
	s_branch .LBB75_21
.LBB75_28:
	s_endpgm
	.section	.rodata,"a",@progbits
	.p2align	6, 0x0
	.amdhsa_kernel _ZN9rocsparseL30csrmvn_lrb_short_rows_2_kernelIll21rocsparse_complex_numIdES2_S2_S2_EEvbT_PT0_S5_jNS_24const_host_device_scalarIT4_EEPKS3_PKS4_PKT1_PKT2_S8_PT3_21rocsparse_index_base_b
		.amdhsa_group_segment_fixed_size 16384
		.amdhsa_private_segment_fixed_size 0
		.amdhsa_kernarg_size 120
		.amdhsa_user_sgpr_count 2
		.amdhsa_user_sgpr_dispatch_ptr 0
		.amdhsa_user_sgpr_queue_ptr 0
		.amdhsa_user_sgpr_kernarg_segment_ptr 1
		.amdhsa_user_sgpr_dispatch_id 0
		.amdhsa_user_sgpr_kernarg_preload_length 0
		.amdhsa_user_sgpr_kernarg_preload_offset 0
		.amdhsa_user_sgpr_private_segment_size 0
		.amdhsa_wavefront_size32 1
		.amdhsa_uses_dynamic_stack 0
		.amdhsa_enable_private_segment 0
		.amdhsa_system_sgpr_workgroup_id_x 1
		.amdhsa_system_sgpr_workgroup_id_y 0
		.amdhsa_system_sgpr_workgroup_id_z 0
		.amdhsa_system_sgpr_workgroup_info 0
		.amdhsa_system_vgpr_workitem_id 0
		.amdhsa_next_free_vgpr 24
		.amdhsa_next_free_sgpr 24
		.amdhsa_named_barrier_count 0
		.amdhsa_reserve_vcc 1
		.amdhsa_float_round_mode_32 0
		.amdhsa_float_round_mode_16_64 0
		.amdhsa_float_denorm_mode_32 3
		.amdhsa_float_denorm_mode_16_64 3
		.amdhsa_fp16_overflow 0
		.amdhsa_memory_ordered 1
		.amdhsa_forward_progress 1
		.amdhsa_inst_pref_size 15
		.amdhsa_round_robin_scheduling 0
		.amdhsa_exception_fp_ieee_invalid_op 0
		.amdhsa_exception_fp_denorm_src 0
		.amdhsa_exception_fp_ieee_div_zero 0
		.amdhsa_exception_fp_ieee_overflow 0
		.amdhsa_exception_fp_ieee_underflow 0
		.amdhsa_exception_fp_ieee_inexact 0
		.amdhsa_exception_int_div_zero 0
	.end_amdhsa_kernel
	.section	.text._ZN9rocsparseL30csrmvn_lrb_short_rows_2_kernelIll21rocsparse_complex_numIdES2_S2_S2_EEvbT_PT0_S5_jNS_24const_host_device_scalarIT4_EEPKS3_PKS4_PKT1_PKT2_S8_PT3_21rocsparse_index_base_b,"axG",@progbits,_ZN9rocsparseL30csrmvn_lrb_short_rows_2_kernelIll21rocsparse_complex_numIdES2_S2_S2_EEvbT_PT0_S5_jNS_24const_host_device_scalarIT4_EEPKS3_PKS4_PKT1_PKT2_S8_PT3_21rocsparse_index_base_b,comdat
.Lfunc_end75:
	.size	_ZN9rocsparseL30csrmvn_lrb_short_rows_2_kernelIll21rocsparse_complex_numIdES2_S2_S2_EEvbT_PT0_S5_jNS_24const_host_device_scalarIT4_EEPKS3_PKS4_PKT1_PKT2_S8_PT3_21rocsparse_index_base_b, .Lfunc_end75-_ZN9rocsparseL30csrmvn_lrb_short_rows_2_kernelIll21rocsparse_complex_numIdES2_S2_S2_EEvbT_PT0_S5_jNS_24const_host_device_scalarIT4_EEPKS3_PKS4_PKT1_PKT2_S8_PT3_21rocsparse_index_base_b
                                        ; -- End function
	.set _ZN9rocsparseL30csrmvn_lrb_short_rows_2_kernelIll21rocsparse_complex_numIdES2_S2_S2_EEvbT_PT0_S5_jNS_24const_host_device_scalarIT4_EEPKS3_PKS4_PKT1_PKT2_S8_PT3_21rocsparse_index_base_b.num_vgpr, 24
	.set _ZN9rocsparseL30csrmvn_lrb_short_rows_2_kernelIll21rocsparse_complex_numIdES2_S2_S2_EEvbT_PT0_S5_jNS_24const_host_device_scalarIT4_EEPKS3_PKS4_PKT1_PKT2_S8_PT3_21rocsparse_index_base_b.num_agpr, 0
	.set _ZN9rocsparseL30csrmvn_lrb_short_rows_2_kernelIll21rocsparse_complex_numIdES2_S2_S2_EEvbT_PT0_S5_jNS_24const_host_device_scalarIT4_EEPKS3_PKS4_PKT1_PKT2_S8_PT3_21rocsparse_index_base_b.numbered_sgpr, 24
	.set _ZN9rocsparseL30csrmvn_lrb_short_rows_2_kernelIll21rocsparse_complex_numIdES2_S2_S2_EEvbT_PT0_S5_jNS_24const_host_device_scalarIT4_EEPKS3_PKS4_PKT1_PKT2_S8_PT3_21rocsparse_index_base_b.num_named_barrier, 0
	.set _ZN9rocsparseL30csrmvn_lrb_short_rows_2_kernelIll21rocsparse_complex_numIdES2_S2_S2_EEvbT_PT0_S5_jNS_24const_host_device_scalarIT4_EEPKS3_PKS4_PKT1_PKT2_S8_PT3_21rocsparse_index_base_b.private_seg_size, 0
	.set _ZN9rocsparseL30csrmvn_lrb_short_rows_2_kernelIll21rocsparse_complex_numIdES2_S2_S2_EEvbT_PT0_S5_jNS_24const_host_device_scalarIT4_EEPKS3_PKS4_PKT1_PKT2_S8_PT3_21rocsparse_index_base_b.uses_vcc, 1
	.set _ZN9rocsparseL30csrmvn_lrb_short_rows_2_kernelIll21rocsparse_complex_numIdES2_S2_S2_EEvbT_PT0_S5_jNS_24const_host_device_scalarIT4_EEPKS3_PKS4_PKT1_PKT2_S8_PT3_21rocsparse_index_base_b.uses_flat_scratch, 0
	.set _ZN9rocsparseL30csrmvn_lrb_short_rows_2_kernelIll21rocsparse_complex_numIdES2_S2_S2_EEvbT_PT0_S5_jNS_24const_host_device_scalarIT4_EEPKS3_PKS4_PKT1_PKT2_S8_PT3_21rocsparse_index_base_b.has_dyn_sized_stack, 0
	.set _ZN9rocsparseL30csrmvn_lrb_short_rows_2_kernelIll21rocsparse_complex_numIdES2_S2_S2_EEvbT_PT0_S5_jNS_24const_host_device_scalarIT4_EEPKS3_PKS4_PKT1_PKT2_S8_PT3_21rocsparse_index_base_b.has_recursion, 0
	.set _ZN9rocsparseL30csrmvn_lrb_short_rows_2_kernelIll21rocsparse_complex_numIdES2_S2_S2_EEvbT_PT0_S5_jNS_24const_host_device_scalarIT4_EEPKS3_PKS4_PKT1_PKT2_S8_PT3_21rocsparse_index_base_b.has_indirect_call, 0
	.section	.AMDGPU.csdata,"",@progbits
; Kernel info:
; codeLenInByte = 1840
; TotalNumSgprs: 26
; NumVgprs: 24
; ScratchSize: 0
; MemoryBound: 0
; FloatMode: 240
; IeeeMode: 1
; LDSByteSize: 16384 bytes/workgroup (compile time only)
; SGPRBlocks: 0
; VGPRBlocks: 1
; NumSGPRsForWavesPerEU: 26
; NumVGPRsForWavesPerEU: 24
; NamedBarCnt: 0
; Occupancy: 16
; WaveLimiterHint : 1
; COMPUTE_PGM_RSRC2:SCRATCH_EN: 0
; COMPUTE_PGM_RSRC2:USER_SGPR: 2
; COMPUTE_PGM_RSRC2:TRAP_HANDLER: 0
; COMPUTE_PGM_RSRC2:TGID_X_EN: 1
; COMPUTE_PGM_RSRC2:TGID_Y_EN: 0
; COMPUTE_PGM_RSRC2:TGID_Z_EN: 0
; COMPUTE_PGM_RSRC2:TIDIG_COMP_CNT: 0
	.section	.text._ZN9rocsparseL41csrmvn_lrb_medium_rows_warp_reduce_kernelILj256ELj32Ell21rocsparse_complex_numIdES2_S2_S2_EEvbT1_lPT2_S5_jNS_24const_host_device_scalarIT6_EEPKS3_PKS4_PKT3_PKT4_S8_PT5_21rocsparse_index_base_b,"axG",@progbits,_ZN9rocsparseL41csrmvn_lrb_medium_rows_warp_reduce_kernelILj256ELj32Ell21rocsparse_complex_numIdES2_S2_S2_EEvbT1_lPT2_S5_jNS_24const_host_device_scalarIT6_EEPKS3_PKS4_PKT3_PKT4_S8_PT5_21rocsparse_index_base_b,comdat
	.globl	_ZN9rocsparseL41csrmvn_lrb_medium_rows_warp_reduce_kernelILj256ELj32Ell21rocsparse_complex_numIdES2_S2_S2_EEvbT1_lPT2_S5_jNS_24const_host_device_scalarIT6_EEPKS3_PKS4_PKT3_PKT4_S8_PT5_21rocsparse_index_base_b ; -- Begin function _ZN9rocsparseL41csrmvn_lrb_medium_rows_warp_reduce_kernelILj256ELj32Ell21rocsparse_complex_numIdES2_S2_S2_EEvbT1_lPT2_S5_jNS_24const_host_device_scalarIT6_EEPKS3_PKS4_PKT3_PKT4_S8_PT5_21rocsparse_index_base_b
	.p2align	8
	.type	_ZN9rocsparseL41csrmvn_lrb_medium_rows_warp_reduce_kernelILj256ELj32Ell21rocsparse_complex_numIdES2_S2_S2_EEvbT1_lPT2_S5_jNS_24const_host_device_scalarIT6_EEPKS3_PKS4_PKT3_PKT4_S8_PT5_21rocsparse_index_base_b,@function
_ZN9rocsparseL41csrmvn_lrb_medium_rows_warp_reduce_kernelILj256ELj32Ell21rocsparse_complex_numIdES2_S2_S2_EEvbT1_lPT2_S5_jNS_24const_host_device_scalarIT6_EEPKS3_PKS4_PKT3_PKT4_S8_PT5_21rocsparse_index_base_b: ; @_ZN9rocsparseL41csrmvn_lrb_medium_rows_warp_reduce_kernelILj256ELj32Ell21rocsparse_complex_numIdES2_S2_S2_EEvbT1_lPT2_S5_jNS_24const_host_device_scalarIT6_EEPKS3_PKS4_PKT3_PKT4_S8_PT5_21rocsparse_index_base_b
; %bb.0:
	s_clause 0x1
	s_load_b64 s[4:5], s[0:1], 0x78
	s_load_b64 s[2:3], s[0:1], 0x30
	v_mov_b32_e32 v1, 0
	s_add_nc_u64 s[6:7], s[0:1], 48
	s_load_b64 s[8:9], s[0:1], 0x60
	s_wait_kmcnt 0x0
	s_bitcmp1_b32 s5, 0
	s_cselect_b32 s3, s7, s3
	s_cselect_b32 s2, s6, s2
	flat_load_b128 v[6:9], v1, s[2:3]
	s_wait_xcnt 0x0
	s_add_nc_u64 s[2:3], s[0:1], 0x60
	s_delay_alu instid0(SALU_CYCLE_1)
	s_cselect_b32 s3, s3, s9
	s_cselect_b32 s2, s2, s8
	flat_load_b128 v[2:5], v1, s[2:3]
	s_wait_loadcnt_dscnt 0x101
	v_cmp_eq_f64_e32 vcc_lo, 0, v[6:7]
	s_wait_xcnt 0x0
	v_cmp_eq_f64_e64 s2, 0, v[8:9]
	s_and_b32 s5, vcc_lo, s2
	s_mov_b32 s2, -1
	s_and_saveexec_b32 s3, s5
	s_cbranch_execz .LBB76_2
; %bb.1:
	s_wait_loadcnt_dscnt 0x0
	v_cmp_neq_f64_e32 vcc_lo, 1.0, v[2:3]
	v_cmp_neq_f64_e64 s2, 0, v[4:5]
	s_or_b32 s2, vcc_lo, s2
	s_delay_alu instid0(SALU_CYCLE_1)
	s_or_not1_b32 s2, s2, exec_lo
.LBB76_2:
	s_or_b32 exec_lo, exec_lo, s3
	s_and_saveexec_b32 s3, s2
	s_cbranch_execz .LBB76_12
; %bb.3:
	s_bfe_u32 s5, ttmp6, 0x4000c
	s_load_b64 s[2:3], s[0:1], 0x10
	s_add_co_i32 s5, s5, 1
	s_and_b32 s6, ttmp6, 15
	s_mul_i32 s5, ttmp9, s5
	s_getreg_b32 s7, hwreg(HW_REG_IB_STS2, 6, 4)
	v_lshrrev_b32_e32 v1, 5, v0
	s_add_co_i32 s6, s6, s5
	s_cmp_eq_u32 s7, 0
	s_cselect_b32 s5, ttmp9, s6
	s_delay_alu instid0(VALU_DEP_1) | instid1(SALU_CYCLE_1)
	v_lshl_or_b32 v10, s5, 3, v1
	s_mov_b32 s5, 0
	s_delay_alu instid0(VALU_DEP_1) | instskip(SKIP_1) | instid1(VALU_DEP_1)
	v_ashrrev_i32_e32 v11, 31, v10
	s_wait_kmcnt 0x0
	v_cmp_gt_i64_e32 vcc_lo, s[2:3], v[10:11]
	s_and_b32 exec_lo, exec_lo, vcc_lo
	s_cbranch_execz .LBB76_12
; %bb.4:
	s_clause 0x1
	s_load_b128 s[8:11], s[0:1], 0x18
	s_load_b32 s2, s[0:1], 0x28
	v_dual_mov_b32 v1, 0 :: v_dual_bitop2_b32 v0, 31, v0 bitop3:0x40
	s_delay_alu instid0(VALU_DEP_1) | instskip(SKIP_4) | instid1(SALU_CYCLE_1)
	v_sub_nc_u64_e64 v[18:19], v[0:1], s[4:5]
	s_wait_kmcnt 0x0
	s_load_b64 s[2:3], s[10:11], s2 offset:0x0 scale_offset
	s_wait_kmcnt 0x0
	s_lshl_b64 s[2:3], s[2:3], 3
	s_add_nc_u64 s[2:3], s[8:9], s[2:3]
	s_delay_alu instid0(SALU_CYCLE_1)
	v_lshl_add_u64 v[10:11], v[10:11], 3, s[2:3]
	s_load_b64 s[2:3], s[0:1], 0x40
	global_load_b64 v[10:11], v[10:11], off
	s_wait_loadcnt 0x0
	s_wait_kmcnt 0x0
	v_lshl_add_u64 v[12:13], v[10:11], 3, s[2:3]
	s_mov_b32 s3, exec_lo
	global_load_b128 v[12:15], v[12:13], off
	s_wait_loadcnt 0x0
	v_sub_nc_u64_e64 v[16:17], v[14:15], s[4:5]
	v_add_nc_u64_e32 v[18:19], v[12:13], v[18:19]
	v_mov_b64_e32 v[12:13], 0
	v_mov_b64_e32 v[14:15], 0
	s_delay_alu instid0(VALU_DEP_3)
	v_cmpx_lt_i64_e64 v[18:19], v[16:17]
	s_cbranch_execz .LBB76_8
; %bb.5:
	s_clause 0x2
	s_load_b128 s[8:11], s[0:1], 0x48
	s_load_b32 s2, s[0:1], 0x0
	s_load_b64 s[6:7], s[0:1], 0x58
	v_mov_b64_e32 v[12:13], 0
	s_wait_kmcnt 0x0
	v_lshl_add_u64 v[14:15], v[18:19], 4, s[10:11]
	v_lshl_add_u64 v[22:23], v[18:19], 3, s[8:9]
	s_bitcmp1_b32 s2, 0
	s_mov_b32 s8, 0
	s_cselect_b32 vcc_lo, -1, 0
	v_add_nc_u64_e32 v[20:21], 8, v[14:15]
	v_mov_b64_e32 v[14:15], 0
.LBB76_6:                               ; =>This Inner Loop Header: Depth=1
	global_load_b64 v[28:29], v[22:23], off
	global_load_b128 v[24:27], v[20:21], off offset:-8
	v_add_nc_u64_e32 v[18:19], 32, v[18:19]
	s_wait_xcnt 0x0
	v_add_nc_u64_e32 v[20:21], 0x200, v[20:21]
	v_add_nc_u64_e32 v[22:23], 0x100, v[22:23]
	s_delay_alu instid0(VALU_DEP_3)
	v_cmp_ge_i64_e64 s2, v[18:19], v[16:17]
	s_or_b32 s8, s2, s8
	s_wait_loadcnt 0x1
	v_sub_nc_u64_e64 v[28:29], v[28:29], s[4:5]
	s_wait_loadcnt 0x0
	v_xor_b32_e32 v1, 0x80000000, v27
	s_delay_alu instid0(VALU_DEP_1) | instskip(NEXT) | instid1(VALU_DEP_3)
	v_cndmask_b32_e32 v27, v27, v1, vcc_lo
	v_lshl_add_u64 v[28:29], v[28:29], 4, s[6:7]
	s_delay_alu instid0(VALU_DEP_2) | instskip(SKIP_3) | instid1(VALU_DEP_2)
	v_mul_f64_e64 v[32:33], v[26:27], -v[8:9]
	global_load_b128 v[28:31], v[28:29], off
	v_mul_f64_e32 v[26:27], v[6:7], v[26:27]
	v_fmac_f64_e32 v[32:33], v[6:7], v[24:25]
	v_fmac_f64_e32 v[26:27], v[8:9], v[24:25]
	s_wait_loadcnt 0x0
	s_delay_alu instid0(VALU_DEP_2) | instskip(NEXT) | instid1(VALU_DEP_2)
	v_fmac_f64_e32 v[14:15], v[32:33], v[28:29]
	v_fmac_f64_e32 v[12:13], v[26:27], v[28:29]
	s_delay_alu instid0(VALU_DEP_2) | instskip(NEXT) | instid1(VALU_DEP_2)
	v_fma_f64 v[14:15], -v[26:27], v[30:31], v[14:15]
	v_fmac_f64_e32 v[12:13], v[32:33], v[30:31]
	s_and_not1_b32 exec_lo, exec_lo, s8
	s_cbranch_execnz .LBB76_6
; %bb.7:
	s_or_b32 exec_lo, exec_lo, s8
.LBB76_8:
	s_delay_alu instid0(SALU_CYCLE_1) | instskip(SKIP_2) | instid1(VALU_DEP_1)
	s_or_b32 exec_lo, exec_lo, s3
	v_mbcnt_lo_u32_b32 v1, -1, 0
	s_load_b64 s[2:3], s[0:1], 0x70
	v_xor_b32_e32 v6, 16, v1
	s_delay_alu instid0(VALU_DEP_1) | instskip(SKIP_1) | instid1(VALU_DEP_1)
	v_cmp_gt_i32_e32 vcc_lo, 32, v6
	v_cndmask_b32_e32 v6, v1, v6, vcc_lo
	v_lshlrev_b32_e32 v9, 2, v6
	ds_bpermute_b32 v6, v9, v14
	ds_bpermute_b32 v7, v9, v15
	;; [unrolled: 1-line block ×4, first 2 shown]
	s_wait_dscnt 0x2
	v_add_f64_e32 v[6:7], v[14:15], v[6:7]
	s_wait_dscnt 0x0
	v_add_f64_e32 v[8:9], v[12:13], v[8:9]
	v_xor_b32_e32 v12, 8, v1
	s_delay_alu instid0(VALU_DEP_1) | instskip(SKIP_1) | instid1(VALU_DEP_1)
	v_cmp_gt_i32_e32 vcc_lo, 32, v12
	v_cndmask_b32_e32 v12, v1, v12, vcc_lo
	v_lshlrev_b32_e32 v15, 2, v12
	ds_bpermute_b32 v12, v15, v6
	ds_bpermute_b32 v13, v15, v7
	ds_bpermute_b32 v14, v15, v8
	ds_bpermute_b32 v15, v15, v9
	s_wait_dscnt 0x2
	v_add_f64_e32 v[6:7], v[6:7], v[12:13]
	v_xor_b32_e32 v12, 4, v1
	s_delay_alu instid0(VALU_DEP_1) | instskip(SKIP_2) | instid1(VALU_DEP_1)
	v_cmp_gt_i32_e32 vcc_lo, 32, v12
	v_cndmask_b32_e32 v12, v1, v12, vcc_lo
	s_wait_dscnt 0x0
	v_dual_add_f64 v[8:9], v[8:9], v[14:15] :: v_dual_lshlrev_b32 v15, 2, v12
	ds_bpermute_b32 v12, v15, v6
	ds_bpermute_b32 v13, v15, v7
	;; [unrolled: 1-line block ×4, first 2 shown]
	s_wait_dscnt 0x2
	v_add_f64_e32 v[6:7], v[6:7], v[12:13]
	v_xor_b32_e32 v12, 2, v1
	s_delay_alu instid0(VALU_DEP_1) | instskip(SKIP_2) | instid1(VALU_DEP_1)
	v_cmp_gt_i32_e32 vcc_lo, 32, v12
	v_cndmask_b32_e32 v12, v1, v12, vcc_lo
	s_wait_dscnt 0x0
	v_dual_add_f64 v[8:9], v[8:9], v[14:15] :: v_dual_lshlrev_b32 v15, 2, v12
	ds_bpermute_b32 v12, v15, v6
	ds_bpermute_b32 v13, v15, v7
	s_wait_dscnt 0x0
	v_add_f64_e32 v[6:7], v[6:7], v[12:13]
	v_xor_b32_e32 v12, 1, v1
	ds_bpermute_b32 v14, v15, v8
	ds_bpermute_b32 v15, v15, v9
	v_cmp_gt_i32_e32 vcc_lo, 32, v12
	v_cndmask_b32_e32 v1, v1, v12, vcc_lo
	v_cmp_eq_u32_e32 vcc_lo, 31, v0
	s_wait_dscnt 0x0
	s_delay_alu instid0(VALU_DEP_2)
	v_dual_add_f64 v[8:9], v[8:9], v[14:15] :: v_dual_lshlrev_b32 v1, 2, v1
	ds_bpermute_b32 v12, v1, v6
	ds_bpermute_b32 v13, v1, v7
	ds_bpermute_b32 v14, v1, v8
	ds_bpermute_b32 v15, v1, v9
	s_and_b32 exec_lo, exec_lo, vcc_lo
	s_cbranch_execz .LBB76_12
; %bb.9:
	v_cmp_neq_f64_e32 vcc_lo, 0, v[2:3]
	s_wait_xcnt 0x0
	v_cmp_neq_f64_e64 s0, 0, v[4:5]
	s_wait_dscnt 0x2
	v_add_f64_e32 v[6:7], v[6:7], v[12:13]
	s_wait_dscnt 0x0
	v_add_f64_e32 v[8:9], v[8:9], v[14:15]
	s_wait_kmcnt 0x0
	v_lshl_add_u64 v[0:1], v[10:11], 4, s[2:3]
	s_or_b32 s1, vcc_lo, s0
	s_delay_alu instid0(SALU_CYCLE_1)
	s_and_saveexec_b32 s0, s1
	s_cbranch_execz .LBB76_11
; %bb.10:
	global_load_b128 v[10:13], v[0:1], off
	s_wait_loadcnt 0x0
	v_fmac_f64_e32 v[6:7], v[2:3], v[10:11]
	v_fmac_f64_e32 v[8:9], v[4:5], v[10:11]
	s_delay_alu instid0(VALU_DEP_2) | instskip(NEXT) | instid1(VALU_DEP_2)
	v_fma_f64 v[6:7], -v[4:5], v[12:13], v[6:7]
	v_fmac_f64_e32 v[8:9], v[2:3], v[12:13]
.LBB76_11:
	s_or_b32 exec_lo, exec_lo, s0
	global_store_b128 v[0:1], v[6:9], off
.LBB76_12:
	s_endpgm
	.section	.rodata,"a",@progbits
	.p2align	6, 0x0
	.amdhsa_kernel _ZN9rocsparseL41csrmvn_lrb_medium_rows_warp_reduce_kernelILj256ELj32Ell21rocsparse_complex_numIdES2_S2_S2_EEvbT1_lPT2_S5_jNS_24const_host_device_scalarIT6_EEPKS3_PKS4_PKT3_PKT4_S8_PT5_21rocsparse_index_base_b
		.amdhsa_group_segment_fixed_size 0
		.amdhsa_private_segment_fixed_size 0
		.amdhsa_kernarg_size 128
		.amdhsa_user_sgpr_count 2
		.amdhsa_user_sgpr_dispatch_ptr 0
		.amdhsa_user_sgpr_queue_ptr 0
		.amdhsa_user_sgpr_kernarg_segment_ptr 1
		.amdhsa_user_sgpr_dispatch_id 0
		.amdhsa_user_sgpr_kernarg_preload_length 0
		.amdhsa_user_sgpr_kernarg_preload_offset 0
		.amdhsa_user_sgpr_private_segment_size 0
		.amdhsa_wavefront_size32 1
		.amdhsa_uses_dynamic_stack 0
		.amdhsa_enable_private_segment 0
		.amdhsa_system_sgpr_workgroup_id_x 1
		.amdhsa_system_sgpr_workgroup_id_y 0
		.amdhsa_system_sgpr_workgroup_id_z 0
		.amdhsa_system_sgpr_workgroup_info 0
		.amdhsa_system_vgpr_workitem_id 0
		.amdhsa_next_free_vgpr 34
		.amdhsa_next_free_sgpr 12
		.amdhsa_named_barrier_count 0
		.amdhsa_reserve_vcc 1
		.amdhsa_float_round_mode_32 0
		.amdhsa_float_round_mode_16_64 0
		.amdhsa_float_denorm_mode_32 3
		.amdhsa_float_denorm_mode_16_64 3
		.amdhsa_fp16_overflow 0
		.amdhsa_memory_ordered 1
		.amdhsa_forward_progress 1
		.amdhsa_inst_pref_size 10
		.amdhsa_round_robin_scheduling 0
		.amdhsa_exception_fp_ieee_invalid_op 0
		.amdhsa_exception_fp_denorm_src 0
		.amdhsa_exception_fp_ieee_div_zero 0
		.amdhsa_exception_fp_ieee_overflow 0
		.amdhsa_exception_fp_ieee_underflow 0
		.amdhsa_exception_fp_ieee_inexact 0
		.amdhsa_exception_int_div_zero 0
	.end_amdhsa_kernel
	.section	.text._ZN9rocsparseL41csrmvn_lrb_medium_rows_warp_reduce_kernelILj256ELj32Ell21rocsparse_complex_numIdES2_S2_S2_EEvbT1_lPT2_S5_jNS_24const_host_device_scalarIT6_EEPKS3_PKS4_PKT3_PKT4_S8_PT5_21rocsparse_index_base_b,"axG",@progbits,_ZN9rocsparseL41csrmvn_lrb_medium_rows_warp_reduce_kernelILj256ELj32Ell21rocsparse_complex_numIdES2_S2_S2_EEvbT1_lPT2_S5_jNS_24const_host_device_scalarIT6_EEPKS3_PKS4_PKT3_PKT4_S8_PT5_21rocsparse_index_base_b,comdat
.Lfunc_end76:
	.size	_ZN9rocsparseL41csrmvn_lrb_medium_rows_warp_reduce_kernelILj256ELj32Ell21rocsparse_complex_numIdES2_S2_S2_EEvbT1_lPT2_S5_jNS_24const_host_device_scalarIT6_EEPKS3_PKS4_PKT3_PKT4_S8_PT5_21rocsparse_index_base_b, .Lfunc_end76-_ZN9rocsparseL41csrmvn_lrb_medium_rows_warp_reduce_kernelILj256ELj32Ell21rocsparse_complex_numIdES2_S2_S2_EEvbT1_lPT2_S5_jNS_24const_host_device_scalarIT6_EEPKS3_PKS4_PKT3_PKT4_S8_PT5_21rocsparse_index_base_b
                                        ; -- End function
	.set _ZN9rocsparseL41csrmvn_lrb_medium_rows_warp_reduce_kernelILj256ELj32Ell21rocsparse_complex_numIdES2_S2_S2_EEvbT1_lPT2_S5_jNS_24const_host_device_scalarIT6_EEPKS3_PKS4_PKT3_PKT4_S8_PT5_21rocsparse_index_base_b.num_vgpr, 34
	.set _ZN9rocsparseL41csrmvn_lrb_medium_rows_warp_reduce_kernelILj256ELj32Ell21rocsparse_complex_numIdES2_S2_S2_EEvbT1_lPT2_S5_jNS_24const_host_device_scalarIT6_EEPKS3_PKS4_PKT3_PKT4_S8_PT5_21rocsparse_index_base_b.num_agpr, 0
	.set _ZN9rocsparseL41csrmvn_lrb_medium_rows_warp_reduce_kernelILj256ELj32Ell21rocsparse_complex_numIdES2_S2_S2_EEvbT1_lPT2_S5_jNS_24const_host_device_scalarIT6_EEPKS3_PKS4_PKT3_PKT4_S8_PT5_21rocsparse_index_base_b.numbered_sgpr, 12
	.set _ZN9rocsparseL41csrmvn_lrb_medium_rows_warp_reduce_kernelILj256ELj32Ell21rocsparse_complex_numIdES2_S2_S2_EEvbT1_lPT2_S5_jNS_24const_host_device_scalarIT6_EEPKS3_PKS4_PKT3_PKT4_S8_PT5_21rocsparse_index_base_b.num_named_barrier, 0
	.set _ZN9rocsparseL41csrmvn_lrb_medium_rows_warp_reduce_kernelILj256ELj32Ell21rocsparse_complex_numIdES2_S2_S2_EEvbT1_lPT2_S5_jNS_24const_host_device_scalarIT6_EEPKS3_PKS4_PKT3_PKT4_S8_PT5_21rocsparse_index_base_b.private_seg_size, 0
	.set _ZN9rocsparseL41csrmvn_lrb_medium_rows_warp_reduce_kernelILj256ELj32Ell21rocsparse_complex_numIdES2_S2_S2_EEvbT1_lPT2_S5_jNS_24const_host_device_scalarIT6_EEPKS3_PKS4_PKT3_PKT4_S8_PT5_21rocsparse_index_base_b.uses_vcc, 1
	.set _ZN9rocsparseL41csrmvn_lrb_medium_rows_warp_reduce_kernelILj256ELj32Ell21rocsparse_complex_numIdES2_S2_S2_EEvbT1_lPT2_S5_jNS_24const_host_device_scalarIT6_EEPKS3_PKS4_PKT3_PKT4_S8_PT5_21rocsparse_index_base_b.uses_flat_scratch, 0
	.set _ZN9rocsparseL41csrmvn_lrb_medium_rows_warp_reduce_kernelILj256ELj32Ell21rocsparse_complex_numIdES2_S2_S2_EEvbT1_lPT2_S5_jNS_24const_host_device_scalarIT6_EEPKS3_PKS4_PKT3_PKT4_S8_PT5_21rocsparse_index_base_b.has_dyn_sized_stack, 0
	.set _ZN9rocsparseL41csrmvn_lrb_medium_rows_warp_reduce_kernelILj256ELj32Ell21rocsparse_complex_numIdES2_S2_S2_EEvbT1_lPT2_S5_jNS_24const_host_device_scalarIT6_EEPKS3_PKS4_PKT3_PKT4_S8_PT5_21rocsparse_index_base_b.has_recursion, 0
	.set _ZN9rocsparseL41csrmvn_lrb_medium_rows_warp_reduce_kernelILj256ELj32Ell21rocsparse_complex_numIdES2_S2_S2_EEvbT1_lPT2_S5_jNS_24const_host_device_scalarIT6_EEPKS3_PKS4_PKT3_PKT4_S8_PT5_21rocsparse_index_base_b.has_indirect_call, 0
	.section	.AMDGPU.csdata,"",@progbits
; Kernel info:
; codeLenInByte = 1184
; TotalNumSgprs: 14
; NumVgprs: 34
; ScratchSize: 0
; MemoryBound: 0
; FloatMode: 240
; IeeeMode: 1
; LDSByteSize: 0 bytes/workgroup (compile time only)
; SGPRBlocks: 0
; VGPRBlocks: 2
; NumSGPRsForWavesPerEU: 14
; NumVGPRsForWavesPerEU: 34
; NamedBarCnt: 0
; Occupancy: 16
; WaveLimiterHint : 1
; COMPUTE_PGM_RSRC2:SCRATCH_EN: 0
; COMPUTE_PGM_RSRC2:USER_SGPR: 2
; COMPUTE_PGM_RSRC2:TRAP_HANDLER: 0
; COMPUTE_PGM_RSRC2:TGID_X_EN: 1
; COMPUTE_PGM_RSRC2:TGID_Y_EN: 0
; COMPUTE_PGM_RSRC2:TGID_Z_EN: 0
; COMPUTE_PGM_RSRC2:TIDIG_COMP_CNT: 0
	.section	.text._ZN9rocsparseL41csrmvn_lrb_medium_rows_warp_reduce_kernelILj256ELj64Ell21rocsparse_complex_numIdES2_S2_S2_EEvbT1_lPT2_S5_jNS_24const_host_device_scalarIT6_EEPKS3_PKS4_PKT3_PKT4_S8_PT5_21rocsparse_index_base_b,"axG",@progbits,_ZN9rocsparseL41csrmvn_lrb_medium_rows_warp_reduce_kernelILj256ELj64Ell21rocsparse_complex_numIdES2_S2_S2_EEvbT1_lPT2_S5_jNS_24const_host_device_scalarIT6_EEPKS3_PKS4_PKT3_PKT4_S8_PT5_21rocsparse_index_base_b,comdat
	.globl	_ZN9rocsparseL41csrmvn_lrb_medium_rows_warp_reduce_kernelILj256ELj64Ell21rocsparse_complex_numIdES2_S2_S2_EEvbT1_lPT2_S5_jNS_24const_host_device_scalarIT6_EEPKS3_PKS4_PKT3_PKT4_S8_PT5_21rocsparse_index_base_b ; -- Begin function _ZN9rocsparseL41csrmvn_lrb_medium_rows_warp_reduce_kernelILj256ELj64Ell21rocsparse_complex_numIdES2_S2_S2_EEvbT1_lPT2_S5_jNS_24const_host_device_scalarIT6_EEPKS3_PKS4_PKT3_PKT4_S8_PT5_21rocsparse_index_base_b
	.p2align	8
	.type	_ZN9rocsparseL41csrmvn_lrb_medium_rows_warp_reduce_kernelILj256ELj64Ell21rocsparse_complex_numIdES2_S2_S2_EEvbT1_lPT2_S5_jNS_24const_host_device_scalarIT6_EEPKS3_PKS4_PKT3_PKT4_S8_PT5_21rocsparse_index_base_b,@function
_ZN9rocsparseL41csrmvn_lrb_medium_rows_warp_reduce_kernelILj256ELj64Ell21rocsparse_complex_numIdES2_S2_S2_EEvbT1_lPT2_S5_jNS_24const_host_device_scalarIT6_EEPKS3_PKS4_PKT3_PKT4_S8_PT5_21rocsparse_index_base_b: ; @_ZN9rocsparseL41csrmvn_lrb_medium_rows_warp_reduce_kernelILj256ELj64Ell21rocsparse_complex_numIdES2_S2_S2_EEvbT1_lPT2_S5_jNS_24const_host_device_scalarIT6_EEPKS3_PKS4_PKT3_PKT4_S8_PT5_21rocsparse_index_base_b
; %bb.0:
	s_clause 0x1
	s_load_b64 s[4:5], s[0:1], 0x78
	s_load_b64 s[2:3], s[0:1], 0x30
	v_mov_b32_e32 v1, 0
	s_add_nc_u64 s[6:7], s[0:1], 48
	s_load_b64 s[8:9], s[0:1], 0x60
	s_wait_kmcnt 0x0
	s_bitcmp1_b32 s5, 0
	s_cselect_b32 s3, s7, s3
	s_cselect_b32 s2, s6, s2
	flat_load_b128 v[6:9], v1, s[2:3]
	s_wait_xcnt 0x0
	s_add_nc_u64 s[2:3], s[0:1], 0x60
	s_delay_alu instid0(SALU_CYCLE_1)
	s_cselect_b32 s3, s3, s9
	s_cselect_b32 s2, s2, s8
	flat_load_b128 v[2:5], v1, s[2:3]
	s_wait_loadcnt_dscnt 0x101
	v_cmp_eq_f64_e32 vcc_lo, 0, v[6:7]
	s_wait_xcnt 0x0
	v_cmp_eq_f64_e64 s2, 0, v[8:9]
	s_and_b32 s5, vcc_lo, s2
	s_mov_b32 s2, -1
	s_and_saveexec_b32 s3, s5
	s_cbranch_execz .LBB77_2
; %bb.1:
	s_wait_loadcnt_dscnt 0x0
	v_cmp_neq_f64_e32 vcc_lo, 1.0, v[2:3]
	v_cmp_neq_f64_e64 s2, 0, v[4:5]
	s_or_b32 s2, vcc_lo, s2
	s_delay_alu instid0(SALU_CYCLE_1)
	s_or_not1_b32 s2, s2, exec_lo
.LBB77_2:
	s_or_b32 exec_lo, exec_lo, s3
	s_and_saveexec_b32 s3, s2
	s_cbranch_execz .LBB77_12
; %bb.3:
	s_bfe_u32 s5, ttmp6, 0x4000c
	s_load_b64 s[2:3], s[0:1], 0x10
	s_add_co_i32 s5, s5, 1
	s_and_b32 s6, ttmp6, 15
	s_mul_i32 s5, ttmp9, s5
	s_getreg_b32 s7, hwreg(HW_REG_IB_STS2, 6, 4)
	v_lshrrev_b32_e32 v1, 6, v0
	s_add_co_i32 s6, s6, s5
	s_cmp_eq_u32 s7, 0
	s_cselect_b32 s5, ttmp9, s6
	s_delay_alu instid0(VALU_DEP_1) | instid1(SALU_CYCLE_1)
	v_lshl_or_b32 v10, s5, 2, v1
	s_mov_b32 s5, 0
	s_delay_alu instid0(VALU_DEP_1) | instskip(SKIP_1) | instid1(VALU_DEP_1)
	v_ashrrev_i32_e32 v11, 31, v10
	s_wait_kmcnt 0x0
	v_cmp_gt_i64_e32 vcc_lo, s[2:3], v[10:11]
	s_and_b32 exec_lo, exec_lo, vcc_lo
	s_cbranch_execz .LBB77_12
; %bb.4:
	s_clause 0x1
	s_load_b128 s[8:11], s[0:1], 0x18
	s_load_b32 s2, s[0:1], 0x28
	v_dual_mov_b32 v1, 0 :: v_dual_bitop2_b32 v0, 63, v0 bitop3:0x40
	s_delay_alu instid0(VALU_DEP_1) | instskip(SKIP_4) | instid1(SALU_CYCLE_1)
	v_sub_nc_u64_e64 v[18:19], v[0:1], s[4:5]
	s_wait_kmcnt 0x0
	s_load_b64 s[2:3], s[10:11], s2 offset:0x0 scale_offset
	s_wait_kmcnt 0x0
	s_lshl_b64 s[2:3], s[2:3], 3
	s_add_nc_u64 s[2:3], s[8:9], s[2:3]
	s_delay_alu instid0(SALU_CYCLE_1)
	v_lshl_add_u64 v[10:11], v[10:11], 3, s[2:3]
	s_load_b64 s[2:3], s[0:1], 0x40
	global_load_b64 v[10:11], v[10:11], off
	s_wait_loadcnt 0x0
	s_wait_kmcnt 0x0
	v_lshl_add_u64 v[12:13], v[10:11], 3, s[2:3]
	s_mov_b32 s3, exec_lo
	global_load_b128 v[12:15], v[12:13], off
	s_wait_loadcnt 0x0
	v_sub_nc_u64_e64 v[16:17], v[14:15], s[4:5]
	v_add_nc_u64_e32 v[18:19], v[12:13], v[18:19]
	v_mov_b64_e32 v[12:13], 0
	v_mov_b64_e32 v[14:15], 0
	s_delay_alu instid0(VALU_DEP_3)
	v_cmpx_lt_i64_e64 v[18:19], v[16:17]
	s_cbranch_execz .LBB77_8
; %bb.5:
	s_clause 0x2
	s_load_b128 s[8:11], s[0:1], 0x48
	s_load_b32 s2, s[0:1], 0x0
	s_load_b64 s[6:7], s[0:1], 0x58
	v_mov_b64_e32 v[12:13], 0
	s_wait_kmcnt 0x0
	v_lshl_add_u64 v[14:15], v[18:19], 4, s[10:11]
	v_lshl_add_u64 v[22:23], v[18:19], 3, s[8:9]
	s_bitcmp1_b32 s2, 0
	s_mov_b32 s8, 0
	s_cselect_b32 vcc_lo, -1, 0
	v_add_nc_u64_e32 v[20:21], 8, v[14:15]
	v_mov_b64_e32 v[14:15], 0
.LBB77_6:                               ; =>This Inner Loop Header: Depth=1
	global_load_b64 v[28:29], v[22:23], off
	global_load_b128 v[24:27], v[20:21], off offset:-8
	v_add_nc_u64_e32 v[18:19], 64, v[18:19]
	s_wait_xcnt 0x0
	v_add_nc_u64_e32 v[20:21], 0x400, v[20:21]
	v_add_nc_u64_e32 v[22:23], 0x200, v[22:23]
	s_delay_alu instid0(VALU_DEP_3)
	v_cmp_ge_i64_e64 s2, v[18:19], v[16:17]
	s_or_b32 s8, s2, s8
	s_wait_loadcnt 0x1
	v_sub_nc_u64_e64 v[28:29], v[28:29], s[4:5]
	s_wait_loadcnt 0x0
	v_xor_b32_e32 v1, 0x80000000, v27
	s_delay_alu instid0(VALU_DEP_1) | instskip(NEXT) | instid1(VALU_DEP_3)
	v_cndmask_b32_e32 v27, v27, v1, vcc_lo
	v_lshl_add_u64 v[28:29], v[28:29], 4, s[6:7]
	s_delay_alu instid0(VALU_DEP_2) | instskip(SKIP_3) | instid1(VALU_DEP_2)
	v_mul_f64_e64 v[32:33], v[26:27], -v[8:9]
	global_load_b128 v[28:31], v[28:29], off
	v_mul_f64_e32 v[26:27], v[6:7], v[26:27]
	v_fmac_f64_e32 v[32:33], v[6:7], v[24:25]
	v_fmac_f64_e32 v[26:27], v[8:9], v[24:25]
	s_wait_loadcnt 0x0
	s_delay_alu instid0(VALU_DEP_2) | instskip(NEXT) | instid1(VALU_DEP_2)
	v_fmac_f64_e32 v[14:15], v[32:33], v[28:29]
	v_fmac_f64_e32 v[12:13], v[26:27], v[28:29]
	s_delay_alu instid0(VALU_DEP_2) | instskip(NEXT) | instid1(VALU_DEP_2)
	v_fma_f64 v[14:15], -v[26:27], v[30:31], v[14:15]
	v_fmac_f64_e32 v[12:13], v[32:33], v[30:31]
	s_and_not1_b32 exec_lo, exec_lo, s8
	s_cbranch_execnz .LBB77_6
; %bb.7:
	s_or_b32 exec_lo, exec_lo, s8
.LBB77_8:
	s_delay_alu instid0(SALU_CYCLE_1) | instskip(SKIP_2) | instid1(VALU_DEP_1)
	s_or_b32 exec_lo, exec_lo, s3
	v_mbcnt_lo_u32_b32 v1, -1, 0
	s_load_b64 s[2:3], s[0:1], 0x70
	v_or_b32_e32 v6, 32, v1
	s_delay_alu instid0(VALU_DEP_1) | instskip(SKIP_1) | instid1(VALU_DEP_1)
	v_cmp_gt_i32_e32 vcc_lo, 32, v6
	v_cndmask_b32_e32 v6, v1, v6, vcc_lo
	v_lshlrev_b32_e32 v9, 2, v6
	ds_bpermute_b32 v6, v9, v14
	ds_bpermute_b32 v7, v9, v15
	;; [unrolled: 1-line block ×4, first 2 shown]
	s_wait_dscnt 0x2
	v_add_f64_e32 v[6:7], v[14:15], v[6:7]
	s_wait_dscnt 0x0
	v_add_f64_e32 v[8:9], v[12:13], v[8:9]
	v_xor_b32_e32 v12, 16, v1
	s_delay_alu instid0(VALU_DEP_1) | instskip(SKIP_1) | instid1(VALU_DEP_1)
	v_cmp_gt_i32_e32 vcc_lo, 32, v12
	v_cndmask_b32_e32 v12, v1, v12, vcc_lo
	v_lshlrev_b32_e32 v15, 2, v12
	ds_bpermute_b32 v12, v15, v6
	ds_bpermute_b32 v13, v15, v7
	;; [unrolled: 1-line block ×4, first 2 shown]
	s_wait_dscnt 0x2
	v_add_f64_e32 v[6:7], v[6:7], v[12:13]
	v_xor_b32_e32 v12, 8, v1
	s_delay_alu instid0(VALU_DEP_1) | instskip(SKIP_2) | instid1(VALU_DEP_1)
	v_cmp_gt_i32_e32 vcc_lo, 32, v12
	v_cndmask_b32_e32 v12, v1, v12, vcc_lo
	s_wait_dscnt 0x0
	v_dual_add_f64 v[8:9], v[8:9], v[14:15] :: v_dual_lshlrev_b32 v15, 2, v12
	ds_bpermute_b32 v12, v15, v6
	ds_bpermute_b32 v13, v15, v7
	;; [unrolled: 1-line block ×4, first 2 shown]
	s_wait_dscnt 0x2
	v_add_f64_e32 v[6:7], v[6:7], v[12:13]
	v_xor_b32_e32 v12, 4, v1
	s_delay_alu instid0(VALU_DEP_1) | instskip(SKIP_2) | instid1(VALU_DEP_1)
	v_cmp_gt_i32_e32 vcc_lo, 32, v12
	v_cndmask_b32_e32 v12, v1, v12, vcc_lo
	s_wait_dscnt 0x0
	v_dual_add_f64 v[8:9], v[8:9], v[14:15] :: v_dual_lshlrev_b32 v15, 2, v12
	ds_bpermute_b32 v12, v15, v6
	ds_bpermute_b32 v13, v15, v7
	s_wait_dscnt 0x0
	v_add_f64_e32 v[6:7], v[6:7], v[12:13]
	v_xor_b32_e32 v12, 2, v1
	ds_bpermute_b32 v14, v15, v8
	ds_bpermute_b32 v15, v15, v9
	v_cmp_gt_i32_e32 vcc_lo, 32, v12
	v_cndmask_b32_e32 v12, v1, v12, vcc_lo
	s_wait_dscnt 0x0
	s_delay_alu instid0(VALU_DEP_1)
	v_dual_add_f64 v[8:9], v[8:9], v[14:15] :: v_dual_lshlrev_b32 v15, 2, v12
	ds_bpermute_b32 v12, v15, v6
	ds_bpermute_b32 v13, v15, v7
	s_wait_dscnt 0x0
	v_add_f64_e32 v[6:7], v[6:7], v[12:13]
	v_xor_b32_e32 v12, 1, v1
	ds_bpermute_b32 v14, v15, v8
	ds_bpermute_b32 v15, v15, v9
	v_cmp_gt_i32_e32 vcc_lo, 32, v12
	v_cndmask_b32_e32 v1, v1, v12, vcc_lo
	v_cmp_eq_u32_e32 vcc_lo, 63, v0
	s_wait_dscnt 0x0
	s_delay_alu instid0(VALU_DEP_2)
	v_dual_add_f64 v[8:9], v[8:9], v[14:15] :: v_dual_lshlrev_b32 v1, 2, v1
	ds_bpermute_b32 v12, v1, v6
	ds_bpermute_b32 v13, v1, v7
	;; [unrolled: 1-line block ×4, first 2 shown]
	s_and_b32 exec_lo, exec_lo, vcc_lo
	s_cbranch_execz .LBB77_12
; %bb.9:
	v_cmp_neq_f64_e32 vcc_lo, 0, v[2:3]
	s_wait_xcnt 0x0
	v_cmp_neq_f64_e64 s0, 0, v[4:5]
	s_wait_dscnt 0x2
	v_add_f64_e32 v[6:7], v[6:7], v[12:13]
	s_wait_dscnt 0x0
	v_add_f64_e32 v[8:9], v[8:9], v[14:15]
	s_wait_kmcnt 0x0
	v_lshl_add_u64 v[0:1], v[10:11], 4, s[2:3]
	s_or_b32 s1, vcc_lo, s0
	s_delay_alu instid0(SALU_CYCLE_1)
	s_and_saveexec_b32 s0, s1
	s_cbranch_execz .LBB77_11
; %bb.10:
	global_load_b128 v[10:13], v[0:1], off
	s_wait_loadcnt 0x0
	v_fmac_f64_e32 v[6:7], v[2:3], v[10:11]
	v_fmac_f64_e32 v[8:9], v[4:5], v[10:11]
	s_delay_alu instid0(VALU_DEP_2) | instskip(NEXT) | instid1(VALU_DEP_2)
	v_fma_f64 v[6:7], -v[4:5], v[12:13], v[6:7]
	v_fmac_f64_e32 v[8:9], v[2:3], v[12:13]
.LBB77_11:
	s_or_b32 exec_lo, exec_lo, s0
	global_store_b128 v[0:1], v[6:9], off
.LBB77_12:
	s_endpgm
	.section	.rodata,"a",@progbits
	.p2align	6, 0x0
	.amdhsa_kernel _ZN9rocsparseL41csrmvn_lrb_medium_rows_warp_reduce_kernelILj256ELj64Ell21rocsparse_complex_numIdES2_S2_S2_EEvbT1_lPT2_S5_jNS_24const_host_device_scalarIT6_EEPKS3_PKS4_PKT3_PKT4_S8_PT5_21rocsparse_index_base_b
		.amdhsa_group_segment_fixed_size 0
		.amdhsa_private_segment_fixed_size 0
		.amdhsa_kernarg_size 128
		.amdhsa_user_sgpr_count 2
		.amdhsa_user_sgpr_dispatch_ptr 0
		.amdhsa_user_sgpr_queue_ptr 0
		.amdhsa_user_sgpr_kernarg_segment_ptr 1
		.amdhsa_user_sgpr_dispatch_id 0
		.amdhsa_user_sgpr_kernarg_preload_length 0
		.amdhsa_user_sgpr_kernarg_preload_offset 0
		.amdhsa_user_sgpr_private_segment_size 0
		.amdhsa_wavefront_size32 1
		.amdhsa_uses_dynamic_stack 0
		.amdhsa_enable_private_segment 0
		.amdhsa_system_sgpr_workgroup_id_x 1
		.amdhsa_system_sgpr_workgroup_id_y 0
		.amdhsa_system_sgpr_workgroup_id_z 0
		.amdhsa_system_sgpr_workgroup_info 0
		.amdhsa_system_vgpr_workitem_id 0
		.amdhsa_next_free_vgpr 34
		.amdhsa_next_free_sgpr 12
		.amdhsa_named_barrier_count 0
		.amdhsa_reserve_vcc 1
		.amdhsa_float_round_mode_32 0
		.amdhsa_float_round_mode_16_64 0
		.amdhsa_float_denorm_mode_32 3
		.amdhsa_float_denorm_mode_16_64 3
		.amdhsa_fp16_overflow 0
		.amdhsa_memory_ordered 1
		.amdhsa_forward_progress 1
		.amdhsa_inst_pref_size 10
		.amdhsa_round_robin_scheduling 0
		.amdhsa_exception_fp_ieee_invalid_op 0
		.amdhsa_exception_fp_denorm_src 0
		.amdhsa_exception_fp_ieee_div_zero 0
		.amdhsa_exception_fp_ieee_overflow 0
		.amdhsa_exception_fp_ieee_underflow 0
		.amdhsa_exception_fp_ieee_inexact 0
		.amdhsa_exception_int_div_zero 0
	.end_amdhsa_kernel
	.section	.text._ZN9rocsparseL41csrmvn_lrb_medium_rows_warp_reduce_kernelILj256ELj64Ell21rocsparse_complex_numIdES2_S2_S2_EEvbT1_lPT2_S5_jNS_24const_host_device_scalarIT6_EEPKS3_PKS4_PKT3_PKT4_S8_PT5_21rocsparse_index_base_b,"axG",@progbits,_ZN9rocsparseL41csrmvn_lrb_medium_rows_warp_reduce_kernelILj256ELj64Ell21rocsparse_complex_numIdES2_S2_S2_EEvbT1_lPT2_S5_jNS_24const_host_device_scalarIT6_EEPKS3_PKS4_PKT3_PKT4_S8_PT5_21rocsparse_index_base_b,comdat
.Lfunc_end77:
	.size	_ZN9rocsparseL41csrmvn_lrb_medium_rows_warp_reduce_kernelILj256ELj64Ell21rocsparse_complex_numIdES2_S2_S2_EEvbT1_lPT2_S5_jNS_24const_host_device_scalarIT6_EEPKS3_PKS4_PKT3_PKT4_S8_PT5_21rocsparse_index_base_b, .Lfunc_end77-_ZN9rocsparseL41csrmvn_lrb_medium_rows_warp_reduce_kernelILj256ELj64Ell21rocsparse_complex_numIdES2_S2_S2_EEvbT1_lPT2_S5_jNS_24const_host_device_scalarIT6_EEPKS3_PKS4_PKT3_PKT4_S8_PT5_21rocsparse_index_base_b
                                        ; -- End function
	.set _ZN9rocsparseL41csrmvn_lrb_medium_rows_warp_reduce_kernelILj256ELj64Ell21rocsparse_complex_numIdES2_S2_S2_EEvbT1_lPT2_S5_jNS_24const_host_device_scalarIT6_EEPKS3_PKS4_PKT3_PKT4_S8_PT5_21rocsparse_index_base_b.num_vgpr, 34
	.set _ZN9rocsparseL41csrmvn_lrb_medium_rows_warp_reduce_kernelILj256ELj64Ell21rocsparse_complex_numIdES2_S2_S2_EEvbT1_lPT2_S5_jNS_24const_host_device_scalarIT6_EEPKS3_PKS4_PKT3_PKT4_S8_PT5_21rocsparse_index_base_b.num_agpr, 0
	.set _ZN9rocsparseL41csrmvn_lrb_medium_rows_warp_reduce_kernelILj256ELj64Ell21rocsparse_complex_numIdES2_S2_S2_EEvbT1_lPT2_S5_jNS_24const_host_device_scalarIT6_EEPKS3_PKS4_PKT3_PKT4_S8_PT5_21rocsparse_index_base_b.numbered_sgpr, 12
	.set _ZN9rocsparseL41csrmvn_lrb_medium_rows_warp_reduce_kernelILj256ELj64Ell21rocsparse_complex_numIdES2_S2_S2_EEvbT1_lPT2_S5_jNS_24const_host_device_scalarIT6_EEPKS3_PKS4_PKT3_PKT4_S8_PT5_21rocsparse_index_base_b.num_named_barrier, 0
	.set _ZN9rocsparseL41csrmvn_lrb_medium_rows_warp_reduce_kernelILj256ELj64Ell21rocsparse_complex_numIdES2_S2_S2_EEvbT1_lPT2_S5_jNS_24const_host_device_scalarIT6_EEPKS3_PKS4_PKT3_PKT4_S8_PT5_21rocsparse_index_base_b.private_seg_size, 0
	.set _ZN9rocsparseL41csrmvn_lrb_medium_rows_warp_reduce_kernelILj256ELj64Ell21rocsparse_complex_numIdES2_S2_S2_EEvbT1_lPT2_S5_jNS_24const_host_device_scalarIT6_EEPKS3_PKS4_PKT3_PKT4_S8_PT5_21rocsparse_index_base_b.uses_vcc, 1
	.set _ZN9rocsparseL41csrmvn_lrb_medium_rows_warp_reduce_kernelILj256ELj64Ell21rocsparse_complex_numIdES2_S2_S2_EEvbT1_lPT2_S5_jNS_24const_host_device_scalarIT6_EEPKS3_PKS4_PKT3_PKT4_S8_PT5_21rocsparse_index_base_b.uses_flat_scratch, 0
	.set _ZN9rocsparseL41csrmvn_lrb_medium_rows_warp_reduce_kernelILj256ELj64Ell21rocsparse_complex_numIdES2_S2_S2_EEvbT1_lPT2_S5_jNS_24const_host_device_scalarIT6_EEPKS3_PKS4_PKT3_PKT4_S8_PT5_21rocsparse_index_base_b.has_dyn_sized_stack, 0
	.set _ZN9rocsparseL41csrmvn_lrb_medium_rows_warp_reduce_kernelILj256ELj64Ell21rocsparse_complex_numIdES2_S2_S2_EEvbT1_lPT2_S5_jNS_24const_host_device_scalarIT6_EEPKS3_PKS4_PKT3_PKT4_S8_PT5_21rocsparse_index_base_b.has_recursion, 0
	.set _ZN9rocsparseL41csrmvn_lrb_medium_rows_warp_reduce_kernelILj256ELj64Ell21rocsparse_complex_numIdES2_S2_S2_EEvbT1_lPT2_S5_jNS_24const_host_device_scalarIT6_EEPKS3_PKS4_PKT3_PKT4_S8_PT5_21rocsparse_index_base_b.has_indirect_call, 0
	.section	.AMDGPU.csdata,"",@progbits
; Kernel info:
; codeLenInByte = 1256
; TotalNumSgprs: 14
; NumVgprs: 34
; ScratchSize: 0
; MemoryBound: 0
; FloatMode: 240
; IeeeMode: 1
; LDSByteSize: 0 bytes/workgroup (compile time only)
; SGPRBlocks: 0
; VGPRBlocks: 2
; NumSGPRsForWavesPerEU: 14
; NumVGPRsForWavesPerEU: 34
; NamedBarCnt: 0
; Occupancy: 16
; WaveLimiterHint : 1
; COMPUTE_PGM_RSRC2:SCRATCH_EN: 0
; COMPUTE_PGM_RSRC2:USER_SGPR: 2
; COMPUTE_PGM_RSRC2:TRAP_HANDLER: 0
; COMPUTE_PGM_RSRC2:TGID_X_EN: 1
; COMPUTE_PGM_RSRC2:TGID_Y_EN: 0
; COMPUTE_PGM_RSRC2:TGID_Z_EN: 0
; COMPUTE_PGM_RSRC2:TIDIG_COMP_CNT: 0
	.section	.text._ZN9rocsparseL29csrmvn_lrb_medium_rows_kernelILj256Ell21rocsparse_complex_numIdES2_S2_S2_EEvbT0_PT1_S5_jNS_24const_host_device_scalarIT5_EEPKS3_PKS4_PKT2_PKT3_S8_PT4_21rocsparse_index_base_b,"axG",@progbits,_ZN9rocsparseL29csrmvn_lrb_medium_rows_kernelILj256Ell21rocsparse_complex_numIdES2_S2_S2_EEvbT0_PT1_S5_jNS_24const_host_device_scalarIT5_EEPKS3_PKS4_PKT2_PKT3_S8_PT4_21rocsparse_index_base_b,comdat
	.globl	_ZN9rocsparseL29csrmvn_lrb_medium_rows_kernelILj256Ell21rocsparse_complex_numIdES2_S2_S2_EEvbT0_PT1_S5_jNS_24const_host_device_scalarIT5_EEPKS3_PKS4_PKT2_PKT3_S8_PT4_21rocsparse_index_base_b ; -- Begin function _ZN9rocsparseL29csrmvn_lrb_medium_rows_kernelILj256Ell21rocsparse_complex_numIdES2_S2_S2_EEvbT0_PT1_S5_jNS_24const_host_device_scalarIT5_EEPKS3_PKS4_PKT2_PKT3_S8_PT4_21rocsparse_index_base_b
	.p2align	8
	.type	_ZN9rocsparseL29csrmvn_lrb_medium_rows_kernelILj256Ell21rocsparse_complex_numIdES2_S2_S2_EEvbT0_PT1_S5_jNS_24const_host_device_scalarIT5_EEPKS3_PKS4_PKT2_PKT3_S8_PT4_21rocsparse_index_base_b,@function
_ZN9rocsparseL29csrmvn_lrb_medium_rows_kernelILj256Ell21rocsparse_complex_numIdES2_S2_S2_EEvbT0_PT1_S5_jNS_24const_host_device_scalarIT5_EEPKS3_PKS4_PKT2_PKT3_S8_PT4_21rocsparse_index_base_b: ; @_ZN9rocsparseL29csrmvn_lrb_medium_rows_kernelILj256Ell21rocsparse_complex_numIdES2_S2_S2_EEvbT0_PT1_S5_jNS_24const_host_device_scalarIT5_EEPKS3_PKS4_PKT2_PKT3_S8_PT4_21rocsparse_index_base_b
; %bb.0:
	s_clause 0x1
	s_load_b64 s[6:7], s[0:1], 0x70
	s_load_b64 s[2:3], s[0:1], 0x28
	v_mov_b32_e32 v1, 0
	s_add_nc_u64 s[4:5], s[0:1], 40
	s_load_b64 s[8:9], s[0:1], 0x58
	s_wait_kmcnt 0x0
	s_bitcmp1_b32 s7, 0
	s_cselect_b32 s3, s5, s3
	s_cselect_b32 s2, s4, s2
	flat_load_b128 v[6:9], v1, s[2:3]
	s_wait_xcnt 0x0
	s_add_nc_u64 s[2:3], s[0:1], 0x58
	s_delay_alu instid0(SALU_CYCLE_1)
	s_cselect_b32 s3, s3, s9
	s_cselect_b32 s2, s2, s8
	flat_load_b128 v[2:5], v1, s[2:3]
	s_wait_loadcnt_dscnt 0x101
	v_cmp_eq_f64_e32 vcc_lo, 0, v[6:7]
	s_wait_xcnt 0x0
	v_cmp_eq_f64_e64 s2, 0, v[8:9]
	s_and_b32 s4, vcc_lo, s2
	s_mov_b32 s2, -1
	s_and_saveexec_b32 s3, s4
	s_cbranch_execz .LBB78_2
; %bb.1:
	s_wait_loadcnt_dscnt 0x0
	v_cmp_neq_f64_e32 vcc_lo, 1.0, v[2:3]
	v_cmp_neq_f64_e64 s2, 0, v[4:5]
	s_or_b32 s2, vcc_lo, s2
	s_delay_alu instid0(SALU_CYCLE_1)
	s_or_not1_b32 s2, s2, exec_lo
.LBB78_2:
	s_or_b32 exec_lo, exec_lo, s3
	s_and_saveexec_b32 s3, s2
	s_cbranch_execz .LBB78_27
; %bb.3:
	s_clause 0x1
	s_load_b128 s[8:11], s[0:1], 0x10
	s_load_b32 s2, s[0:1], 0x20
	s_bfe_u32 s4, ttmp6, 0x4000c
	s_and_b32 s5, ttmp6, 15
	s_add_co_i32 s4, s4, 1
	s_getreg_b32 s7, hwreg(HW_REG_IB_STS2, 6, 4)
	s_mul_i32 s4, ttmp9, s4
	v_mov_b32_e32 v1, 0
	s_add_co_i32 s5, s5, s4
	s_cmp_eq_u32 s7, 0
	s_mov_b32 s7, 0
	s_cselect_b32 s4, ttmp9, s5
	v_sub_nc_u64_e64 v[10:11], v[0:1], s[6:7]
	s_ashr_i32 s5, s4, 31
	v_mov_b64_e32 v[12:13], 0
	s_lshl_b64 s[4:5], s[4:5], 3
	s_wait_kmcnt 0x0
	s_load_b64 s[2:3], s[10:11], s2 offset:0x0 scale_offset
	s_wait_kmcnt 0x0
	s_lshl_b64 s[2:3], s[2:3], 3
	s_delay_alu instid0(SALU_CYCLE_1) | instskip(NEXT) | instid1(SALU_CYCLE_1)
	s_add_nc_u64 s[2:3], s[8:9], s[2:3]
	s_add_nc_u64 s[2:3], s[2:3], s[4:5]
	s_load_b64 s[4:5], s[2:3], 0x0
	s_load_b64 s[8:9], s[0:1], 0x38
	s_wait_kmcnt 0x0
	s_lshl_b64 s[2:3], s[4:5], 3
	s_delay_alu instid0(SALU_CYCLE_1)
	s_add_nc_u64 s[2:3], s[8:9], s[2:3]
	s_load_b128 s[8:11], s[2:3], 0x0
	s_wait_xcnt 0x0
	s_mov_b32 s3, exec_lo
	s_wait_kmcnt 0x0
	v_add_nc_u64_e32 v[14:15], s[8:9], v[10:11]
	v_mov_b64_e32 v[10:11], 0
	s_sub_nc_u64 s[8:9], s[10:11], s[6:7]
	s_delay_alu instid0(VALU_DEP_2) | instid1(SALU_CYCLE_1)
	v_cmpx_gt_i64_e64 s[8:9], v[14:15]
	s_cbranch_execz .LBB78_7
; %bb.4:
	s_clause 0x2
	s_load_b128 s[12:15], s[0:1], 0x40
	s_load_b32 s2, s[0:1], 0x0
	s_load_b64 s[10:11], s[0:1], 0x50
	v_mov_b64_e32 v[12:13], 0
	s_wait_kmcnt 0x0
	v_lshl_add_u64 v[10:11], v[14:15], 4, s[14:15]
	v_lshl_add_u64 v[18:19], v[14:15], 3, s[12:13]
	s_bitcmp1_b32 s2, 0
	s_mov_b32 s12, s7
	s_cselect_b32 vcc_lo, -1, 0
	v_add_nc_u64_e32 v[16:17], 8, v[10:11]
	v_mov_b64_e32 v[10:11], v[12:13]
.LBB78_5:                               ; =>This Inner Loop Header: Depth=1
	global_load_b64 v[24:25], v[18:19], off
	global_load_b128 v[20:23], v[16:17], off offset:-8
	v_add_nc_u64_e32 v[14:15], 0x100, v[14:15]
	s_wait_xcnt 0x0
	v_add_nc_u64_e32 v[16:17], 0x1000, v[16:17]
	v_add_nc_u64_e32 v[18:19], 0x800, v[18:19]
	s_delay_alu instid0(VALU_DEP_3)
	v_cmp_le_i64_e64 s2, s[8:9], v[14:15]
	s_or_b32 s12, s2, s12
	s_wait_loadcnt 0x1
	v_sub_nc_u64_e64 v[24:25], v[24:25], s[6:7]
	s_wait_loadcnt 0x0
	v_xor_b32_e32 v1, 0x80000000, v23
	s_delay_alu instid0(VALU_DEP_1) | instskip(NEXT) | instid1(VALU_DEP_3)
	v_cndmask_b32_e32 v23, v23, v1, vcc_lo
	v_lshl_add_u64 v[24:25], v[24:25], 4, s[10:11]
	s_delay_alu instid0(VALU_DEP_2) | instskip(SKIP_3) | instid1(VALU_DEP_2)
	v_mul_f64_e64 v[28:29], v[22:23], -v[8:9]
	global_load_b128 v[24:27], v[24:25], off
	v_mul_f64_e32 v[22:23], v[6:7], v[22:23]
	v_fmac_f64_e32 v[28:29], v[6:7], v[20:21]
	v_fmac_f64_e32 v[22:23], v[8:9], v[20:21]
	s_wait_loadcnt 0x0
	s_delay_alu instid0(VALU_DEP_2) | instskip(NEXT) | instid1(VALU_DEP_2)
	v_fmac_f64_e32 v[10:11], v[28:29], v[24:25]
	v_fmac_f64_e32 v[12:13], v[22:23], v[24:25]
	s_delay_alu instid0(VALU_DEP_2) | instskip(NEXT) | instid1(VALU_DEP_2)
	v_fma_f64 v[10:11], -v[22:23], v[26:27], v[10:11]
	v_fmac_f64_e32 v[12:13], v[28:29], v[26:27]
	s_and_not1_b32 exec_lo, exec_lo, s12
	s_cbranch_execnz .LBB78_5
; %bb.6:
	s_or_b32 exec_lo, exec_lo, s12
.LBB78_7:
	s_delay_alu instid0(SALU_CYCLE_1)
	s_or_b32 exec_lo, exec_lo, s3
	s_load_b64 s[2:3], s[0:1], 0x68
	v_lshlrev_b32_e32 v1, 4, v0
	s_wait_xcnt 0x0
	s_mov_b32 s0, exec_lo
	ds_store_b128 v1, v[10:13]
	s_wait_loadcnt_dscnt 0x0
	s_barrier_signal -1
	s_barrier_wait -1
	v_cmpx_gt_u32_e32 0x80, v0
	s_cbranch_execz .LBB78_9
; %bb.8:
	ds_load_b128 v[6:9], v1 offset:2048
	ds_load_b128 v[10:13], v1
	s_wait_dscnt 0x0
	v_add_f64_e32 v[6:7], v[6:7], v[10:11]
	v_add_f64_e32 v[8:9], v[8:9], v[12:13]
	ds_store_b128 v1, v[6:9]
.LBB78_9:
	s_or_b32 exec_lo, exec_lo, s0
	s_delay_alu instid0(SALU_CYCLE_1)
	s_mov_b32 s0, exec_lo
	s_wait_dscnt 0x0
	s_barrier_signal -1
	s_barrier_wait -1
	v_cmpx_gt_u32_e32 64, v0
	s_cbranch_execz .LBB78_11
; %bb.10:
	ds_load_b128 v[6:9], v1 offset:1024
	ds_load_b128 v[10:13], v1
	s_wait_dscnt 0x0
	v_add_f64_e32 v[6:7], v[6:7], v[10:11]
	v_add_f64_e32 v[8:9], v[8:9], v[12:13]
	ds_store_b128 v1, v[6:9]
.LBB78_11:
	s_or_b32 exec_lo, exec_lo, s0
	s_delay_alu instid0(SALU_CYCLE_1)
	s_mov_b32 s0, exec_lo
	s_wait_dscnt 0x0
	;; [unrolled: 16-line block ×6, first 2 shown]
	s_barrier_signal -1
	s_barrier_wait -1
	v_cmpx_gt_u32_e32 2, v0
	s_cbranch_execz .LBB78_21
; %bb.20:
	ds_load_b128 v[6:9], v1
	ds_load_b128 v[10:13], v1 offset:32
	s_wait_dscnt 0x0
	v_add_f64_e32 v[6:7], v[10:11], v[6:7]
	v_add_f64_e32 v[8:9], v[12:13], v[8:9]
	ds_store_b128 v1, v[6:9]
.LBB78_21:
	s_or_b32 exec_lo, exec_lo, s0
	v_cmp_eq_u32_e32 vcc_lo, 0, v0
	s_wait_dscnt 0x0
	s_barrier_signal -1
	s_barrier_wait -1
	s_and_saveexec_b32 s0, vcc_lo
	s_cbranch_execz .LBB78_23
; %bb.22:
	v_mov_b32_e32 v0, 0
	ds_load_b128 v[6:9], v0
	ds_load_b128 v[10:13], v0 offset:16
	s_wait_dscnt 0x0
	v_add_f64_e32 v[6:7], v[10:11], v[6:7]
	v_add_f64_e32 v[8:9], v[12:13], v[8:9]
	ds_store_b128 v0, v[6:9]
.LBB78_23:
	s_or_b32 exec_lo, exec_lo, s0
	s_wait_dscnt 0x0
	s_barrier_signal -1
	s_barrier_wait -1
	s_and_b32 exec_lo, exec_lo, vcc_lo
	s_cbranch_execz .LBB78_27
; %bb.24:
	v_cmp_neq_f64_e32 vcc_lo, 0, v[2:3]
	v_cmp_neq_f64_e64 s0, 0, v[4:5]
	v_mov_b32_e32 v0, 0
	ds_load_b128 v[6:9], v0
	s_or_b32 s1, vcc_lo, s0
	s_delay_alu instid0(SALU_CYCLE_1)
	s_and_saveexec_b32 s0, s1
	s_cbranch_execz .LBB78_26
; %bb.25:
	s_lshl_b64 s[6:7], s[4:5], 4
	s_wait_kmcnt 0x0
	s_add_nc_u64 s[6:7], s[2:3], s[6:7]
	s_load_b128 s[8:11], s[6:7], 0x0
	s_wait_dscnt 0x0
	s_wait_kmcnt 0x0
	v_fmac_f64_e32 v[6:7], s[8:9], v[2:3]
	v_fmac_f64_e32 v[8:9], s[8:9], v[4:5]
	s_delay_alu instid0(VALU_DEP_2) | instskip(NEXT) | instid1(VALU_DEP_2)
	v_fma_f64 v[6:7], -v[4:5], s[10:11], v[6:7]
	v_fmac_f64_e32 v[8:9], s[10:11], v[2:3]
.LBB78_26:
	s_or_b32 exec_lo, exec_lo, s0
	s_lshl_b64 s[0:1], s[4:5], 4
	s_wait_kmcnt 0x0
	s_add_nc_u64 s[0:1], s[2:3], s[0:1]
	s_wait_dscnt 0x0
	global_store_b128 v0, v[6:9], s[0:1]
.LBB78_27:
	s_endpgm
	.section	.rodata,"a",@progbits
	.p2align	6, 0x0
	.amdhsa_kernel _ZN9rocsparseL29csrmvn_lrb_medium_rows_kernelILj256Ell21rocsparse_complex_numIdES2_S2_S2_EEvbT0_PT1_S5_jNS_24const_host_device_scalarIT5_EEPKS3_PKS4_PKT2_PKT3_S8_PT4_21rocsparse_index_base_b
		.amdhsa_group_segment_fixed_size 4096
		.amdhsa_private_segment_fixed_size 0
		.amdhsa_kernarg_size 120
		.amdhsa_user_sgpr_count 2
		.amdhsa_user_sgpr_dispatch_ptr 0
		.amdhsa_user_sgpr_queue_ptr 0
		.amdhsa_user_sgpr_kernarg_segment_ptr 1
		.amdhsa_user_sgpr_dispatch_id 0
		.amdhsa_user_sgpr_kernarg_preload_length 0
		.amdhsa_user_sgpr_kernarg_preload_offset 0
		.amdhsa_user_sgpr_private_segment_size 0
		.amdhsa_wavefront_size32 1
		.amdhsa_uses_dynamic_stack 0
		.amdhsa_enable_private_segment 0
		.amdhsa_system_sgpr_workgroup_id_x 1
		.amdhsa_system_sgpr_workgroup_id_y 0
		.amdhsa_system_sgpr_workgroup_id_z 0
		.amdhsa_system_sgpr_workgroup_info 0
		.amdhsa_system_vgpr_workitem_id 0
		.amdhsa_next_free_vgpr 30
		.amdhsa_next_free_sgpr 16
		.amdhsa_named_barrier_count 0
		.amdhsa_reserve_vcc 1
		.amdhsa_float_round_mode_32 0
		.amdhsa_float_round_mode_16_64 0
		.amdhsa_float_denorm_mode_32 3
		.amdhsa_float_denorm_mode_16_64 3
		.amdhsa_fp16_overflow 0
		.amdhsa_memory_ordered 1
		.amdhsa_forward_progress 1
		.amdhsa_inst_pref_size 11
		.amdhsa_round_robin_scheduling 0
		.amdhsa_exception_fp_ieee_invalid_op 0
		.amdhsa_exception_fp_denorm_src 0
		.amdhsa_exception_fp_ieee_div_zero 0
		.amdhsa_exception_fp_ieee_overflow 0
		.amdhsa_exception_fp_ieee_underflow 0
		.amdhsa_exception_fp_ieee_inexact 0
		.amdhsa_exception_int_div_zero 0
	.end_amdhsa_kernel
	.section	.text._ZN9rocsparseL29csrmvn_lrb_medium_rows_kernelILj256Ell21rocsparse_complex_numIdES2_S2_S2_EEvbT0_PT1_S5_jNS_24const_host_device_scalarIT5_EEPKS3_PKS4_PKT2_PKT3_S8_PT4_21rocsparse_index_base_b,"axG",@progbits,_ZN9rocsparseL29csrmvn_lrb_medium_rows_kernelILj256Ell21rocsparse_complex_numIdES2_S2_S2_EEvbT0_PT1_S5_jNS_24const_host_device_scalarIT5_EEPKS3_PKS4_PKT2_PKT3_S8_PT4_21rocsparse_index_base_b,comdat
.Lfunc_end78:
	.size	_ZN9rocsparseL29csrmvn_lrb_medium_rows_kernelILj256Ell21rocsparse_complex_numIdES2_S2_S2_EEvbT0_PT1_S5_jNS_24const_host_device_scalarIT5_EEPKS3_PKS4_PKT2_PKT3_S8_PT4_21rocsparse_index_base_b, .Lfunc_end78-_ZN9rocsparseL29csrmvn_lrb_medium_rows_kernelILj256Ell21rocsparse_complex_numIdES2_S2_S2_EEvbT0_PT1_S5_jNS_24const_host_device_scalarIT5_EEPKS3_PKS4_PKT2_PKT3_S8_PT4_21rocsparse_index_base_b
                                        ; -- End function
	.set _ZN9rocsparseL29csrmvn_lrb_medium_rows_kernelILj256Ell21rocsparse_complex_numIdES2_S2_S2_EEvbT0_PT1_S5_jNS_24const_host_device_scalarIT5_EEPKS3_PKS4_PKT2_PKT3_S8_PT4_21rocsparse_index_base_b.num_vgpr, 30
	.set _ZN9rocsparseL29csrmvn_lrb_medium_rows_kernelILj256Ell21rocsparse_complex_numIdES2_S2_S2_EEvbT0_PT1_S5_jNS_24const_host_device_scalarIT5_EEPKS3_PKS4_PKT2_PKT3_S8_PT4_21rocsparse_index_base_b.num_agpr, 0
	.set _ZN9rocsparseL29csrmvn_lrb_medium_rows_kernelILj256Ell21rocsparse_complex_numIdES2_S2_S2_EEvbT0_PT1_S5_jNS_24const_host_device_scalarIT5_EEPKS3_PKS4_PKT2_PKT3_S8_PT4_21rocsparse_index_base_b.numbered_sgpr, 16
	.set _ZN9rocsparseL29csrmvn_lrb_medium_rows_kernelILj256Ell21rocsparse_complex_numIdES2_S2_S2_EEvbT0_PT1_S5_jNS_24const_host_device_scalarIT5_EEPKS3_PKS4_PKT2_PKT3_S8_PT4_21rocsparse_index_base_b.num_named_barrier, 0
	.set _ZN9rocsparseL29csrmvn_lrb_medium_rows_kernelILj256Ell21rocsparse_complex_numIdES2_S2_S2_EEvbT0_PT1_S5_jNS_24const_host_device_scalarIT5_EEPKS3_PKS4_PKT2_PKT3_S8_PT4_21rocsparse_index_base_b.private_seg_size, 0
	.set _ZN9rocsparseL29csrmvn_lrb_medium_rows_kernelILj256Ell21rocsparse_complex_numIdES2_S2_S2_EEvbT0_PT1_S5_jNS_24const_host_device_scalarIT5_EEPKS3_PKS4_PKT2_PKT3_S8_PT4_21rocsparse_index_base_b.uses_vcc, 1
	.set _ZN9rocsparseL29csrmvn_lrb_medium_rows_kernelILj256Ell21rocsparse_complex_numIdES2_S2_S2_EEvbT0_PT1_S5_jNS_24const_host_device_scalarIT5_EEPKS3_PKS4_PKT2_PKT3_S8_PT4_21rocsparse_index_base_b.uses_flat_scratch, 0
	.set _ZN9rocsparseL29csrmvn_lrb_medium_rows_kernelILj256Ell21rocsparse_complex_numIdES2_S2_S2_EEvbT0_PT1_S5_jNS_24const_host_device_scalarIT5_EEPKS3_PKS4_PKT2_PKT3_S8_PT4_21rocsparse_index_base_b.has_dyn_sized_stack, 0
	.set _ZN9rocsparseL29csrmvn_lrb_medium_rows_kernelILj256Ell21rocsparse_complex_numIdES2_S2_S2_EEvbT0_PT1_S5_jNS_24const_host_device_scalarIT5_EEPKS3_PKS4_PKT2_PKT3_S8_PT4_21rocsparse_index_base_b.has_recursion, 0
	.set _ZN9rocsparseL29csrmvn_lrb_medium_rows_kernelILj256Ell21rocsparse_complex_numIdES2_S2_S2_EEvbT0_PT1_S5_jNS_24const_host_device_scalarIT5_EEPKS3_PKS4_PKT2_PKT3_S8_PT4_21rocsparse_index_base_b.has_indirect_call, 0
	.section	.AMDGPU.csdata,"",@progbits
; Kernel info:
; codeLenInByte = 1356
; TotalNumSgprs: 18
; NumVgprs: 30
; ScratchSize: 0
; MemoryBound: 0
; FloatMode: 240
; IeeeMode: 1
; LDSByteSize: 4096 bytes/workgroup (compile time only)
; SGPRBlocks: 0
; VGPRBlocks: 1
; NumSGPRsForWavesPerEU: 18
; NumVGPRsForWavesPerEU: 30
; NamedBarCnt: 0
; Occupancy: 16
; WaveLimiterHint : 1
; COMPUTE_PGM_RSRC2:SCRATCH_EN: 0
; COMPUTE_PGM_RSRC2:USER_SGPR: 2
; COMPUTE_PGM_RSRC2:TRAP_HANDLER: 0
; COMPUTE_PGM_RSRC2:TGID_X_EN: 1
; COMPUTE_PGM_RSRC2:TGID_Y_EN: 0
; COMPUTE_PGM_RSRC2:TGID_Z_EN: 0
; COMPUTE_PGM_RSRC2:TIDIG_COMP_CNT: 0
	.section	.text._ZN9rocsparseL27csrmvn_lrb_long_rows_kernelIll21rocsparse_complex_numIdES2_S2_S2_EEvbT_PjPT0_S6_jNS_24const_host_device_scalarIT4_EEPKS3_PKS5_PKT1_PKT2_S9_PT3_21rocsparse_index_base_b,"axG",@progbits,_ZN9rocsparseL27csrmvn_lrb_long_rows_kernelIll21rocsparse_complex_numIdES2_S2_S2_EEvbT_PjPT0_S6_jNS_24const_host_device_scalarIT4_EEPKS3_PKS5_PKT1_PKT2_S9_PT3_21rocsparse_index_base_b,comdat
	.globl	_ZN9rocsparseL27csrmvn_lrb_long_rows_kernelIll21rocsparse_complex_numIdES2_S2_S2_EEvbT_PjPT0_S6_jNS_24const_host_device_scalarIT4_EEPKS3_PKS5_PKT1_PKT2_S9_PT3_21rocsparse_index_base_b ; -- Begin function _ZN9rocsparseL27csrmvn_lrb_long_rows_kernelIll21rocsparse_complex_numIdES2_S2_S2_EEvbT_PjPT0_S6_jNS_24const_host_device_scalarIT4_EEPKS3_PKS5_PKT1_PKT2_S9_PT3_21rocsparse_index_base_b
	.p2align	8
	.type	_ZN9rocsparseL27csrmvn_lrb_long_rows_kernelIll21rocsparse_complex_numIdES2_S2_S2_EEvbT_PjPT0_S6_jNS_24const_host_device_scalarIT4_EEPKS3_PKS5_PKT1_PKT2_S9_PT3_21rocsparse_index_base_b,@function
_ZN9rocsparseL27csrmvn_lrb_long_rows_kernelIll21rocsparse_complex_numIdES2_S2_S2_EEvbT_PjPT0_S6_jNS_24const_host_device_scalarIT4_EEPKS3_PKS5_PKT1_PKT2_S9_PT3_21rocsparse_index_base_b: ; @_ZN9rocsparseL27csrmvn_lrb_long_rows_kernelIll21rocsparse_complex_numIdES2_S2_S2_EEvbT_PjPT0_S6_jNS_24const_host_device_scalarIT4_EEPKS3_PKS5_PKT1_PKT2_S9_PT3_21rocsparse_index_base_b
; %bb.0:
	s_clause 0x1
	s_load_b64 s[22:23], s[0:1], 0x78
	s_load_b64 s[2:3], s[0:1], 0x30
	v_mov_b32_e32 v1, 0
	s_add_nc_u64 s[4:5], s[0:1], 48
	s_load_b64 s[6:7], s[0:1], 0x60
	s_wait_kmcnt 0x0
	s_bitcmp1_b32 s23, 0
	s_cselect_b32 s3, s5, s3
	s_cselect_b32 s2, s4, s2
	flat_load_b128 v[2:5], v1, s[2:3]
	s_wait_xcnt 0x0
	s_add_nc_u64 s[2:3], s[0:1], 0x60
	s_delay_alu instid0(SALU_CYCLE_1)
	s_cselect_b32 s3, s3, s7
	s_cselect_b32 s2, s2, s6
	flat_load_b128 v[10:13], v1, s[2:3]
	s_wait_loadcnt_dscnt 0x101
	v_cmp_eq_f64_e32 vcc_lo, 0, v[2:3]
	s_wait_xcnt 0x0
	v_cmp_eq_f64_e64 s2, 0, v[4:5]
	s_and_b32 s4, vcc_lo, s2
	s_mov_b32 s2, -1
	s_and_saveexec_b32 s3, s4
	s_cbranch_execz .LBB79_2
; %bb.1:
	s_wait_loadcnt_dscnt 0x0
	v_cmp_neq_f64_e32 vcc_lo, 1.0, v[10:11]
	v_cmp_neq_f64_e64 s2, 0, v[12:13]
	s_or_b32 s2, vcc_lo, s2
	s_delay_alu instid0(SALU_CYCLE_1)
	s_or_not1_b32 s2, s2, exec_lo
.LBB79_2:
	s_or_b32 exec_lo, exec_lo, s3
	s_and_saveexec_b32 s3, s2
	s_cbranch_execz .LBB79_38
; %bb.3:
	s_clause 0x1
	s_load_b96 s[8:10], s[0:1], 0x20
	s_load_b128 s[4:7], s[0:1], 0x10
	s_bfe_u32 s12, ttmp6, 0x4000c
	s_and_b32 s11, ttmp6, 15
	s_add_co_i32 s12, s12, 1
	s_getreg_b32 s13, hwreg(HW_REG_IB_STS2, 6, 4)
	v_mov_b64_e32 v[6:7], 0
	v_mov_b64_e32 v[8:9], 0
	s_mov_b32 s23, 0
	s_mov_b32 s25, exec_lo
	s_wait_kmcnt 0x0
	s_lshl_b32 s2, -1, s10
	s_delay_alu instid0(SALU_CYCLE_1) | instskip(NEXT) | instid1(SALU_CYCLE_1)
	s_not_b32 s2, s2
	s_mul_hi_u32 s2, s2, 0x2aaaaaab
	s_delay_alu instid0(SALU_CYCLE_1) | instskip(NEXT) | instid1(SALU_CYCLE_1)
	s_lshr_b32 s2, s2, 7
	s_add_co_i32 s20, s2, 1
	s_not_b32 s2, s2
	s_cvt_f32_u32 s3, s20
	s_delay_alu instid0(SALU_CYCLE_3) | instskip(SKIP_1) | instid1(TRANS32_DEP_1)
	v_rcp_iflag_f32_e32 v1, s3
	v_nop
	v_readfirstlane_b32 s3, v1
	s_mul_f32 s3, s3, 0x4f7ffffe
	s_delay_alu instid0(SALU_CYCLE_3) | instskip(SKIP_1) | instid1(SALU_CYCLE_1)
	s_cvt_u32_f32 s14, s3
	s_mul_i32 s3, ttmp9, s12
	s_add_co_i32 s11, s11, s3
	s_delay_alu instid0(SALU_CYCLE_1) | instskip(NEXT) | instid1(SALU_CYCLE_1)
	s_mul_i32 s2, s2, s14
	s_mul_hi_u32 s12, s14, s2
	s_load_b64 s[2:3], s[8:9], s10 offset:0x0 scale_offset
	s_add_co_i32 s14, s14, s12
	s_cmp_eq_u32 s13, 0
	s_cselect_b32 s12, ttmp9, s11
	s_wait_xcnt 0x0
	s_mul_hi_u32 s8, s12, s14
	s_delay_alu instid0(SALU_CYCLE_1) | instskip(SKIP_2) | instid1(SALU_CYCLE_1)
	s_mul_i32 s9, s8, s20
	s_add_co_i32 s10, s8, 1
	s_sub_co_i32 s9, s12, s9
	s_sub_co_i32 s11, s9, s20
	s_cmp_ge_u32 s9, s20
	s_cselect_b32 s8, s10, s8
	s_cselect_b32 s9, s11, s9
	s_add_co_i32 s10, s8, 1
	s_cmp_ge_u32 s9, s20
	s_cselect_b32 s21, s10, s8
	s_wait_kmcnt 0x0
	s_lshl_b64 s[2:3], s[2:3], 3
	s_ashr_i32 s13, s12, 31
	s_add_nc_u64 s[8:9], s[6:7], s[2:3]
	s_load_b64 s[2:3], s[8:9], s21 offset:0x0 scale_offset
	s_clause 0x1
	s_load_b64 s[10:11], s[0:1], 0x40
	s_load_b64 s[6:7], s[0:1], 0x70
	s_lshl_b64 s[14:15], s[12:13], 2
	s_wait_xcnt 0x0
	s_mul_i32 s21, s21, s20
	s_add_nc_u64 s[16:17], s[4:5], s[14:15]
	s_wait_kmcnt 0x0
	s_lshl_b64 s[8:9], s[2:3], 3
	s_delay_alu instid0(SALU_CYCLE_1)
	s_add_nc_u64 s[18:19], s[10:11], s[8:9]
	s_load_b128 s[8:11], s[18:19], 0x0
	s_load_b32 s24, s[16:17], 0x0
	s_wait_xcnt 0x0
	s_sub_co_i32 s18, s12, s21
	s_mov_b32 s19, s23
	v_or_b32_e32 v1, s18, v0
	s_sub_nc_u64 s[20:21], s[12:13], s[18:19]
	s_delay_alu instid0(VALU_DEP_1)
	v_cmpx_eq_u32_e32 0, v1
	s_cbranch_execz .LBB79_7
; %bb.4:
	s_wait_loadcnt_dscnt 0x0
	v_add_f64_e32 v[10:11], -1.0, v[10:11]
	s_lshl_b64 s[12:13], s[2:3], 4
	s_mov_b32 s26, exec_lo
	s_add_nc_u64 s[28:29], s[6:7], s[12:13]
	v_mbcnt_lo_u32_b32 v1, s26, 0
	s_load_b128 s[12:15], s[28:29], 0x0
	global_wb scope:SCOPE_DEV
	s_wait_storecnt 0x0
	global_inv scope:SCOPE_DEV
	s_wait_kmcnt 0x0
	v_mul_f64_e64 v[6:7], s[14:15], -v[12:13]
	v_mul_f64_e32 v[8:9], s[14:15], v[10:11]
	s_mov_b32 s14, exec_lo
	v_cmpx_eq_u32_e32 0, v1
	s_cbranch_execz .LBB79_6
; %bb.5:
	s_bcnt1_i32_b32 s15, s26
	s_lshl_b64 s[26:27], s[20:21], 2
	s_and_b32 s15, s15, 1
	s_delay_alu instid0(SALU_CYCLE_1)
	v_dual_mov_b32 v1, 0 :: v_dual_mov_b32 v14, s15
	s_add_nc_u64 s[26:27], s[4:5], s[26:27]
	global_atomic_xor_b32 v1, v14, s[26:27] scope:SCOPE_DEV
.LBB79_6:
	s_wait_xcnt 0x0
	s_or_b32 exec_lo, exec_lo, s14
	s_delay_alu instid0(VALU_DEP_3) | instskip(NEXT) | instid1(VALU_DEP_3)
	v_fmac_f64_e32 v[6:7], s[12:13], v[10:11]
	v_fmac_f64_e32 v[8:9], s[12:13], v[12:13]
.LBB79_7:
	s_or_b32 exec_lo, exec_lo, s25
	s_mul_u64 s[12:13], s[18:19], 0x300
	s_wait_kmcnt 0x0
	s_sub_nc_u64 s[8:9], s[8:9], s[22:23]
	s_sub_nc_u64 s[10:11], s[10:11], s[22:23]
	s_add_nc_u64 s[8:9], s[8:9], s[12:13]
	v_mov_b32_e32 v1, 0
	s_add_nc_u64 s[12:13], s[8:9], 0x300
	s_wait_loadcnt_dscnt 0x0
	v_min_i64 v[10:11], s[12:13], s[10:11]
	s_mov_b32 s10, exec_lo
	v_add_nc_u64_e32 v[12:13], s[8:9], v[0:1]
	s_delay_alu instid0(VALU_DEP_1)
	v_cmpx_lt_i64_e64 v[12:13], v[10:11]
	s_cbranch_execz .LBB79_11
; %bb.8:
	s_clause 0x2
	s_load_b128 s[12:15], s[0:1], 0x48
	s_load_b32 s11, s[0:1], 0x0
	s_load_b64 s[8:9], s[0:1], 0x58
	s_wait_xcnt 0x0
	s_mov_b32 s1, 0
	s_wait_kmcnt 0x0
	v_lshl_add_u64 v[14:15], v[12:13], 4, s[14:15]
	v_lshl_add_u64 v[16:17], v[12:13], 3, s[12:13]
	s_bitcmp1_b32 s11, 0
	s_cselect_b32 vcc_lo, -1, 0
	s_delay_alu instid0(VALU_DEP_2)
	v_add_nc_u64_e32 v[14:15], 8, v[14:15]
.LBB79_9:                               ; =>This Inner Loop Header: Depth=1
	global_load_b64 v[22:23], v[16:17], off
	global_load_b128 v[18:21], v[14:15], off offset:-8
	v_add_nc_u64_e32 v[12:13], 0x100, v[12:13]
	s_wait_xcnt 0x0
	v_add_nc_u64_e32 v[14:15], 0x1000, v[14:15]
	v_add_nc_u64_e32 v[16:17], 0x800, v[16:17]
	s_delay_alu instid0(VALU_DEP_3)
	v_cmp_ge_i64_e64 s0, v[12:13], v[10:11]
	s_or_b32 s1, s0, s1
	s_wait_loadcnt 0x1
	v_sub_nc_u64_e64 v[22:23], v[22:23], s[22:23]
	s_wait_loadcnt 0x0
	v_xor_b32_e32 v1, 0x80000000, v21
	s_delay_alu instid0(VALU_DEP_1) | instskip(NEXT) | instid1(VALU_DEP_3)
	v_cndmask_b32_e32 v21, v21, v1, vcc_lo
	v_lshl_add_u64 v[22:23], v[22:23], 4, s[8:9]
	s_delay_alu instid0(VALU_DEP_2) | instskip(SKIP_3) | instid1(VALU_DEP_2)
	v_mul_f64_e64 v[26:27], v[20:21], -v[4:5]
	global_load_b128 v[22:25], v[22:23], off
	v_mul_f64_e32 v[20:21], v[2:3], v[20:21]
	v_fmac_f64_e32 v[26:27], v[2:3], v[18:19]
	v_fmac_f64_e32 v[20:21], v[4:5], v[18:19]
	s_wait_loadcnt 0x0
	s_delay_alu instid0(VALU_DEP_2) | instskip(NEXT) | instid1(VALU_DEP_2)
	v_fmac_f64_e32 v[6:7], v[26:27], v[22:23]
	v_fmac_f64_e32 v[8:9], v[20:21], v[22:23]
	s_delay_alu instid0(VALU_DEP_2) | instskip(NEXT) | instid1(VALU_DEP_2)
	v_fma_f64 v[6:7], -v[20:21], v[24:25], v[6:7]
	v_fmac_f64_e32 v[8:9], v[26:27], v[24:25]
	s_wait_xcnt 0x0
	s_and_not1_b32 exec_lo, exec_lo, s1
	s_cbranch_execnz .LBB79_9
; %bb.10:
	s_or_b32 exec_lo, exec_lo, s1
.LBB79_11:
	s_delay_alu instid0(SALU_CYCLE_1)
	s_or_b32 exec_lo, exec_lo, s10
	v_lshlrev_b32_e32 v1, 4, v0
	s_mov_b32 s0, exec_lo
	ds_store_b128 v1, v[6:9]
	s_wait_storecnt_dscnt 0x0
	s_barrier_signal -1
	s_barrier_wait -1
	v_cmpx_gt_u32_e32 0x80, v0
	s_cbranch_execz .LBB79_13
; %bb.12:
	ds_load_b128 v[2:5], v1 offset:2048
	ds_load_b128 v[6:9], v1
	s_wait_dscnt 0x0
	v_add_f64_e32 v[2:3], v[2:3], v[6:7]
	v_add_f64_e32 v[4:5], v[4:5], v[8:9]
	ds_store_b128 v1, v[2:5]
.LBB79_13:
	s_or_b32 exec_lo, exec_lo, s0
	s_delay_alu instid0(SALU_CYCLE_1)
	s_mov_b32 s0, exec_lo
	s_wait_dscnt 0x0
	s_barrier_signal -1
	s_barrier_wait -1
	v_cmpx_gt_u32_e32 64, v0
	s_cbranch_execz .LBB79_15
; %bb.14:
	ds_load_b128 v[2:5], v1 offset:1024
	ds_load_b128 v[6:9], v1
	s_wait_dscnt 0x0
	v_add_f64_e32 v[2:3], v[2:3], v[6:7]
	v_add_f64_e32 v[4:5], v[4:5], v[8:9]
	ds_store_b128 v1, v[2:5]
.LBB79_15:
	s_or_b32 exec_lo, exec_lo, s0
	s_delay_alu instid0(SALU_CYCLE_1)
	s_mov_b32 s0, exec_lo
	s_wait_dscnt 0x0
	;; [unrolled: 16-line block ×6, first 2 shown]
	s_barrier_signal -1
	s_barrier_wait -1
	v_cmpx_gt_u32_e32 2, v0
	s_cbranch_execz .LBB79_25
; %bb.24:
	ds_load_b128 v[2:5], v1
	ds_load_b128 v[6:9], v1 offset:32
	s_wait_dscnt 0x0
	v_add_f64_e32 v[2:3], v[6:7], v[2:3]
	v_add_f64_e32 v[4:5], v[8:9], v[4:5]
	ds_store_b128 v1, v[2:5]
.LBB79_25:
	s_or_b32 exec_lo, exec_lo, s0
	v_cmp_eq_u32_e32 vcc_lo, 0, v0
	s_wait_dscnt 0x0
	s_barrier_signal -1
	s_barrier_wait -1
	s_and_saveexec_b32 s0, vcc_lo
	s_cbranch_execz .LBB79_27
; %bb.26:
	v_mov_b32_e32 v8, 0
	ds_load_b128 v[0:3], v8
	ds_load_b128 v[4:7], v8 offset:16
	s_wait_dscnt 0x0
	v_add_f64_e32 v[0:1], v[4:5], v[0:1]
	v_add_f64_e32 v[2:3], v[6:7], v[2:3]
	ds_store_b128 v8, v[0:3]
.LBB79_27:
	s_or_b32 exec_lo, exec_lo, s0
	s_wait_dscnt 0x0
	s_barrier_signal -1
	s_barrier_wait -1
	s_and_b32 exec_lo, exec_lo, vcc_lo
	s_cbranch_execz .LBB79_38
; %bb.28:
	s_cmp_eq_u32 s18, 0
	s_cbranch_scc1 .LBB79_34
; %bb.29:
	v_mov_b32_e32 v0, 0
	s_lshl_b64 s[0:1], s[20:21], 2
	s_delay_alu instid0(SALU_CYCLE_1)
	s_add_nc_u64 s[0:1], s[4:5], s[0:1]
	s_branch .LBB79_31
.LBB79_30:                              ;   in Loop: Header=BB79_31 Depth=1
	s_wait_xcnt 0x0
	s_or_b32 exec_lo, exec_lo, s4
	s_wait_loadcnt 0x0
	v_readfirstlane_b32 s4, v1
	s_cmp_eq_u32 s4, s24
	s_cbranch_scc0 .LBB79_33
.LBB79_31:                              ; =>This Inner Loop Header: Depth=1
	v_mbcnt_lo_u32_b32 v1, exec_lo, 0
	s_delay_alu instid0(VALU_DEP_1)
	v_cmp_eq_u32_e32 vcc_lo, 0, v1
                                        ; implicit-def: $vgpr1
	s_and_saveexec_b32 s4, vcc_lo
	s_cbranch_execz .LBB79_30
; %bb.32:                               ;   in Loop: Header=BB79_31 Depth=1
	global_load_b32 v1, v0, s[0:1] scope:SCOPE_DEV
	s_branch .LBB79_30
.LBB79_33:
	v_mov_b32_e32 v0, 0
	global_load_u16 v1, v0, s[16:17]
	s_wait_loadcnt 0x0
	v_xor_b32_e32 v1, 1, v1
	global_store_b16 v0, v1, s[16:17]
.LBB79_34:
	v_mov_b32_e32 v4, 0
	s_mov_b32 s4, exec_lo
	s_lshl_b64 s[0:1], s[2:3], 4
	v_mbcnt_lo_u32_b32 v5, s4, 0
	s_add_nc_u64 s[0:1], s[6:7], s[0:1]
	s_wait_xcnt 0x0
	ds_load_b128 v[0:3], v4
	s_mov_b32 s2, exec_lo
	v_cmpx_eq_u32_e32 0, v5
	s_cbranch_execz .LBB79_36
; %bb.35:
	s_bcnt1_i32_b32 s3, s4
	s_delay_alu instid0(SALU_CYCLE_1) | instskip(SKIP_1) | instid1(VALU_DEP_1)
	v_cvt_f64_u32_e32 v[6:7], s3
	s_wait_dscnt 0x0
	v_mul_f64_e32 v[0:1], v[0:1], v[6:7]
	global_atomic_add_f64 v4, v[0:1], s[0:1] scope:SCOPE_DEV
.LBB79_36:
	s_wait_xcnt 0x0
	s_or_b32 exec_lo, exec_lo, s2
	s_delay_alu instid0(SALU_CYCLE_1) | instskip(SKIP_2) | instid1(VALU_DEP_1)
	s_mov_b32 s2, exec_lo
	s_wait_dscnt 0x0
	v_mbcnt_lo_u32_b32 v0, s2, 0
	v_cmp_eq_u32_e32 vcc_lo, 0, v0
	s_and_b32 s3, exec_lo, vcc_lo
	s_delay_alu instid0(SALU_CYCLE_1)
	s_mov_b32 exec_lo, s3
	s_cbranch_execz .LBB79_38
; %bb.37:
	s_bcnt1_i32_b32 s2, s2
	s_delay_alu instid0(SALU_CYCLE_1) | instskip(NEXT) | instid1(VALU_DEP_1)
	v_cvt_f64_u32_e32 v[0:1], s2
	v_dual_mul_f64 v[0:1], v[2:3], v[0:1] :: v_dual_mov_b32 v2, 0
	global_atomic_add_f64 v2, v[0:1], s[0:1] offset:8 scope:SCOPE_DEV
.LBB79_38:
	s_endpgm
	.section	.rodata,"a",@progbits
	.p2align	6, 0x0
	.amdhsa_kernel _ZN9rocsparseL27csrmvn_lrb_long_rows_kernelIll21rocsparse_complex_numIdES2_S2_S2_EEvbT_PjPT0_S6_jNS_24const_host_device_scalarIT4_EEPKS3_PKS5_PKT1_PKT2_S9_PT3_21rocsparse_index_base_b
		.amdhsa_group_segment_fixed_size 4096
		.amdhsa_private_segment_fixed_size 0
		.amdhsa_kernarg_size 128
		.amdhsa_user_sgpr_count 2
		.amdhsa_user_sgpr_dispatch_ptr 0
		.amdhsa_user_sgpr_queue_ptr 0
		.amdhsa_user_sgpr_kernarg_segment_ptr 1
		.amdhsa_user_sgpr_dispatch_id 0
		.amdhsa_user_sgpr_kernarg_preload_length 0
		.amdhsa_user_sgpr_kernarg_preload_offset 0
		.amdhsa_user_sgpr_private_segment_size 0
		.amdhsa_wavefront_size32 1
		.amdhsa_uses_dynamic_stack 0
		.amdhsa_enable_private_segment 0
		.amdhsa_system_sgpr_workgroup_id_x 1
		.amdhsa_system_sgpr_workgroup_id_y 0
		.amdhsa_system_sgpr_workgroup_id_z 0
		.amdhsa_system_sgpr_workgroup_info 0
		.amdhsa_system_vgpr_workitem_id 0
		.amdhsa_next_free_vgpr 28
		.amdhsa_next_free_sgpr 30
		.amdhsa_named_barrier_count 0
		.amdhsa_reserve_vcc 1
		.amdhsa_float_round_mode_32 0
		.amdhsa_float_round_mode_16_64 0
		.amdhsa_float_denorm_mode_32 3
		.amdhsa_float_denorm_mode_16_64 3
		.amdhsa_fp16_overflow 0
		.amdhsa_memory_ordered 1
		.amdhsa_forward_progress 1
		.amdhsa_inst_pref_size 15
		.amdhsa_round_robin_scheduling 0
		.amdhsa_exception_fp_ieee_invalid_op 0
		.amdhsa_exception_fp_denorm_src 0
		.amdhsa_exception_fp_ieee_div_zero 0
		.amdhsa_exception_fp_ieee_overflow 0
		.amdhsa_exception_fp_ieee_underflow 0
		.amdhsa_exception_fp_ieee_inexact 0
		.amdhsa_exception_int_div_zero 0
	.end_amdhsa_kernel
	.section	.text._ZN9rocsparseL27csrmvn_lrb_long_rows_kernelIll21rocsparse_complex_numIdES2_S2_S2_EEvbT_PjPT0_S6_jNS_24const_host_device_scalarIT4_EEPKS3_PKS5_PKT1_PKT2_S9_PT3_21rocsparse_index_base_b,"axG",@progbits,_ZN9rocsparseL27csrmvn_lrb_long_rows_kernelIll21rocsparse_complex_numIdES2_S2_S2_EEvbT_PjPT0_S6_jNS_24const_host_device_scalarIT4_EEPKS3_PKS5_PKT1_PKT2_S9_PT3_21rocsparse_index_base_b,comdat
.Lfunc_end79:
	.size	_ZN9rocsparseL27csrmvn_lrb_long_rows_kernelIll21rocsparse_complex_numIdES2_S2_S2_EEvbT_PjPT0_S6_jNS_24const_host_device_scalarIT4_EEPKS3_PKS5_PKT1_PKT2_S9_PT3_21rocsparse_index_base_b, .Lfunc_end79-_ZN9rocsparseL27csrmvn_lrb_long_rows_kernelIll21rocsparse_complex_numIdES2_S2_S2_EEvbT_PjPT0_S6_jNS_24const_host_device_scalarIT4_EEPKS3_PKS5_PKT1_PKT2_S9_PT3_21rocsparse_index_base_b
                                        ; -- End function
	.set _ZN9rocsparseL27csrmvn_lrb_long_rows_kernelIll21rocsparse_complex_numIdES2_S2_S2_EEvbT_PjPT0_S6_jNS_24const_host_device_scalarIT4_EEPKS3_PKS5_PKT1_PKT2_S9_PT3_21rocsparse_index_base_b.num_vgpr, 28
	.set _ZN9rocsparseL27csrmvn_lrb_long_rows_kernelIll21rocsparse_complex_numIdES2_S2_S2_EEvbT_PjPT0_S6_jNS_24const_host_device_scalarIT4_EEPKS3_PKS5_PKT1_PKT2_S9_PT3_21rocsparse_index_base_b.num_agpr, 0
	.set _ZN9rocsparseL27csrmvn_lrb_long_rows_kernelIll21rocsparse_complex_numIdES2_S2_S2_EEvbT_PjPT0_S6_jNS_24const_host_device_scalarIT4_EEPKS3_PKS5_PKT1_PKT2_S9_PT3_21rocsparse_index_base_b.numbered_sgpr, 30
	.set _ZN9rocsparseL27csrmvn_lrb_long_rows_kernelIll21rocsparse_complex_numIdES2_S2_S2_EEvbT_PjPT0_S6_jNS_24const_host_device_scalarIT4_EEPKS3_PKS5_PKT1_PKT2_S9_PT3_21rocsparse_index_base_b.num_named_barrier, 0
	.set _ZN9rocsparseL27csrmvn_lrb_long_rows_kernelIll21rocsparse_complex_numIdES2_S2_S2_EEvbT_PjPT0_S6_jNS_24const_host_device_scalarIT4_EEPKS3_PKS5_PKT1_PKT2_S9_PT3_21rocsparse_index_base_b.private_seg_size, 0
	.set _ZN9rocsparseL27csrmvn_lrb_long_rows_kernelIll21rocsparse_complex_numIdES2_S2_S2_EEvbT_PjPT0_S6_jNS_24const_host_device_scalarIT4_EEPKS3_PKS5_PKT1_PKT2_S9_PT3_21rocsparse_index_base_b.uses_vcc, 1
	.set _ZN9rocsparseL27csrmvn_lrb_long_rows_kernelIll21rocsparse_complex_numIdES2_S2_S2_EEvbT_PjPT0_S6_jNS_24const_host_device_scalarIT4_EEPKS3_PKS5_PKT1_PKT2_S9_PT3_21rocsparse_index_base_b.uses_flat_scratch, 0
	.set _ZN9rocsparseL27csrmvn_lrb_long_rows_kernelIll21rocsparse_complex_numIdES2_S2_S2_EEvbT_PjPT0_S6_jNS_24const_host_device_scalarIT4_EEPKS3_PKS5_PKT1_PKT2_S9_PT3_21rocsparse_index_base_b.has_dyn_sized_stack, 0
	.set _ZN9rocsparseL27csrmvn_lrb_long_rows_kernelIll21rocsparse_complex_numIdES2_S2_S2_EEvbT_PjPT0_S6_jNS_24const_host_device_scalarIT4_EEPKS3_PKS5_PKT1_PKT2_S9_PT3_21rocsparse_index_base_b.has_recursion, 0
	.set _ZN9rocsparseL27csrmvn_lrb_long_rows_kernelIll21rocsparse_complex_numIdES2_S2_S2_EEvbT_PjPT0_S6_jNS_24const_host_device_scalarIT4_EEPKS3_PKS5_PKT1_PKT2_S9_PT3_21rocsparse_index_base_b.has_indirect_call, 0
	.section	.AMDGPU.csdata,"",@progbits
; Kernel info:
; codeLenInByte = 1896
; TotalNumSgprs: 32
; NumVgprs: 28
; ScratchSize: 0
; MemoryBound: 0
; FloatMode: 240
; IeeeMode: 1
; LDSByteSize: 4096 bytes/workgroup (compile time only)
; SGPRBlocks: 0
; VGPRBlocks: 1
; NumSGPRsForWavesPerEU: 32
; NumVGPRsForWavesPerEU: 28
; NamedBarCnt: 0
; Occupancy: 16
; WaveLimiterHint : 1
; COMPUTE_PGM_RSRC2:SCRATCH_EN: 0
; COMPUTE_PGM_RSRC2:USER_SGPR: 2
; COMPUTE_PGM_RSRC2:TRAP_HANDLER: 0
; COMPUTE_PGM_RSRC2:TGID_X_EN: 1
; COMPUTE_PGM_RSRC2:TGID_Y_EN: 0
; COMPUTE_PGM_RSRC2:TGID_Z_EN: 0
; COMPUTE_PGM_RSRC2:TIDIG_COMP_CNT: 0
	.section	.text._ZN9rocsparseL28csrmvn_lrb_short_rows_kernelIiiaaiiEEvbT_PT0_S3_jNS_24const_host_device_scalarIT4_EEPKS1_PKS2_PKT1_PKT2_S6_PT3_21rocsparse_index_base_b,"axG",@progbits,_ZN9rocsparseL28csrmvn_lrb_short_rows_kernelIiiaaiiEEvbT_PT0_S3_jNS_24const_host_device_scalarIT4_EEPKS1_PKS2_PKT1_PKT2_S6_PT3_21rocsparse_index_base_b,comdat
	.globl	_ZN9rocsparseL28csrmvn_lrb_short_rows_kernelIiiaaiiEEvbT_PT0_S3_jNS_24const_host_device_scalarIT4_EEPKS1_PKS2_PKT1_PKT2_S6_PT3_21rocsparse_index_base_b ; -- Begin function _ZN9rocsparseL28csrmvn_lrb_short_rows_kernelIiiaaiiEEvbT_PT0_S3_jNS_24const_host_device_scalarIT4_EEPKS1_PKS2_PKT1_PKT2_S6_PT3_21rocsparse_index_base_b
	.p2align	8
	.type	_ZN9rocsparseL28csrmvn_lrb_short_rows_kernelIiiaaiiEEvbT_PT0_S3_jNS_24const_host_device_scalarIT4_EEPKS1_PKS2_PKT1_PKT2_S6_PT3_21rocsparse_index_base_b,@function
_ZN9rocsparseL28csrmvn_lrb_short_rows_kernelIiiaaiiEEvbT_PT0_S3_jNS_24const_host_device_scalarIT4_EEPKS1_PKS2_PKT1_PKT2_S6_PT3_21rocsparse_index_base_b: ; @_ZN9rocsparseL28csrmvn_lrb_short_rows_kernelIiiaaiiEEvbT_PT0_S3_jNS_24const_host_device_scalarIT4_EEPKS1_PKS2_PKT1_PKT2_S6_PT3_21rocsparse_index_base_b
; %bb.0:
	s_clause 0x1
	s_load_b64 s[2:3], s[0:1], 0x58
	s_load_b64 s[6:7], s[0:1], 0x20
	s_mov_b32 s8, -1
                                        ; implicit-def: $sgpr16
	s_wait_kmcnt 0x0
	s_bitcmp1_b32 s3, 0
	s_cselect_b32 s3, -1, 0
	s_delay_alu instid0(SALU_CYCLE_1) | instskip(NEXT) | instid1(SALU_CYCLE_1)
	s_xor_b32 s3, s3, -1
	s_and_b32 vcc_lo, exec_lo, s3
	s_cbranch_vccnz .LBB80_4
; %bb.1:
	s_load_b64 s[4:5], s[0:1], 0x48
	s_and_not1_b32 vcc_lo, exec_lo, s8
	s_cbranch_vccz .LBB80_5
.LBB80_2:
	s_and_b32 vcc_lo, exec_lo, s3
	s_cbranch_vccz .LBB80_6
.LBB80_3:
	s_wait_kmcnt 0x0
	s_load_b32 s3, s[4:5], 0x0
	s_wait_xcnt 0x0
	s_cbranch_execz .LBB80_7
	s_branch .LBB80_8
.LBB80_4:
	s_load_b32 s16, s[6:7], 0x0
	s_load_b64 s[4:5], s[0:1], 0x48
	s_cbranch_execnz .LBB80_2
.LBB80_5:
	s_wait_kmcnt 0x0
	s_mov_b32 s16, s6
	s_and_b32 vcc_lo, exec_lo, s3
	s_cbranch_vccnz .LBB80_3
.LBB80_6:
	s_wait_kmcnt 0x0
                                        ; implicit-def: $sgpr3
.LBB80_7:
	s_wait_kmcnt 0x0
	s_mov_b32 s3, s4
.LBB80_8:
	s_cmp_lg_u32 s16, 0
	s_cselect_b32 s4, -1, 0
	s_wait_kmcnt 0x0
	s_cmp_lg_u32 s3, 1
	s_cselect_b32 s5, -1, 0
	s_delay_alu instid0(SALU_CYCLE_1) | instskip(NEXT) | instid1(SALU_CYCLE_1)
	s_or_b32 s4, s4, s5
	s_and_not1_b32 vcc_lo, exec_lo, s4
	s_cbranch_vccnz .LBB80_22
; %bb.9:
	s_clause 0x1
	s_load_b32 s17, s[0:1], 0x18
	s_load_b128 s[12:15], s[0:1], 0x8
	s_and_b32 s6, ttmp6, 15
	s_getreg_b32 s7, hwreg(HW_REG_IB_STS2, 6, 4)
	s_wait_kmcnt 0x0
	s_add_co_i32 s4, s17, 1
	s_clause 0x1
	s_load_b32 s18, s[14:15], s17 offset:0x0 scale_offset
	s_load_b32 s5, s[14:15], s4 offset:0x0 scale_offset
	s_wait_xcnt 0x0
	s_bfe_u32 s4, ttmp6, 0x4000c
	s_delay_alu instid0(SALU_CYCLE_1) | instskip(NEXT) | instid1(SALU_CYCLE_1)
	s_add_co_i32 s4, s4, 1
	s_mul_i32 s4, ttmp9, s4
	s_delay_alu instid0(SALU_CYCLE_1) | instskip(SKIP_4) | instid1(SALU_CYCLE_1)
	s_add_co_i32 s6, s6, s4
	s_wait_kmcnt 0x0
	s_sub_co_i32 s5, s5, s18
	s_cmp_eq_u32 s7, 0
	s_cselect_b32 s4, ttmp9, s6
	s_lshl_b32 s14, s4, 8
	s_delay_alu instid0(SALU_CYCLE_1) | instskip(NEXT) | instid1(SALU_CYCLE_1)
	s_add_co_i32 s4, s14, 0x100
	s_min_u32 s15, s5, s4
	s_cmp_gt_u32 s17, 23
	s_cbranch_scc1 .LBB80_16
; %bb.10:
	s_load_b256 s[4:11], s[0:1], 0x28
	v_bfe_u32 v1, v0, 0, s17
	v_lshl_add_u32 v5, v0, 2, 0
	s_lshl_b32 s19, 0x100, s17
	s_mov_b32 s20, 0
	s_delay_alu instid0(VALU_DEP_2)
	v_subrev_nc_u32_e32 v4, s2, v1
	s_branch .LBB80_13
.LBB80_11:                              ;   in Loop: Header=BB80_13 Depth=1
	s_wait_xcnt 0x0
	s_or_b32 exec_lo, exec_lo, s22
	ds_store_b32 v5, v3
.LBB80_12:                              ;   in Loop: Header=BB80_13 Depth=1
	s_or_b32 exec_lo, exec_lo, s21
	v_add_nc_u32_e32 v5, 0x400, v5
	s_addk_co_i32 s20, 0x100
	s_delay_alu instid0(SALU_CYCLE_1)
	s_cmp_ge_u32 s20, s19
	s_cbranch_scc1 .LBB80_16
.LBB80_13:                              ; =>This Inner Loop Header: Depth=1
	v_add_nc_u32_e32 v2, s20, v0
	s_mov_b32 s21, exec_lo
	s_delay_alu instid0(VALU_DEP_1) | instskip(NEXT) | instid1(VALU_DEP_1)
	v_lshrrev_b32_e32 v2, s17, v2
	v_add_nc_u32_e32 v2, s14, v2
	s_delay_alu instid0(VALU_DEP_1)
	v_cmpx_gt_u32_e64 s15, v2
	s_cbranch_execz .LBB80_12
; %bb.14:                               ;   in Loop: Header=BB80_13 Depth=1
	v_add_nc_u32_e32 v2, s18, v2
	global_load_b32 v2, v2, s[12:13] scale_offset
	s_wait_loadcnt 0x0
	v_ashrrev_i32_e32 v3, 31, v2
	s_wait_kmcnt 0x0
	s_wait_xcnt 0x0
	s_delay_alu instid0(VALU_DEP_1) | instskip(SKIP_4) | instid1(VALU_DEP_1)
	v_lshl_add_u64 v[2:3], v[2:3], 2, s[4:5]
	global_load_b64 v[2:3], v[2:3], off
	s_wait_loadcnt 0x0
	s_wait_xcnt 0x0
	v_sub_nc_u32_e32 v3, v3, v2
	v_cmp_lt_u32_e32 vcc_lo, v1, v3
	v_mov_b32_e32 v3, 0
	s_and_saveexec_b32 s22, vcc_lo
	s_cbranch_execz .LBB80_11
; %bb.15:                               ;   in Loop: Header=BB80_13 Depth=1
	v_add_nc_u32_e32 v2, v4, v2
	s_clause 0x1
	global_load_b32 v3, v2, s[6:7] scale_offset
	global_load_i8 v6, v2, s[8:9]
	s_wait_loadcnt 0x1
	s_wait_xcnt 0x0
	v_subrev_nc_u32_e32 v2, s2, v3
	s_wait_loadcnt 0x0
	v_mul_lo_u32 v3, s16, v6
	global_load_i8 v2, v2, s[10:11]
	s_wait_loadcnt 0x0
	v_mul_lo_u32 v3, v3, v2
	s_branch .LBB80_11
.LBB80_16:
	s_sub_co_i32 s2, s15, s14
	s_wait_dscnt 0x0
	v_cmp_gt_u32_e32 vcc_lo, s2, v0
	s_barrier_signal -1
	s_barrier_wait -1
	s_and_saveexec_b32 s2, vcc_lo
	s_cbranch_execz .LBB80_22
; %bb.17:
	v_add3_u32 v1, s18, s14, v0
	s_wait_xcnt 0x0
	s_load_b64 s[0:1], s[0:1], 0x50
	v_dual_lshlrev_b32 v0, s17, v0 :: v_dual_mov_b32 v4, 0
	s_mov_b32 s2, 1
	global_load_b32 v2, v1, s[12:13] scale_offset
	v_lshl_add_u32 v0, v0, 2, 0
.LBB80_18:                              ; =>This Inner Loop Header: Depth=1
	s_wait_xcnt 0x0
	ds_load_b32 v1, v0
	v_add_nc_u32_e32 v0, 4, v0
	s_wait_kmcnt 0x0
	s_lshr_b32 s4, s2, s17
	s_add_co_i32 s2, s2, 1
	s_cmp_lg_u32 s4, 0
	s_wait_dscnt 0x0
	v_add_nc_u32_e32 v4, v1, v4
	s_cbranch_scc0 .LBB80_18
; %bb.19:
	s_wait_loadcnt 0x0
	v_ashrrev_i32_e32 v3, 31, v2
	s_cmp_lg_u32 s3, 0
	s_delay_alu instid0(VALU_DEP_1)
	v_lshl_add_u64 v[0:1], v[2:3], 2, s[0:1]
	s_cbranch_scc0 .LBB80_21
; %bb.20:
	global_load_b32 v2, v[0:1], off
	s_wait_loadcnt 0x0
	v_mad_u32 v4, v2, s3, v4
.LBB80_21:
	global_store_b32 v[0:1], v4, off
.LBB80_22:
	s_endpgm
	.section	.rodata,"a",@progbits
	.p2align	6, 0x0
	.amdhsa_kernel _ZN9rocsparseL28csrmvn_lrb_short_rows_kernelIiiaaiiEEvbT_PT0_S3_jNS_24const_host_device_scalarIT4_EEPKS1_PKS2_PKT1_PKT2_S6_PT3_21rocsparse_index_base_b
		.amdhsa_group_segment_fixed_size 0
		.amdhsa_private_segment_fixed_size 0
		.amdhsa_kernarg_size 96
		.amdhsa_user_sgpr_count 2
		.amdhsa_user_sgpr_dispatch_ptr 0
		.amdhsa_user_sgpr_queue_ptr 0
		.amdhsa_user_sgpr_kernarg_segment_ptr 1
		.amdhsa_user_sgpr_dispatch_id 0
		.amdhsa_user_sgpr_kernarg_preload_length 0
		.amdhsa_user_sgpr_kernarg_preload_offset 0
		.amdhsa_user_sgpr_private_segment_size 0
		.amdhsa_wavefront_size32 1
		.amdhsa_uses_dynamic_stack 0
		.amdhsa_enable_private_segment 0
		.amdhsa_system_sgpr_workgroup_id_x 1
		.amdhsa_system_sgpr_workgroup_id_y 0
		.amdhsa_system_sgpr_workgroup_id_z 0
		.amdhsa_system_sgpr_workgroup_info 0
		.amdhsa_system_vgpr_workitem_id 0
		.amdhsa_next_free_vgpr 7
		.amdhsa_next_free_sgpr 23
		.amdhsa_named_barrier_count 0
		.amdhsa_reserve_vcc 1
		.amdhsa_float_round_mode_32 0
		.amdhsa_float_round_mode_16_64 0
		.amdhsa_float_denorm_mode_32 3
		.amdhsa_float_denorm_mode_16_64 3
		.amdhsa_fp16_overflow 0
		.amdhsa_memory_ordered 1
		.amdhsa_forward_progress 1
		.amdhsa_inst_pref_size 7
		.amdhsa_round_robin_scheduling 0
		.amdhsa_exception_fp_ieee_invalid_op 0
		.amdhsa_exception_fp_denorm_src 0
		.amdhsa_exception_fp_ieee_div_zero 0
		.amdhsa_exception_fp_ieee_overflow 0
		.amdhsa_exception_fp_ieee_underflow 0
		.amdhsa_exception_fp_ieee_inexact 0
		.amdhsa_exception_int_div_zero 0
	.end_amdhsa_kernel
	.section	.text._ZN9rocsparseL28csrmvn_lrb_short_rows_kernelIiiaaiiEEvbT_PT0_S3_jNS_24const_host_device_scalarIT4_EEPKS1_PKS2_PKT1_PKT2_S6_PT3_21rocsparse_index_base_b,"axG",@progbits,_ZN9rocsparseL28csrmvn_lrb_short_rows_kernelIiiaaiiEEvbT_PT0_S3_jNS_24const_host_device_scalarIT4_EEPKS1_PKS2_PKT1_PKT2_S6_PT3_21rocsparse_index_base_b,comdat
.Lfunc_end80:
	.size	_ZN9rocsparseL28csrmvn_lrb_short_rows_kernelIiiaaiiEEvbT_PT0_S3_jNS_24const_host_device_scalarIT4_EEPKS1_PKS2_PKT1_PKT2_S6_PT3_21rocsparse_index_base_b, .Lfunc_end80-_ZN9rocsparseL28csrmvn_lrb_short_rows_kernelIiiaaiiEEvbT_PT0_S3_jNS_24const_host_device_scalarIT4_EEPKS1_PKS2_PKT1_PKT2_S6_PT3_21rocsparse_index_base_b
                                        ; -- End function
	.set _ZN9rocsparseL28csrmvn_lrb_short_rows_kernelIiiaaiiEEvbT_PT0_S3_jNS_24const_host_device_scalarIT4_EEPKS1_PKS2_PKT1_PKT2_S6_PT3_21rocsparse_index_base_b.num_vgpr, 7
	.set _ZN9rocsparseL28csrmvn_lrb_short_rows_kernelIiiaaiiEEvbT_PT0_S3_jNS_24const_host_device_scalarIT4_EEPKS1_PKS2_PKT1_PKT2_S6_PT3_21rocsparse_index_base_b.num_agpr, 0
	.set _ZN9rocsparseL28csrmvn_lrb_short_rows_kernelIiiaaiiEEvbT_PT0_S3_jNS_24const_host_device_scalarIT4_EEPKS1_PKS2_PKT1_PKT2_S6_PT3_21rocsparse_index_base_b.numbered_sgpr, 23
	.set _ZN9rocsparseL28csrmvn_lrb_short_rows_kernelIiiaaiiEEvbT_PT0_S3_jNS_24const_host_device_scalarIT4_EEPKS1_PKS2_PKT1_PKT2_S6_PT3_21rocsparse_index_base_b.num_named_barrier, 0
	.set _ZN9rocsparseL28csrmvn_lrb_short_rows_kernelIiiaaiiEEvbT_PT0_S3_jNS_24const_host_device_scalarIT4_EEPKS1_PKS2_PKT1_PKT2_S6_PT3_21rocsparse_index_base_b.private_seg_size, 0
	.set _ZN9rocsparseL28csrmvn_lrb_short_rows_kernelIiiaaiiEEvbT_PT0_S3_jNS_24const_host_device_scalarIT4_EEPKS1_PKS2_PKT1_PKT2_S6_PT3_21rocsparse_index_base_b.uses_vcc, 1
	.set _ZN9rocsparseL28csrmvn_lrb_short_rows_kernelIiiaaiiEEvbT_PT0_S3_jNS_24const_host_device_scalarIT4_EEPKS1_PKS2_PKT1_PKT2_S6_PT3_21rocsparse_index_base_b.uses_flat_scratch, 0
	.set _ZN9rocsparseL28csrmvn_lrb_short_rows_kernelIiiaaiiEEvbT_PT0_S3_jNS_24const_host_device_scalarIT4_EEPKS1_PKS2_PKT1_PKT2_S6_PT3_21rocsparse_index_base_b.has_dyn_sized_stack, 0
	.set _ZN9rocsparseL28csrmvn_lrb_short_rows_kernelIiiaaiiEEvbT_PT0_S3_jNS_24const_host_device_scalarIT4_EEPKS1_PKS2_PKT1_PKT2_S6_PT3_21rocsparse_index_base_b.has_recursion, 0
	.set _ZN9rocsparseL28csrmvn_lrb_short_rows_kernelIiiaaiiEEvbT_PT0_S3_jNS_24const_host_device_scalarIT4_EEPKS1_PKS2_PKT1_PKT2_S6_PT3_21rocsparse_index_base_b.has_indirect_call, 0
	.section	.AMDGPU.csdata,"",@progbits
; Kernel info:
; codeLenInByte = 808
; TotalNumSgprs: 25
; NumVgprs: 7
; ScratchSize: 0
; MemoryBound: 0
; FloatMode: 240
; IeeeMode: 1
; LDSByteSize: 0 bytes/workgroup (compile time only)
; SGPRBlocks: 0
; VGPRBlocks: 0
; NumSGPRsForWavesPerEU: 25
; NumVGPRsForWavesPerEU: 7
; NamedBarCnt: 0
; Occupancy: 16
; WaveLimiterHint : 1
; COMPUTE_PGM_RSRC2:SCRATCH_EN: 0
; COMPUTE_PGM_RSRC2:USER_SGPR: 2
; COMPUTE_PGM_RSRC2:TRAP_HANDLER: 0
; COMPUTE_PGM_RSRC2:TGID_X_EN: 1
; COMPUTE_PGM_RSRC2:TGID_Y_EN: 0
; COMPUTE_PGM_RSRC2:TGID_Z_EN: 0
; COMPUTE_PGM_RSRC2:TIDIG_COMP_CNT: 0
	.section	.text._ZN9rocsparseL30csrmvn_lrb_short_rows_2_kernelIiiaaiiEEvbT_PT0_S3_jNS_24const_host_device_scalarIT4_EEPKS1_PKS2_PKT1_PKT2_S6_PT3_21rocsparse_index_base_b,"axG",@progbits,_ZN9rocsparseL30csrmvn_lrb_short_rows_2_kernelIiiaaiiEEvbT_PT0_S3_jNS_24const_host_device_scalarIT4_EEPKS1_PKS2_PKT1_PKT2_S6_PT3_21rocsparse_index_base_b,comdat
	.globl	_ZN9rocsparseL30csrmvn_lrb_short_rows_2_kernelIiiaaiiEEvbT_PT0_S3_jNS_24const_host_device_scalarIT4_EEPKS1_PKS2_PKT1_PKT2_S6_PT3_21rocsparse_index_base_b ; -- Begin function _ZN9rocsparseL30csrmvn_lrb_short_rows_2_kernelIiiaaiiEEvbT_PT0_S3_jNS_24const_host_device_scalarIT4_EEPKS1_PKS2_PKT1_PKT2_S6_PT3_21rocsparse_index_base_b
	.p2align	8
	.type	_ZN9rocsparseL30csrmvn_lrb_short_rows_2_kernelIiiaaiiEEvbT_PT0_S3_jNS_24const_host_device_scalarIT4_EEPKS1_PKS2_PKT1_PKT2_S6_PT3_21rocsparse_index_base_b,@function
_ZN9rocsparseL30csrmvn_lrb_short_rows_2_kernelIiiaaiiEEvbT_PT0_S3_jNS_24const_host_device_scalarIT4_EEPKS1_PKS2_PKT1_PKT2_S6_PT3_21rocsparse_index_base_b: ; @_ZN9rocsparseL30csrmvn_lrb_short_rows_2_kernelIiiaaiiEEvbT_PT0_S3_jNS_24const_host_device_scalarIT4_EEPKS1_PKS2_PKT1_PKT2_S6_PT3_21rocsparse_index_base_b
; %bb.0:
	s_clause 0x1
	s_load_b64 s[2:3], s[0:1], 0x58
	s_load_b64 s[6:7], s[0:1], 0x20
	s_mov_b32 s8, -1
                                        ; implicit-def: $sgpr17
	s_wait_kmcnt 0x0
	s_bitcmp1_b32 s3, 0
	s_cselect_b32 s3, -1, 0
	s_delay_alu instid0(SALU_CYCLE_1) | instskip(NEXT) | instid1(SALU_CYCLE_1)
	s_xor_b32 s3, s3, -1
	s_and_b32 vcc_lo, exec_lo, s3
	s_cbranch_vccnz .LBB81_4
; %bb.1:
	s_load_b64 s[4:5], s[0:1], 0x48
	s_and_not1_b32 vcc_lo, exec_lo, s8
	s_cbranch_vccz .LBB81_5
.LBB81_2:
	s_and_b32 vcc_lo, exec_lo, s3
	s_cbranch_vccz .LBB81_6
.LBB81_3:
	s_wait_kmcnt 0x0
	s_load_b32 s3, s[4:5], 0x0
	s_wait_xcnt 0x0
	s_cbranch_execz .LBB81_7
	s_branch .LBB81_8
.LBB81_4:
	s_load_b32 s17, s[6:7], 0x0
	s_load_b64 s[4:5], s[0:1], 0x48
	s_cbranch_execnz .LBB81_2
.LBB81_5:
	s_wait_kmcnt 0x0
	s_mov_b32 s17, s6
	s_and_b32 vcc_lo, exec_lo, s3
	s_cbranch_vccnz .LBB81_3
.LBB81_6:
	s_wait_kmcnt 0x0
                                        ; implicit-def: $sgpr3
.LBB81_7:
	s_wait_kmcnt 0x0
	s_mov_b32 s3, s4
.LBB81_8:
	s_cmp_lg_u32 s17, 0
	s_cselect_b32 s4, -1, 0
	s_wait_kmcnt 0x0
	s_cmp_lg_u32 s3, 1
	s_cselect_b32 s5, -1, 0
	s_delay_alu instid0(SALU_CYCLE_1) | instskip(NEXT) | instid1(SALU_CYCLE_1)
	s_or_b32 s4, s4, s5
	s_and_not1_b32 vcc_lo, exec_lo, s4
	s_cbranch_vccnz .LBB81_34
; %bb.9:
	s_clause 0x1
	s_load_b32 s16, s[0:1], 0x18
	s_load_b128 s[12:15], s[0:1], 0x8
	s_wait_kmcnt 0x0
	s_add_co_i32 s19, s16, 1
	s_clause 0x1
	s_load_b32 s18, s[14:15], s16 offset:0x0 scale_offset
	s_load_b32 s20, s[14:15], s19 offset:0x0 scale_offset
	s_load_b256 s[4:11], s[0:1], 0x28
	s_wait_xcnt 0x0
	s_bfe_u32 s14, ttmp6, 0x4000c
	s_and_b32 s15, ttmp6, 15
	s_add_co_i32 s14, s14, 1
	s_getreg_b32 s19, hwreg(HW_REG_IB_STS2, 6, 4)
	s_mul_i32 s21, ttmp9, s14
	s_lshr_b32 s14, 0x400, s16
	s_add_co_i32 s15, s15, s21
	v_lshrrev_b32_e32 v1, s16, v0
	v_bfe_u32 v4, v0, 0, s16
	s_wait_kmcnt 0x0
	s_sub_co_i32 s20, s20, s18
	s_cmp_eq_u32 s19, 0
	s_cselect_b32 s15, ttmp9, s15
	s_delay_alu instid0(SALU_CYCLE_1) | instskip(NEXT) | instid1(SALU_CYCLE_1)
	s_mul_i32 s15, s14, s15
	v_add_nc_u32_e32 v2, s15, v1
	v_subrev_nc_u32_e32 v1, s2, v4
	s_add_co_i32 s19, s15, s14
	s_delay_alu instid0(SALU_CYCLE_1)
	s_min_u32 s19, s20, s19
	s_mov_b32 s20, exec_lo
	v_cmpx_gt_u32_e64 s19, v2
	s_cbranch_execz .LBB81_13
; %bb.10:
	v_add_nc_u32_e32 v2, s18, v2
	global_load_b32 v2, v2, s[12:13] scale_offset
	s_wait_loadcnt 0x0
	v_ashrrev_i32_e32 v3, 31, v2
	s_delay_alu instid0(VALU_DEP_1) | instskip(SKIP_3) | instid1(VALU_DEP_1)
	v_lshl_add_u64 v[2:3], v[2:3], 2, s[4:5]
	global_load_b64 v[2:3], v[2:3], off
	s_wait_loadcnt 0x0
	v_sub_nc_u32_e32 v3, v3, v2
	v_cmp_lt_u32_e32 vcc_lo, v4, v3
	v_mov_b32_e32 v3, 0
	s_and_saveexec_b32 s21, vcc_lo
	s_cbranch_execz .LBB81_12
; %bb.11:
	v_add_nc_u32_e32 v2, v2, v1
	s_clause 0x1
	global_load_b32 v3, v2, s[6:7] scale_offset
	global_load_i8 v5, v2, s[8:9]
	s_wait_loadcnt 0x1
	s_wait_xcnt 0x0
	v_subrev_nc_u32_e32 v2, s2, v3
	s_wait_loadcnt 0x0
	v_mul_lo_u32 v3, s17, v5
	global_load_i8 v2, v2, s[10:11]
	s_wait_loadcnt 0x0
	v_mul_lo_u32 v3, v3, v2
.LBB81_12:
	s_or_b32 exec_lo, exec_lo, s21
	v_lshlrev_b32_e32 v2, 2, v0
	ds_store_b32 v2, v3
.LBB81_13:
	s_or_b32 exec_lo, exec_lo, s20
	s_load_b64 s[0:1], s[0:1], 0x50
	v_or_b32_e32 v2, 0x100, v0
	s_mov_b32 s20, exec_lo
	s_delay_alu instid0(VALU_DEP_1) | instskip(NEXT) | instid1(VALU_DEP_1)
	v_lshrrev_b32_e32 v2, s16, v2
	v_add_nc_u32_e32 v2, s15, v2
	s_delay_alu instid0(VALU_DEP_1)
	v_cmpx_gt_u32_e64 s19, v2
	s_cbranch_execz .LBB81_17
; %bb.14:
	v_add_nc_u32_e32 v2, s18, v2
	global_load_b32 v2, v2, s[12:13] scale_offset
	s_wait_loadcnt 0x0
	v_ashrrev_i32_e32 v3, 31, v2
	s_delay_alu instid0(VALU_DEP_1) | instskip(SKIP_3) | instid1(VALU_DEP_1)
	v_lshl_add_u64 v[2:3], v[2:3], 2, s[4:5]
	global_load_b64 v[2:3], v[2:3], off
	s_wait_loadcnt 0x0
	v_sub_nc_u32_e32 v3, v3, v2
	v_cmp_lt_u32_e32 vcc_lo, v4, v3
	v_mov_b32_e32 v3, 0
	s_and_saveexec_b32 s21, vcc_lo
	s_cbranch_execz .LBB81_16
; %bb.15:
	v_add_nc_u32_e32 v2, v2, v1
	s_clause 0x1
	global_load_b32 v3, v2, s[6:7] scale_offset
	global_load_i8 v5, v2, s[8:9]
	s_wait_loadcnt 0x1
	s_wait_xcnt 0x0
	v_subrev_nc_u32_e32 v2, s2, v3
	s_wait_loadcnt 0x0
	v_mul_lo_u32 v3, s17, v5
	global_load_i8 v2, v2, s[10:11]
	s_wait_loadcnt 0x0
	v_mul_lo_u32 v3, v3, v2
.LBB81_16:
	s_or_b32 exec_lo, exec_lo, s21
	v_lshlrev_b32_e32 v2, 2, v0
	ds_store_b32 v2, v3 offset:1024
.LBB81_17:
	s_or_b32 exec_lo, exec_lo, s20
	v_or_b32_e32 v2, 0x200, v0
	s_mov_b32 s20, exec_lo
	s_delay_alu instid0(VALU_DEP_1) | instskip(NEXT) | instid1(VALU_DEP_1)
	v_lshrrev_b32_e32 v2, s16, v2
	v_add_nc_u32_e32 v2, s15, v2
	s_delay_alu instid0(VALU_DEP_1)
	v_cmpx_gt_u32_e64 s19, v2
	s_cbranch_execz .LBB81_21
; %bb.18:
	v_add_nc_u32_e32 v2, s18, v2
	global_load_b32 v2, v2, s[12:13] scale_offset
	s_wait_loadcnt 0x0
	v_ashrrev_i32_e32 v3, 31, v2
	s_delay_alu instid0(VALU_DEP_1) | instskip(SKIP_3) | instid1(VALU_DEP_1)
	v_lshl_add_u64 v[2:3], v[2:3], 2, s[4:5]
	global_load_b64 v[2:3], v[2:3], off
	s_wait_loadcnt 0x0
	v_sub_nc_u32_e32 v3, v3, v2
	v_cmp_lt_u32_e32 vcc_lo, v4, v3
	v_mov_b32_e32 v3, 0
	s_and_saveexec_b32 s21, vcc_lo
	s_cbranch_execz .LBB81_20
; %bb.19:
	v_add_nc_u32_e32 v2, v2, v1
	s_clause 0x1
	global_load_b32 v3, v2, s[6:7] scale_offset
	global_load_i8 v5, v2, s[8:9]
	s_wait_loadcnt 0x1
	s_wait_xcnt 0x0
	v_subrev_nc_u32_e32 v2, s2, v3
	s_wait_loadcnt 0x0
	v_mul_lo_u32 v3, s17, v5
	global_load_i8 v2, v2, s[10:11]
	s_wait_loadcnt 0x0
	v_mul_lo_u32 v3, v3, v2
.LBB81_20:
	s_or_b32 exec_lo, exec_lo, s21
	v_lshlrev_b32_e32 v2, 2, v0
	ds_store_b32 v2, v3 offset:2048
.LBB81_21:
	s_or_b32 exec_lo, exec_lo, s20
	;; [unrolled: 41-line block ×3, first 2 shown]
	s_cmp_lt_u32 s16, 11
	s_wait_dscnt 0x0
	s_barrier_signal -1
	s_barrier_wait -1
	s_cbranch_scc0 .LBB81_34
; %bb.26:
	s_sub_co_i32 s2, s19, s15
	s_add_co_i32 s18, s18, s15
	s_cmp_lg_u32 s3, 0
	s_mov_b32 s4, 0
	s_cselect_b32 s5, -1, 0
	s_branch .LBB81_29
.LBB81_27:                              ;   in Loop: Header=BB81_29 Depth=1
	global_store_b32 v[2:3], v1, off
.LBB81_28:                              ;   in Loop: Header=BB81_29 Depth=1
	s_wait_xcnt 0x0
	s_or_b32 exec_lo, exec_lo, s6
	s_addk_co_i32 s4, 0x100
	s_delay_alu instid0(SALU_CYCLE_1)
	s_cmp_lt_u32 s4, s14
	s_cbranch_scc0 .LBB81_34
.LBB81_29:                              ; =>This Loop Header: Depth=1
                                        ;     Child Loop BB81_31 Depth 2
	v_add_nc_u32_e32 v1, s4, v0
	s_mov_b32 s6, exec_lo
	s_delay_alu instid0(VALU_DEP_1)
	v_cmpx_gt_u32_e64 s2, v1
	s_cbranch_execz .LBB81_28
; %bb.30:                               ;   in Loop: Header=BB81_29 Depth=1
	v_dual_add_nc_u32 v2, s18, v1 :: v_dual_lshlrev_b32 v1, s16, v1
	s_mov_b32 s7, 1
	global_load_b32 v2, v2, s[12:13] scale_offset
	v_dual_lshlrev_b32 v3, 2, v1 :: v_dual_mov_b32 v1, 0
.LBB81_31:                              ;   Parent Loop BB81_29 Depth=1
                                        ; =>  This Inner Loop Header: Depth=2
	ds_load_b32 v4, v3
	v_add_nc_u32_e32 v3, 4, v3
	s_lshr_b32 s8, s7, s16
	s_add_co_i32 s7, s7, 1
	s_cmp_lg_u32 s8, 0
	s_wait_dscnt 0x0
	v_add_nc_u32_e32 v1, v4, v1
	s_cbranch_scc0 .LBB81_31
; %bb.32:                               ;   in Loop: Header=BB81_29 Depth=1
	s_wait_loadcnt 0x0
	v_ashrrev_i32_e32 v3, 31, v2
	s_and_b32 vcc_lo, exec_lo, s5
	s_wait_kmcnt 0x0
	s_wait_xcnt 0x0
	s_delay_alu instid0(VALU_DEP_1)
	v_lshl_add_u64 v[2:3], v[2:3], 2, s[0:1]
	s_cbranch_vccz .LBB81_27
; %bb.33:                               ;   in Loop: Header=BB81_29 Depth=1
	global_load_b32 v4, v[2:3], off
	s_wait_loadcnt 0x0
	v_mad_u32 v1, v4, s3, v1
	s_branch .LBB81_27
.LBB81_34:
	s_endpgm
	.section	.rodata,"a",@progbits
	.p2align	6, 0x0
	.amdhsa_kernel _ZN9rocsparseL30csrmvn_lrb_short_rows_2_kernelIiiaaiiEEvbT_PT0_S3_jNS_24const_host_device_scalarIT4_EEPKS1_PKS2_PKT1_PKT2_S6_PT3_21rocsparse_index_base_b
		.amdhsa_group_segment_fixed_size 4096
		.amdhsa_private_segment_fixed_size 0
		.amdhsa_kernarg_size 96
		.amdhsa_user_sgpr_count 2
		.amdhsa_user_sgpr_dispatch_ptr 0
		.amdhsa_user_sgpr_queue_ptr 0
		.amdhsa_user_sgpr_kernarg_segment_ptr 1
		.amdhsa_user_sgpr_dispatch_id 0
		.amdhsa_user_sgpr_kernarg_preload_length 0
		.amdhsa_user_sgpr_kernarg_preload_offset 0
		.amdhsa_user_sgpr_private_segment_size 0
		.amdhsa_wavefront_size32 1
		.amdhsa_uses_dynamic_stack 0
		.amdhsa_enable_private_segment 0
		.amdhsa_system_sgpr_workgroup_id_x 1
		.amdhsa_system_sgpr_workgroup_id_y 0
		.amdhsa_system_sgpr_workgroup_id_z 0
		.amdhsa_system_sgpr_workgroup_info 0
		.amdhsa_system_vgpr_workitem_id 0
		.amdhsa_next_free_vgpr 6
		.amdhsa_next_free_sgpr 22
		.amdhsa_named_barrier_count 0
		.amdhsa_reserve_vcc 1
		.amdhsa_float_round_mode_32 0
		.amdhsa_float_round_mode_16_64 0
		.amdhsa_float_denorm_mode_32 3
		.amdhsa_float_denorm_mode_16_64 3
		.amdhsa_fp16_overflow 0
		.amdhsa_memory_ordered 1
		.amdhsa_forward_progress 1
		.amdhsa_inst_pref_size 12
		.amdhsa_round_robin_scheduling 0
		.amdhsa_exception_fp_ieee_invalid_op 0
		.amdhsa_exception_fp_denorm_src 0
		.amdhsa_exception_fp_ieee_div_zero 0
		.amdhsa_exception_fp_ieee_overflow 0
		.amdhsa_exception_fp_ieee_underflow 0
		.amdhsa_exception_fp_ieee_inexact 0
		.amdhsa_exception_int_div_zero 0
	.end_amdhsa_kernel
	.section	.text._ZN9rocsparseL30csrmvn_lrb_short_rows_2_kernelIiiaaiiEEvbT_PT0_S3_jNS_24const_host_device_scalarIT4_EEPKS1_PKS2_PKT1_PKT2_S6_PT3_21rocsparse_index_base_b,"axG",@progbits,_ZN9rocsparseL30csrmvn_lrb_short_rows_2_kernelIiiaaiiEEvbT_PT0_S3_jNS_24const_host_device_scalarIT4_EEPKS1_PKS2_PKT1_PKT2_S6_PT3_21rocsparse_index_base_b,comdat
.Lfunc_end81:
	.size	_ZN9rocsparseL30csrmvn_lrb_short_rows_2_kernelIiiaaiiEEvbT_PT0_S3_jNS_24const_host_device_scalarIT4_EEPKS1_PKS2_PKT1_PKT2_S6_PT3_21rocsparse_index_base_b, .Lfunc_end81-_ZN9rocsparseL30csrmvn_lrb_short_rows_2_kernelIiiaaiiEEvbT_PT0_S3_jNS_24const_host_device_scalarIT4_EEPKS1_PKS2_PKT1_PKT2_S6_PT3_21rocsparse_index_base_b
                                        ; -- End function
	.set _ZN9rocsparseL30csrmvn_lrb_short_rows_2_kernelIiiaaiiEEvbT_PT0_S3_jNS_24const_host_device_scalarIT4_EEPKS1_PKS2_PKT1_PKT2_S6_PT3_21rocsparse_index_base_b.num_vgpr, 6
	.set _ZN9rocsparseL30csrmvn_lrb_short_rows_2_kernelIiiaaiiEEvbT_PT0_S3_jNS_24const_host_device_scalarIT4_EEPKS1_PKS2_PKT1_PKT2_S6_PT3_21rocsparse_index_base_b.num_agpr, 0
	.set _ZN9rocsparseL30csrmvn_lrb_short_rows_2_kernelIiiaaiiEEvbT_PT0_S3_jNS_24const_host_device_scalarIT4_EEPKS1_PKS2_PKT1_PKT2_S6_PT3_21rocsparse_index_base_b.numbered_sgpr, 22
	.set _ZN9rocsparseL30csrmvn_lrb_short_rows_2_kernelIiiaaiiEEvbT_PT0_S3_jNS_24const_host_device_scalarIT4_EEPKS1_PKS2_PKT1_PKT2_S6_PT3_21rocsparse_index_base_b.num_named_barrier, 0
	.set _ZN9rocsparseL30csrmvn_lrb_short_rows_2_kernelIiiaaiiEEvbT_PT0_S3_jNS_24const_host_device_scalarIT4_EEPKS1_PKS2_PKT1_PKT2_S6_PT3_21rocsparse_index_base_b.private_seg_size, 0
	.set _ZN9rocsparseL30csrmvn_lrb_short_rows_2_kernelIiiaaiiEEvbT_PT0_S3_jNS_24const_host_device_scalarIT4_EEPKS1_PKS2_PKT1_PKT2_S6_PT3_21rocsparse_index_base_b.uses_vcc, 1
	.set _ZN9rocsparseL30csrmvn_lrb_short_rows_2_kernelIiiaaiiEEvbT_PT0_S3_jNS_24const_host_device_scalarIT4_EEPKS1_PKS2_PKT1_PKT2_S6_PT3_21rocsparse_index_base_b.uses_flat_scratch, 0
	.set _ZN9rocsparseL30csrmvn_lrb_short_rows_2_kernelIiiaaiiEEvbT_PT0_S3_jNS_24const_host_device_scalarIT4_EEPKS1_PKS2_PKT1_PKT2_S6_PT3_21rocsparse_index_base_b.has_dyn_sized_stack, 0
	.set _ZN9rocsparseL30csrmvn_lrb_short_rows_2_kernelIiiaaiiEEvbT_PT0_S3_jNS_24const_host_device_scalarIT4_EEPKS1_PKS2_PKT1_PKT2_S6_PT3_21rocsparse_index_base_b.has_recursion, 0
	.set _ZN9rocsparseL30csrmvn_lrb_short_rows_2_kernelIiiaaiiEEvbT_PT0_S3_jNS_24const_host_device_scalarIT4_EEPKS1_PKS2_PKT1_PKT2_S6_PT3_21rocsparse_index_base_b.has_indirect_call, 0
	.section	.AMDGPU.csdata,"",@progbits
; Kernel info:
; codeLenInByte = 1416
; TotalNumSgprs: 24
; NumVgprs: 6
; ScratchSize: 0
; MemoryBound: 0
; FloatMode: 240
; IeeeMode: 1
; LDSByteSize: 4096 bytes/workgroup (compile time only)
; SGPRBlocks: 0
; VGPRBlocks: 0
; NumSGPRsForWavesPerEU: 24
; NumVGPRsForWavesPerEU: 6
; NamedBarCnt: 0
; Occupancy: 16
; WaveLimiterHint : 1
; COMPUTE_PGM_RSRC2:SCRATCH_EN: 0
; COMPUTE_PGM_RSRC2:USER_SGPR: 2
; COMPUTE_PGM_RSRC2:TRAP_HANDLER: 0
; COMPUTE_PGM_RSRC2:TGID_X_EN: 1
; COMPUTE_PGM_RSRC2:TGID_Y_EN: 0
; COMPUTE_PGM_RSRC2:TGID_Z_EN: 0
; COMPUTE_PGM_RSRC2:TIDIG_COMP_CNT: 0
	.section	.text._ZN9rocsparseL41csrmvn_lrb_medium_rows_warp_reduce_kernelILj256ELj32EiiaaiiEEvbT1_lPT2_S3_jNS_24const_host_device_scalarIT6_EEPKS1_PKS2_PKT3_PKT4_S6_PT5_21rocsparse_index_base_b,"axG",@progbits,_ZN9rocsparseL41csrmvn_lrb_medium_rows_warp_reduce_kernelILj256ELj32EiiaaiiEEvbT1_lPT2_S3_jNS_24const_host_device_scalarIT6_EEPKS1_PKS2_PKT3_PKT4_S6_PT5_21rocsparse_index_base_b,comdat
	.globl	_ZN9rocsparseL41csrmvn_lrb_medium_rows_warp_reduce_kernelILj256ELj32EiiaaiiEEvbT1_lPT2_S3_jNS_24const_host_device_scalarIT6_EEPKS1_PKS2_PKT3_PKT4_S6_PT5_21rocsparse_index_base_b ; -- Begin function _ZN9rocsparseL41csrmvn_lrb_medium_rows_warp_reduce_kernelILj256ELj32EiiaaiiEEvbT1_lPT2_S3_jNS_24const_host_device_scalarIT6_EEPKS1_PKS2_PKT3_PKT4_S6_PT5_21rocsparse_index_base_b
	.p2align	8
	.type	_ZN9rocsparseL41csrmvn_lrb_medium_rows_warp_reduce_kernelILj256ELj32EiiaaiiEEvbT1_lPT2_S3_jNS_24const_host_device_scalarIT6_EEPKS1_PKS2_PKT3_PKT4_S6_PT5_21rocsparse_index_base_b,@function
_ZN9rocsparseL41csrmvn_lrb_medium_rows_warp_reduce_kernelILj256ELj32EiiaaiiEEvbT1_lPT2_S3_jNS_24const_host_device_scalarIT6_EEPKS1_PKS2_PKT3_PKT4_S6_PT5_21rocsparse_index_base_b: ; @_ZN9rocsparseL41csrmvn_lrb_medium_rows_warp_reduce_kernelILj256ELj32EiiaaiiEEvbT1_lPT2_S3_jNS_24const_host_device_scalarIT6_EEPKS1_PKS2_PKT3_PKT4_S6_PT5_21rocsparse_index_base_b
; %bb.0:
	s_clause 0x1
	s_load_b64 s[2:3], s[0:1], 0x60
	s_load_b64 s[6:7], s[0:1], 0x28
	s_mov_b32 s8, -1
                                        ; implicit-def: $sgpr10
	s_wait_kmcnt 0x0
	s_bitcmp1_b32 s3, 0
	s_cselect_b32 s3, -1, 0
	s_delay_alu instid0(SALU_CYCLE_1) | instskip(NEXT) | instid1(SALU_CYCLE_1)
	s_xor_b32 s3, s3, -1
	s_and_b32 vcc_lo, exec_lo, s3
	s_cbranch_vccnz .LBB82_4
; %bb.1:
	s_load_b64 s[4:5], s[0:1], 0x50
	s_and_not1_b32 vcc_lo, exec_lo, s8
	s_cbranch_vccz .LBB82_5
.LBB82_2:
	s_and_b32 vcc_lo, exec_lo, s3
	s_cbranch_vccz .LBB82_6
.LBB82_3:
	s_wait_kmcnt 0x0
	s_load_b32 s3, s[4:5], 0x0
	s_wait_xcnt 0x0
	s_cbranch_execz .LBB82_7
	s_branch .LBB82_8
.LBB82_4:
	s_load_b32 s10, s[6:7], 0x0
	s_load_b64 s[4:5], s[0:1], 0x50
	s_cbranch_execnz .LBB82_2
.LBB82_5:
	s_wait_kmcnt 0x0
	s_mov_b32 s10, s6
	s_and_b32 vcc_lo, exec_lo, s3
	s_cbranch_vccnz .LBB82_3
.LBB82_6:
	s_wait_kmcnt 0x0
                                        ; implicit-def: $sgpr3
.LBB82_7:
	s_wait_kmcnt 0x0
	s_mov_b32 s3, s4
.LBB82_8:
	s_cmp_lg_u32 s10, 0
	s_cselect_b32 s4, -1, 0
	s_wait_kmcnt 0x0
	s_cmp_lg_u32 s3, 1
	s_cselect_b32 s5, -1, 0
	s_delay_alu instid0(SALU_CYCLE_1) | instskip(NEXT) | instid1(SALU_CYCLE_1)
	s_or_b32 s4, s4, s5
	s_and_not1_b32 vcc_lo, exec_lo, s4
	s_cbranch_vccnz .LBB82_26
; %bb.9:
	s_bfe_u32 s6, ttmp6, 0x4000c
	s_load_b64 s[4:5], s[0:1], 0x8
	s_add_co_i32 s6, s6, 1
	s_and_b32 s7, ttmp6, 15
	s_mul_i32 s6, ttmp9, s6
	s_getreg_b32 s8, hwreg(HW_REG_IB_STS2, 6, 4)
	v_lshrrev_b32_e32 v1, 5, v0
	s_add_co_i32 s7, s7, s6
	s_cmp_eq_u32 s8, 0
	s_cselect_b32 s6, ttmp9, s7
	s_delay_alu instid0(VALU_DEP_1) | instid1(SALU_CYCLE_1)
	v_lshl_or_b32 v2, s6, 3, v1
	s_delay_alu instid0(VALU_DEP_1) | instskip(SKIP_1) | instid1(VALU_DEP_1)
	v_ashrrev_i32_e32 v3, 31, v2
	s_wait_kmcnt 0x0
	v_cmp_gt_i64_e32 vcc_lo, s[4:5], v[2:3]
	s_and_saveexec_b32 s4, vcc_lo
	s_cbranch_execz .LBB82_26
; %bb.10:
	s_clause 0x1
	s_load_b128 s[4:7], s[0:1], 0x10
	s_load_b32 s8, s[0:1], 0x20
	s_mov_b32 s11, exec_lo
	s_wait_kmcnt 0x0
	s_load_b32 s6, s[6:7], s8 offset:0x0 scale_offset
	s_wait_kmcnt 0x0
	v_add_nc_u32_e32 v1, s6, v2
	global_load_b32 v2, v1, s[4:5] scale_offset
	s_wait_xcnt 0x0
	s_load_b64 s[4:5], s[0:1], 0x30
	s_wait_loadcnt 0x0
	v_dual_mov_b32 v1, 0 :: v_dual_ashrrev_i32 v3, 31, v2
	s_wait_kmcnt 0x0
	s_delay_alu instid0(VALU_DEP_1) | instskip(SKIP_2) | instid1(VALU_DEP_1)
	v_lshl_add_u64 v[4:5], v[2:3], 2, s[4:5]
	global_load_b64 v[4:5], v[4:5], off
	v_and_b32_e32 v6, 31, v0
	v_subrev_nc_u32_e32 v0, s2, v6
	s_wait_loadcnt 0x0
	v_subrev_nc_u32_e32 v7, s2, v5
	s_delay_alu instid0(VALU_DEP_2) | instskip(NEXT) | instid1(VALU_DEP_1)
	v_add_nc_u32_e32 v0, v4, v0
	v_cmpx_lt_i32_e64 v0, v7
	s_cbranch_execz .LBB82_22
; %bb.11:
	v_add_nc_u32_e32 v1, v4, v6
	v_not_b32_e32 v4, v4
	s_clause 0x1
	s_load_b128 s[4:7], s[0:1], 0x38
	s_load_b64 s[8:9], s[0:1], 0x48
	s_mov_b32 s13, exec_lo
	v_subrev_nc_u32_e32 v1, s2, v1
	s_delay_alu instid0(VALU_DEP_1) | instskip(NEXT) | instid1(VALU_DEP_1)
	v_add_max_i32_e64 v1, v1, 32, v7
	v_add3_u32 v1, s2, v1, v4
	s_delay_alu instid0(VALU_DEP_1) | instskip(NEXT) | instid1(VALU_DEP_1)
	v_dual_mov_b32 v1, 0 :: v_dual_sub_nc_u32 v4, v1, v6
	v_cmp_gt_u32_e64 s12, 0x1e0, v4
	v_cmpx_lt_u32_e32 0x1df, v4
	s_cbranch_execz .LBB82_17
; %bb.12:
	v_and_b32_e32 v1, 0xffffffe0, v4
	s_mov_b32 s15, -1
	s_delay_alu instid0(VALU_DEP_1) | instskip(NEXT) | instid1(VALU_DEP_1)
	v_add_nc_u32_e32 v1, v0, v1
	v_cmp_ge_i32_e32 vcc_lo, v1, v0
	v_mov_b32_e32 v1, 0
	s_and_saveexec_b32 s14, vcc_lo
	s_cbranch_execz .LBB82_16
; %bb.13:
	v_dual_mov_b32 v10, 0 :: v_dual_lshrrev_b32 v1, 5, v4
	s_mov_b32 s15, s10
	s_mov_b32 s17, s2
	;; [unrolled: 1-line block ×3, first 2 shown]
	s_delay_alu instid0(VALU_DEP_1) | instskip(NEXT) | instid1(VALU_DEP_1)
	v_dual_add_nc_u32 v8, 1, v1 :: v_dual_add_nc_u32 v1, 32, v0
	v_and_b32_e32 v9, 0xffffffe, v8
	s_delay_alu instid0(VALU_DEP_2) | instskip(NEXT) | instid1(VALU_DEP_2)
	v_mov_b64_e32 v[4:5], v[0:1]
	v_dual_mov_b32 v11, 0 :: v_dual_mov_b32 v12, v9
.LBB82_14:                              ; =>This Inner Loop Header: Depth=1
	s_wait_kmcnt 0x0
	s_clause 0x1
	global_load_b32 v1, v5, s[4:5] scale_offset
	global_load_b32 v13, v4, s[4:5] scale_offset
	s_clause 0x1
	global_load_i8 v14, v5, s[6:7]
	global_load_i8 v15, v4, s[6:7]
	s_wait_xcnt 0x1
	v_dual_add_nc_u32 v12, -2, v12 :: v_dual_add_nc_u32 v5, 64, v5
	s_wait_xcnt 0x0
	v_add_nc_u32_e32 v4, 64, v4
	s_delay_alu instid0(VALU_DEP_2)
	v_cmp_eq_u32_e32 vcc_lo, 0, v12
	s_or_b32 s16, vcc_lo, s16
	s_wait_loadcnt 0x3
	v_subrev_nc_u32_e32 v1, s17, v1
	s_wait_loadcnt 0x2
	v_subrev_nc_u32_e32 v13, s2, v13
	s_clause 0x1
	global_load_i8 v16, v1, s[8:9]
	global_load_i8 v17, v13, s[8:9]
	s_wait_loadcnt 0x3
	s_wait_xcnt 0x1
	v_mul_lo_u32 v1, s15, v14
	s_wait_loadcnt 0x2
	s_wait_xcnt 0x0
	v_mul_lo_u32 v13, s10, v15
	s_wait_loadcnt 0x1
	s_delay_alu instid0(VALU_DEP_2) | instskip(SKIP_1) | instid1(VALU_DEP_2)
	v_mad_u32 v11, v1, v16, v11
	s_wait_loadcnt 0x0
	v_mad_u32 v10, v13, v17, v10
	s_and_not1_b32 exec_lo, exec_lo, s16
	s_cbranch_execnz .LBB82_14
; %bb.15:
	s_or_b32 exec_lo, exec_lo, s16
	v_cmp_ne_u32_e32 vcc_lo, v8, v9
	v_lshl_add_u32 v0, v9, 5, v0
	s_delay_alu instid0(VALU_DEP_3)
	v_add_nc_u32_e32 v1, v10, v11
	s_or_not1_b32 s15, vcc_lo, exec_lo
.LBB82_16:
	s_or_b32 exec_lo, exec_lo, s14
	s_delay_alu instid0(SALU_CYCLE_1) | instskip(SKIP_1) | instid1(SALU_CYCLE_1)
	s_and_not1_b32 s12, s12, exec_lo
	s_and_b32 s14, s15, exec_lo
	s_or_b32 s12, s12, s14
.LBB82_17:
	s_or_b32 exec_lo, exec_lo, s13
	s_and_saveexec_b32 s13, s12
	s_cbranch_execz .LBB82_21
; %bb.18:
	s_mov_b32 s12, 0
.LBB82_19:                              ; =>This Inner Loop Header: Depth=1
	s_wait_kmcnt 0x0
	s_clause 0x1
	global_load_b32 v4, v0, s[4:5] scale_offset
	global_load_i8 v5, v0, s[6:7]
	s_wait_xcnt 0x0
	v_add_nc_u32_e32 v0, 32, v0
	s_delay_alu instid0(VALU_DEP_1)
	v_cmp_ge_i32_e32 vcc_lo, v0, v7
	s_or_b32 s12, vcc_lo, s12
	s_wait_loadcnt 0x1
	v_subrev_nc_u32_e32 v4, s2, v4
	s_wait_loadcnt 0x0
	v_mul_lo_u32 v5, s10, v5
	global_load_i8 v4, v4, s[8:9]
	s_wait_loadcnt 0x0
	v_mad_u32 v1, v5, v4, v1
	s_and_not1_b32 exec_lo, exec_lo, s12
	s_cbranch_execnz .LBB82_19
; %bb.20:
	s_or_b32 exec_lo, exec_lo, s12
.LBB82_21:
	s_delay_alu instid0(SALU_CYCLE_1)
	s_or_b32 exec_lo, exec_lo, s13
.LBB82_22:
	s_delay_alu instid0(SALU_CYCLE_1) | instskip(SKIP_1) | instid1(VALU_DEP_1)
	s_or_b32 exec_lo, exec_lo, s11
	v_mbcnt_lo_u32_b32 v0, -1, 0
	v_xor_b32_e32 v5, 8, v0
	v_xor_b32_e32 v4, 16, v0
	s_delay_alu instid0(VALU_DEP_1) | instskip(SKIP_1) | instid1(VALU_DEP_4)
	v_cmp_gt_i32_e32 vcc_lo, 32, v4
	v_cndmask_b32_e32 v4, v0, v4, vcc_lo
	v_cmp_gt_i32_e32 vcc_lo, 32, v5
	v_cndmask_b32_e32 v5, v0, v5, vcc_lo
	s_delay_alu instid0(VALU_DEP_1)
	v_dual_lshlrev_b32 v5, 2, v5 :: v_dual_lshlrev_b32 v4, 2, v4
	ds_bpermute_b32 v4, v4, v1
	s_wait_dscnt 0x0
	v_add_nc_u32_e32 v1, v4, v1
	ds_bpermute_b32 v4, v5, v1
	s_wait_dscnt 0x0
	v_dual_add_nc_u32 v1, v4, v1 :: v_dual_bitop2_b32 v5, 4, v0 bitop3:0x14
	s_delay_alu instid0(VALU_DEP_1) | instskip(SKIP_1) | instid1(VALU_DEP_1)
	v_cmp_gt_i32_e32 vcc_lo, 32, v5
	v_cndmask_b32_e32 v5, v0, v5, vcc_lo
	v_lshlrev_b32_e32 v5, 2, v5
	ds_bpermute_b32 v4, v5, v1
	s_wait_dscnt 0x0
	v_dual_add_nc_u32 v1, v4, v1 :: v_dual_bitop2_b32 v5, 2, v0 bitop3:0x14
	s_delay_alu instid0(VALU_DEP_1) | instskip(SKIP_1) | instid1(VALU_DEP_1)
	v_cmp_gt_i32_e32 vcc_lo, 32, v5
	v_cndmask_b32_e32 v5, v0, v5, vcc_lo
	v_lshlrev_b32_e32 v5, 2, v5
	ds_bpermute_b32 v4, v5, v1
	v_xor_b32_e32 v5, 1, v0
	s_delay_alu instid0(VALU_DEP_1) | instskip(SKIP_4) | instid1(VALU_DEP_3)
	v_cmp_gt_i32_e32 vcc_lo, 32, v5
	v_cndmask_b32_e32 v5, v0, v5, vcc_lo
	v_cmp_eq_u32_e32 vcc_lo, 31, v6
	s_wait_dscnt 0x0
	v_add_nc_u32_e32 v0, v4, v1
	v_lshlrev_b32_e32 v1, 2, v5
	ds_bpermute_b32 v1, v1, v0
	s_and_b32 exec_lo, exec_lo, vcc_lo
	s_cbranch_execz .LBB82_26
; %bb.23:
	s_wait_xcnt 0x0
	s_load_b64 s[0:1], s[0:1], 0x58
	s_wait_dscnt 0x0
	v_add_nc_u32_e32 v4, v1, v0
	s_cmp_eq_u32 s3, 0
	s_wait_kmcnt 0x0
	v_lshl_add_u64 v[0:1], v[2:3], 2, s[0:1]
	s_cbranch_scc1 .LBB82_25
; %bb.24:
	global_load_b32 v2, v[0:1], off
	s_wait_loadcnt 0x0
	v_mad_u32 v4, v2, s3, v4
.LBB82_25:
	global_store_b32 v[0:1], v4, off
.LBB82_26:
	s_endpgm
	.section	.rodata,"a",@progbits
	.p2align	6, 0x0
	.amdhsa_kernel _ZN9rocsparseL41csrmvn_lrb_medium_rows_warp_reduce_kernelILj256ELj32EiiaaiiEEvbT1_lPT2_S3_jNS_24const_host_device_scalarIT6_EEPKS1_PKS2_PKT3_PKT4_S6_PT5_21rocsparse_index_base_b
		.amdhsa_group_segment_fixed_size 0
		.amdhsa_private_segment_fixed_size 0
		.amdhsa_kernarg_size 104
		.amdhsa_user_sgpr_count 2
		.amdhsa_user_sgpr_dispatch_ptr 0
		.amdhsa_user_sgpr_queue_ptr 0
		.amdhsa_user_sgpr_kernarg_segment_ptr 1
		.amdhsa_user_sgpr_dispatch_id 0
		.amdhsa_user_sgpr_kernarg_preload_length 0
		.amdhsa_user_sgpr_kernarg_preload_offset 0
		.amdhsa_user_sgpr_private_segment_size 0
		.amdhsa_wavefront_size32 1
		.amdhsa_uses_dynamic_stack 0
		.amdhsa_enable_private_segment 0
		.amdhsa_system_sgpr_workgroup_id_x 1
		.amdhsa_system_sgpr_workgroup_id_y 0
		.amdhsa_system_sgpr_workgroup_id_z 0
		.amdhsa_system_sgpr_workgroup_info 0
		.amdhsa_system_vgpr_workitem_id 0
		.amdhsa_next_free_vgpr 18
		.amdhsa_next_free_sgpr 18
		.amdhsa_named_barrier_count 0
		.amdhsa_reserve_vcc 1
		.amdhsa_float_round_mode_32 0
		.amdhsa_float_round_mode_16_64 0
		.amdhsa_float_denorm_mode_32 3
		.amdhsa_float_denorm_mode_16_64 3
		.amdhsa_fp16_overflow 0
		.amdhsa_memory_ordered 1
		.amdhsa_forward_progress 1
		.amdhsa_inst_pref_size 11
		.amdhsa_round_robin_scheduling 0
		.amdhsa_exception_fp_ieee_invalid_op 0
		.amdhsa_exception_fp_denorm_src 0
		.amdhsa_exception_fp_ieee_div_zero 0
		.amdhsa_exception_fp_ieee_overflow 0
		.amdhsa_exception_fp_ieee_underflow 0
		.amdhsa_exception_fp_ieee_inexact 0
		.amdhsa_exception_int_div_zero 0
	.end_amdhsa_kernel
	.section	.text._ZN9rocsparseL41csrmvn_lrb_medium_rows_warp_reduce_kernelILj256ELj32EiiaaiiEEvbT1_lPT2_S3_jNS_24const_host_device_scalarIT6_EEPKS1_PKS2_PKT3_PKT4_S6_PT5_21rocsparse_index_base_b,"axG",@progbits,_ZN9rocsparseL41csrmvn_lrb_medium_rows_warp_reduce_kernelILj256ELj32EiiaaiiEEvbT1_lPT2_S3_jNS_24const_host_device_scalarIT6_EEPKS1_PKS2_PKT3_PKT4_S6_PT5_21rocsparse_index_base_b,comdat
.Lfunc_end82:
	.size	_ZN9rocsparseL41csrmvn_lrb_medium_rows_warp_reduce_kernelILj256ELj32EiiaaiiEEvbT1_lPT2_S3_jNS_24const_host_device_scalarIT6_EEPKS1_PKS2_PKT3_PKT4_S6_PT5_21rocsparse_index_base_b, .Lfunc_end82-_ZN9rocsparseL41csrmvn_lrb_medium_rows_warp_reduce_kernelILj256ELj32EiiaaiiEEvbT1_lPT2_S3_jNS_24const_host_device_scalarIT6_EEPKS1_PKS2_PKT3_PKT4_S6_PT5_21rocsparse_index_base_b
                                        ; -- End function
	.set _ZN9rocsparseL41csrmvn_lrb_medium_rows_warp_reduce_kernelILj256ELj32EiiaaiiEEvbT1_lPT2_S3_jNS_24const_host_device_scalarIT6_EEPKS1_PKS2_PKT3_PKT4_S6_PT5_21rocsparse_index_base_b.num_vgpr, 18
	.set _ZN9rocsparseL41csrmvn_lrb_medium_rows_warp_reduce_kernelILj256ELj32EiiaaiiEEvbT1_lPT2_S3_jNS_24const_host_device_scalarIT6_EEPKS1_PKS2_PKT3_PKT4_S6_PT5_21rocsparse_index_base_b.num_agpr, 0
	.set _ZN9rocsparseL41csrmvn_lrb_medium_rows_warp_reduce_kernelILj256ELj32EiiaaiiEEvbT1_lPT2_S3_jNS_24const_host_device_scalarIT6_EEPKS1_PKS2_PKT3_PKT4_S6_PT5_21rocsparse_index_base_b.numbered_sgpr, 18
	.set _ZN9rocsparseL41csrmvn_lrb_medium_rows_warp_reduce_kernelILj256ELj32EiiaaiiEEvbT1_lPT2_S3_jNS_24const_host_device_scalarIT6_EEPKS1_PKS2_PKT3_PKT4_S6_PT5_21rocsparse_index_base_b.num_named_barrier, 0
	.set _ZN9rocsparseL41csrmvn_lrb_medium_rows_warp_reduce_kernelILj256ELj32EiiaaiiEEvbT1_lPT2_S3_jNS_24const_host_device_scalarIT6_EEPKS1_PKS2_PKT3_PKT4_S6_PT5_21rocsparse_index_base_b.private_seg_size, 0
	.set _ZN9rocsparseL41csrmvn_lrb_medium_rows_warp_reduce_kernelILj256ELj32EiiaaiiEEvbT1_lPT2_S3_jNS_24const_host_device_scalarIT6_EEPKS1_PKS2_PKT3_PKT4_S6_PT5_21rocsparse_index_base_b.uses_vcc, 1
	.set _ZN9rocsparseL41csrmvn_lrb_medium_rows_warp_reduce_kernelILj256ELj32EiiaaiiEEvbT1_lPT2_S3_jNS_24const_host_device_scalarIT6_EEPKS1_PKS2_PKT3_PKT4_S6_PT5_21rocsparse_index_base_b.uses_flat_scratch, 0
	.set _ZN9rocsparseL41csrmvn_lrb_medium_rows_warp_reduce_kernelILj256ELj32EiiaaiiEEvbT1_lPT2_S3_jNS_24const_host_device_scalarIT6_EEPKS1_PKS2_PKT3_PKT4_S6_PT5_21rocsparse_index_base_b.has_dyn_sized_stack, 0
	.set _ZN9rocsparseL41csrmvn_lrb_medium_rows_warp_reduce_kernelILj256ELj32EiiaaiiEEvbT1_lPT2_S3_jNS_24const_host_device_scalarIT6_EEPKS1_PKS2_PKT3_PKT4_S6_PT5_21rocsparse_index_base_b.has_recursion, 0
	.set _ZN9rocsparseL41csrmvn_lrb_medium_rows_warp_reduce_kernelILj256ELj32EiiaaiiEEvbT1_lPT2_S3_jNS_24const_host_device_scalarIT6_EEPKS1_PKS2_PKT3_PKT4_S6_PT5_21rocsparse_index_base_b.has_indirect_call, 0
	.section	.AMDGPU.csdata,"",@progbits
; Kernel info:
; codeLenInByte = 1284
; TotalNumSgprs: 20
; NumVgprs: 18
; ScratchSize: 0
; MemoryBound: 0
; FloatMode: 240
; IeeeMode: 1
; LDSByteSize: 0 bytes/workgroup (compile time only)
; SGPRBlocks: 0
; VGPRBlocks: 1
; NumSGPRsForWavesPerEU: 20
; NumVGPRsForWavesPerEU: 18
; NamedBarCnt: 0
; Occupancy: 16
; WaveLimiterHint : 1
; COMPUTE_PGM_RSRC2:SCRATCH_EN: 0
; COMPUTE_PGM_RSRC2:USER_SGPR: 2
; COMPUTE_PGM_RSRC2:TRAP_HANDLER: 0
; COMPUTE_PGM_RSRC2:TGID_X_EN: 1
; COMPUTE_PGM_RSRC2:TGID_Y_EN: 0
; COMPUTE_PGM_RSRC2:TGID_Z_EN: 0
; COMPUTE_PGM_RSRC2:TIDIG_COMP_CNT: 0
	.section	.text._ZN9rocsparseL41csrmvn_lrb_medium_rows_warp_reduce_kernelILj256ELj64EiiaaiiEEvbT1_lPT2_S3_jNS_24const_host_device_scalarIT6_EEPKS1_PKS2_PKT3_PKT4_S6_PT5_21rocsparse_index_base_b,"axG",@progbits,_ZN9rocsparseL41csrmvn_lrb_medium_rows_warp_reduce_kernelILj256ELj64EiiaaiiEEvbT1_lPT2_S3_jNS_24const_host_device_scalarIT6_EEPKS1_PKS2_PKT3_PKT4_S6_PT5_21rocsparse_index_base_b,comdat
	.globl	_ZN9rocsparseL41csrmvn_lrb_medium_rows_warp_reduce_kernelILj256ELj64EiiaaiiEEvbT1_lPT2_S3_jNS_24const_host_device_scalarIT6_EEPKS1_PKS2_PKT3_PKT4_S6_PT5_21rocsparse_index_base_b ; -- Begin function _ZN9rocsparseL41csrmvn_lrb_medium_rows_warp_reduce_kernelILj256ELj64EiiaaiiEEvbT1_lPT2_S3_jNS_24const_host_device_scalarIT6_EEPKS1_PKS2_PKT3_PKT4_S6_PT5_21rocsparse_index_base_b
	.p2align	8
	.type	_ZN9rocsparseL41csrmvn_lrb_medium_rows_warp_reduce_kernelILj256ELj64EiiaaiiEEvbT1_lPT2_S3_jNS_24const_host_device_scalarIT6_EEPKS1_PKS2_PKT3_PKT4_S6_PT5_21rocsparse_index_base_b,@function
_ZN9rocsparseL41csrmvn_lrb_medium_rows_warp_reduce_kernelILj256ELj64EiiaaiiEEvbT1_lPT2_S3_jNS_24const_host_device_scalarIT6_EEPKS1_PKS2_PKT3_PKT4_S6_PT5_21rocsparse_index_base_b: ; @_ZN9rocsparseL41csrmvn_lrb_medium_rows_warp_reduce_kernelILj256ELj64EiiaaiiEEvbT1_lPT2_S3_jNS_24const_host_device_scalarIT6_EEPKS1_PKS2_PKT3_PKT4_S6_PT5_21rocsparse_index_base_b
; %bb.0:
	s_clause 0x1
	s_load_b64 s[2:3], s[0:1], 0x60
	s_load_b64 s[6:7], s[0:1], 0x28
	s_mov_b32 s8, -1
                                        ; implicit-def: $sgpr10
	s_wait_kmcnt 0x0
	s_bitcmp1_b32 s3, 0
	s_cselect_b32 s3, -1, 0
	s_delay_alu instid0(SALU_CYCLE_1) | instskip(NEXT) | instid1(SALU_CYCLE_1)
	s_xor_b32 s3, s3, -1
	s_and_b32 vcc_lo, exec_lo, s3
	s_cbranch_vccnz .LBB83_4
; %bb.1:
	s_load_b64 s[4:5], s[0:1], 0x50
	s_and_not1_b32 vcc_lo, exec_lo, s8
	s_cbranch_vccz .LBB83_5
.LBB83_2:
	s_and_b32 vcc_lo, exec_lo, s3
	s_cbranch_vccz .LBB83_6
.LBB83_3:
	s_wait_kmcnt 0x0
	s_load_b32 s3, s[4:5], 0x0
	s_wait_xcnt 0x0
	s_cbranch_execz .LBB83_7
	s_branch .LBB83_8
.LBB83_4:
	s_load_b32 s10, s[6:7], 0x0
	s_load_b64 s[4:5], s[0:1], 0x50
	s_cbranch_execnz .LBB83_2
.LBB83_5:
	s_wait_kmcnt 0x0
	s_mov_b32 s10, s6
	s_and_b32 vcc_lo, exec_lo, s3
	s_cbranch_vccnz .LBB83_3
.LBB83_6:
	s_wait_kmcnt 0x0
                                        ; implicit-def: $sgpr3
.LBB83_7:
	s_wait_kmcnt 0x0
	s_mov_b32 s3, s4
.LBB83_8:
	s_cmp_lg_u32 s10, 0
	s_cselect_b32 s4, -1, 0
	s_wait_kmcnt 0x0
	s_cmp_lg_u32 s3, 1
	s_cselect_b32 s5, -1, 0
	s_delay_alu instid0(SALU_CYCLE_1) | instskip(NEXT) | instid1(SALU_CYCLE_1)
	s_or_b32 s4, s4, s5
	s_and_not1_b32 vcc_lo, exec_lo, s4
	s_cbranch_vccnz .LBB83_26
; %bb.9:
	s_bfe_u32 s6, ttmp6, 0x4000c
	s_load_b64 s[4:5], s[0:1], 0x8
	s_add_co_i32 s6, s6, 1
	s_and_b32 s7, ttmp6, 15
	s_mul_i32 s6, ttmp9, s6
	s_getreg_b32 s8, hwreg(HW_REG_IB_STS2, 6, 4)
	v_lshrrev_b32_e32 v1, 6, v0
	s_add_co_i32 s7, s7, s6
	s_cmp_eq_u32 s8, 0
	s_cselect_b32 s6, ttmp9, s7
	s_delay_alu instid0(VALU_DEP_1) | instid1(SALU_CYCLE_1)
	v_lshl_or_b32 v2, s6, 2, v1
	s_delay_alu instid0(VALU_DEP_1) | instskip(SKIP_1) | instid1(VALU_DEP_1)
	v_ashrrev_i32_e32 v3, 31, v2
	s_wait_kmcnt 0x0
	v_cmp_gt_i64_e32 vcc_lo, s[4:5], v[2:3]
	s_and_saveexec_b32 s4, vcc_lo
	s_cbranch_execz .LBB83_26
; %bb.10:
	s_clause 0x1
	s_load_b128 s[4:7], s[0:1], 0x10
	s_load_b32 s8, s[0:1], 0x20
	s_mov_b32 s11, exec_lo
	s_wait_kmcnt 0x0
	s_load_b32 s6, s[6:7], s8 offset:0x0 scale_offset
	s_wait_kmcnt 0x0
	v_add_nc_u32_e32 v1, s6, v2
	global_load_b32 v2, v1, s[4:5] scale_offset
	s_wait_xcnt 0x0
	s_load_b64 s[4:5], s[0:1], 0x30
	s_wait_loadcnt 0x0
	v_dual_mov_b32 v1, 0 :: v_dual_ashrrev_i32 v3, 31, v2
	s_wait_kmcnt 0x0
	s_delay_alu instid0(VALU_DEP_1) | instskip(SKIP_2) | instid1(VALU_DEP_1)
	v_lshl_add_u64 v[4:5], v[2:3], 2, s[4:5]
	global_load_b64 v[4:5], v[4:5], off
	v_and_b32_e32 v6, 63, v0
	v_subrev_nc_u32_e32 v0, s2, v6
	s_wait_loadcnt 0x0
	v_subrev_nc_u32_e32 v7, s2, v5
	s_delay_alu instid0(VALU_DEP_2) | instskip(NEXT) | instid1(VALU_DEP_1)
	v_add_nc_u32_e32 v0, v4, v0
	v_cmpx_lt_i32_e64 v0, v7
	s_cbranch_execz .LBB83_22
; %bb.11:
	v_add_nc_u32_e32 v1, v4, v6
	v_not_b32_e32 v4, v4
	s_clause 0x1
	s_load_b128 s[4:7], s[0:1], 0x38
	s_load_b64 s[8:9], s[0:1], 0x48
	s_mov_b32 s13, exec_lo
	v_subrev_nc_u32_e32 v1, s2, v1
	s_delay_alu instid0(VALU_DEP_1) | instskip(NEXT) | instid1(VALU_DEP_1)
	v_add_max_i32_e64 v1, v1, 64, v7
	v_add3_u32 v1, s2, v1, v4
	s_delay_alu instid0(VALU_DEP_1) | instskip(NEXT) | instid1(VALU_DEP_1)
	v_dual_mov_b32 v1, 0 :: v_dual_sub_nc_u32 v4, v1, v6
	v_cmp_gt_u32_e64 s12, 0x3c0, v4
	v_cmpx_lt_u32_e32 0x3bf, v4
	s_cbranch_execz .LBB83_17
; %bb.12:
	v_and_b32_e32 v1, 0xffffffc0, v4
	s_mov_b32 s15, -1
	s_delay_alu instid0(VALU_DEP_1) | instskip(NEXT) | instid1(VALU_DEP_1)
	v_add_nc_u32_e32 v1, v0, v1
	v_cmp_ge_i32_e32 vcc_lo, v1, v0
	v_mov_b32_e32 v1, 0
	s_and_saveexec_b32 s14, vcc_lo
	s_cbranch_execz .LBB83_16
; %bb.13:
	v_dual_mov_b32 v10, 0 :: v_dual_lshrrev_b32 v1, 6, v4
	s_mov_b32 s15, s10
	s_mov_b32 s17, s2
	s_mov_b32 s16, 0
	s_delay_alu instid0(VALU_DEP_1) | instskip(NEXT) | instid1(VALU_DEP_1)
	v_dual_add_nc_u32 v8, 1, v1 :: v_dual_add_nc_u32 v1, 64, v0
	v_and_b32_e32 v9, 0x7fffffe, v8
	s_delay_alu instid0(VALU_DEP_2) | instskip(NEXT) | instid1(VALU_DEP_2)
	v_mov_b64_e32 v[4:5], v[0:1]
	v_dual_mov_b32 v11, 0 :: v_dual_mov_b32 v12, v9
.LBB83_14:                              ; =>This Inner Loop Header: Depth=1
	s_wait_kmcnt 0x0
	s_clause 0x1
	global_load_b32 v1, v5, s[4:5] scale_offset
	global_load_b32 v13, v4, s[4:5] scale_offset
	s_clause 0x1
	global_load_i8 v14, v5, s[6:7]
	global_load_i8 v15, v4, s[6:7]
	v_add_nc_u32_e32 v12, -2, v12
	s_wait_xcnt 0x1
	v_add_nc_u32_e32 v5, 0x80, v5
	s_wait_xcnt 0x0
	v_add_nc_u32_e32 v4, 0x80, v4
	v_cmp_eq_u32_e32 vcc_lo, 0, v12
	s_or_b32 s16, vcc_lo, s16
	s_wait_loadcnt 0x3
	v_subrev_nc_u32_e32 v1, s17, v1
	s_wait_loadcnt 0x2
	v_subrev_nc_u32_e32 v13, s2, v13
	s_clause 0x1
	global_load_i8 v16, v1, s[8:9]
	global_load_i8 v17, v13, s[8:9]
	s_wait_loadcnt 0x3
	s_wait_xcnt 0x1
	v_mul_lo_u32 v1, s15, v14
	s_wait_loadcnt 0x2
	s_wait_xcnt 0x0
	v_mul_lo_u32 v13, s10, v15
	s_wait_loadcnt 0x1
	s_delay_alu instid0(VALU_DEP_2) | instskip(SKIP_1) | instid1(VALU_DEP_2)
	v_mad_u32 v11, v1, v16, v11
	s_wait_loadcnt 0x0
	v_mad_u32 v10, v13, v17, v10
	s_and_not1_b32 exec_lo, exec_lo, s16
	s_cbranch_execnz .LBB83_14
; %bb.15:
	s_or_b32 exec_lo, exec_lo, s16
	v_cmp_ne_u32_e32 vcc_lo, v8, v9
	v_lshl_add_u32 v0, v9, 6, v0
	s_delay_alu instid0(VALU_DEP_3)
	v_add_nc_u32_e32 v1, v10, v11
	s_or_not1_b32 s15, vcc_lo, exec_lo
.LBB83_16:
	s_or_b32 exec_lo, exec_lo, s14
	s_delay_alu instid0(SALU_CYCLE_1) | instskip(SKIP_1) | instid1(SALU_CYCLE_1)
	s_and_not1_b32 s12, s12, exec_lo
	s_and_b32 s14, s15, exec_lo
	s_or_b32 s12, s12, s14
.LBB83_17:
	s_or_b32 exec_lo, exec_lo, s13
	s_and_saveexec_b32 s13, s12
	s_cbranch_execz .LBB83_21
; %bb.18:
	s_mov_b32 s12, 0
.LBB83_19:                              ; =>This Inner Loop Header: Depth=1
	s_wait_kmcnt 0x0
	s_clause 0x1
	global_load_b32 v4, v0, s[4:5] scale_offset
	global_load_i8 v5, v0, s[6:7]
	s_wait_xcnt 0x0
	v_add_nc_u32_e32 v0, 64, v0
	s_delay_alu instid0(VALU_DEP_1)
	v_cmp_ge_i32_e32 vcc_lo, v0, v7
	s_or_b32 s12, vcc_lo, s12
	s_wait_loadcnt 0x1
	v_subrev_nc_u32_e32 v4, s2, v4
	s_wait_loadcnt 0x0
	v_mul_lo_u32 v5, s10, v5
	global_load_i8 v4, v4, s[8:9]
	s_wait_loadcnt 0x0
	v_mad_u32 v1, v5, v4, v1
	s_and_not1_b32 exec_lo, exec_lo, s12
	s_cbranch_execnz .LBB83_19
; %bb.20:
	s_or_b32 exec_lo, exec_lo, s12
.LBB83_21:
	s_delay_alu instid0(SALU_CYCLE_1)
	s_or_b32 exec_lo, exec_lo, s13
.LBB83_22:
	s_delay_alu instid0(SALU_CYCLE_1) | instskip(SKIP_1) | instid1(VALU_DEP_1)
	s_or_b32 exec_lo, exec_lo, s11
	v_mbcnt_lo_u32_b32 v0, -1, 0
	v_xor_b32_e32 v5, 16, v0
	v_or_b32_e32 v4, 32, v0
	s_delay_alu instid0(VALU_DEP_1) | instskip(SKIP_1) | instid1(VALU_DEP_4)
	v_cmp_gt_i32_e32 vcc_lo, 32, v4
	v_cndmask_b32_e32 v4, v0, v4, vcc_lo
	v_cmp_gt_i32_e32 vcc_lo, 32, v5
	v_cndmask_b32_e32 v5, v0, v5, vcc_lo
	s_delay_alu instid0(VALU_DEP_1)
	v_dual_lshlrev_b32 v5, 2, v5 :: v_dual_lshlrev_b32 v4, 2, v4
	ds_bpermute_b32 v4, v4, v1
	s_wait_dscnt 0x0
	v_add_nc_u32_e32 v1, v4, v1
	ds_bpermute_b32 v4, v5, v1
	s_wait_dscnt 0x0
	v_dual_add_nc_u32 v1, v4, v1 :: v_dual_bitop2_b32 v5, 8, v0 bitop3:0x14
	s_delay_alu instid0(VALU_DEP_1) | instskip(SKIP_1) | instid1(VALU_DEP_1)
	v_cmp_gt_i32_e32 vcc_lo, 32, v5
	v_cndmask_b32_e32 v5, v0, v5, vcc_lo
	v_lshlrev_b32_e32 v5, 2, v5
	ds_bpermute_b32 v4, v5, v1
	s_wait_dscnt 0x0
	v_dual_add_nc_u32 v1, v4, v1 :: v_dual_bitop2_b32 v5, 4, v0 bitop3:0x14
	s_delay_alu instid0(VALU_DEP_1) | instskip(SKIP_1) | instid1(VALU_DEP_1)
	v_cmp_gt_i32_e32 vcc_lo, 32, v5
	v_cndmask_b32_e32 v5, v0, v5, vcc_lo
	v_lshlrev_b32_e32 v5, 2, v5
	;; [unrolled: 7-line block ×3, first 2 shown]
	ds_bpermute_b32 v4, v5, v1
	v_xor_b32_e32 v5, 1, v0
	s_delay_alu instid0(VALU_DEP_1) | instskip(SKIP_4) | instid1(VALU_DEP_3)
	v_cmp_gt_i32_e32 vcc_lo, 32, v5
	v_cndmask_b32_e32 v5, v0, v5, vcc_lo
	v_cmp_eq_u32_e32 vcc_lo, 63, v6
	s_wait_dscnt 0x0
	v_add_nc_u32_e32 v0, v4, v1
	v_lshlrev_b32_e32 v1, 2, v5
	ds_bpermute_b32 v1, v1, v0
	s_and_b32 exec_lo, exec_lo, vcc_lo
	s_cbranch_execz .LBB83_26
; %bb.23:
	s_wait_xcnt 0x0
	s_load_b64 s[0:1], s[0:1], 0x58
	s_wait_dscnt 0x0
	v_add_nc_u32_e32 v4, v1, v0
	s_cmp_eq_u32 s3, 0
	s_wait_kmcnt 0x0
	v_lshl_add_u64 v[0:1], v[2:3], 2, s[0:1]
	s_cbranch_scc1 .LBB83_25
; %bb.24:
	global_load_b32 v2, v[0:1], off
	s_wait_loadcnt 0x0
	v_mad_u32 v4, v2, s3, v4
.LBB83_25:
	global_store_b32 v[0:1], v4, off
.LBB83_26:
	s_endpgm
	.section	.rodata,"a",@progbits
	.p2align	6, 0x0
	.amdhsa_kernel _ZN9rocsparseL41csrmvn_lrb_medium_rows_warp_reduce_kernelILj256ELj64EiiaaiiEEvbT1_lPT2_S3_jNS_24const_host_device_scalarIT6_EEPKS1_PKS2_PKT3_PKT4_S6_PT5_21rocsparse_index_base_b
		.amdhsa_group_segment_fixed_size 0
		.amdhsa_private_segment_fixed_size 0
		.amdhsa_kernarg_size 104
		.amdhsa_user_sgpr_count 2
		.amdhsa_user_sgpr_dispatch_ptr 0
		.amdhsa_user_sgpr_queue_ptr 0
		.amdhsa_user_sgpr_kernarg_segment_ptr 1
		.amdhsa_user_sgpr_dispatch_id 0
		.amdhsa_user_sgpr_kernarg_preload_length 0
		.amdhsa_user_sgpr_kernarg_preload_offset 0
		.amdhsa_user_sgpr_private_segment_size 0
		.amdhsa_wavefront_size32 1
		.amdhsa_uses_dynamic_stack 0
		.amdhsa_enable_private_segment 0
		.amdhsa_system_sgpr_workgroup_id_x 1
		.amdhsa_system_sgpr_workgroup_id_y 0
		.amdhsa_system_sgpr_workgroup_id_z 0
		.amdhsa_system_sgpr_workgroup_info 0
		.amdhsa_system_vgpr_workitem_id 0
		.amdhsa_next_free_vgpr 18
		.amdhsa_next_free_sgpr 18
		.amdhsa_named_barrier_count 0
		.amdhsa_reserve_vcc 1
		.amdhsa_float_round_mode_32 0
		.amdhsa_float_round_mode_16_64 0
		.amdhsa_float_denorm_mode_32 3
		.amdhsa_float_denorm_mode_16_64 3
		.amdhsa_fp16_overflow 0
		.amdhsa_memory_ordered 1
		.amdhsa_forward_progress 1
		.amdhsa_inst_pref_size 11
		.amdhsa_round_robin_scheduling 0
		.amdhsa_exception_fp_ieee_invalid_op 0
		.amdhsa_exception_fp_denorm_src 0
		.amdhsa_exception_fp_ieee_div_zero 0
		.amdhsa_exception_fp_ieee_overflow 0
		.amdhsa_exception_fp_ieee_underflow 0
		.amdhsa_exception_fp_ieee_inexact 0
		.amdhsa_exception_int_div_zero 0
	.end_amdhsa_kernel
	.section	.text._ZN9rocsparseL41csrmvn_lrb_medium_rows_warp_reduce_kernelILj256ELj64EiiaaiiEEvbT1_lPT2_S3_jNS_24const_host_device_scalarIT6_EEPKS1_PKS2_PKT3_PKT4_S6_PT5_21rocsparse_index_base_b,"axG",@progbits,_ZN9rocsparseL41csrmvn_lrb_medium_rows_warp_reduce_kernelILj256ELj64EiiaaiiEEvbT1_lPT2_S3_jNS_24const_host_device_scalarIT6_EEPKS1_PKS2_PKT3_PKT4_S6_PT5_21rocsparse_index_base_b,comdat
.Lfunc_end83:
	.size	_ZN9rocsparseL41csrmvn_lrb_medium_rows_warp_reduce_kernelILj256ELj64EiiaaiiEEvbT1_lPT2_S3_jNS_24const_host_device_scalarIT6_EEPKS1_PKS2_PKT3_PKT4_S6_PT5_21rocsparse_index_base_b, .Lfunc_end83-_ZN9rocsparseL41csrmvn_lrb_medium_rows_warp_reduce_kernelILj256ELj64EiiaaiiEEvbT1_lPT2_S3_jNS_24const_host_device_scalarIT6_EEPKS1_PKS2_PKT3_PKT4_S6_PT5_21rocsparse_index_base_b
                                        ; -- End function
	.set _ZN9rocsparseL41csrmvn_lrb_medium_rows_warp_reduce_kernelILj256ELj64EiiaaiiEEvbT1_lPT2_S3_jNS_24const_host_device_scalarIT6_EEPKS1_PKS2_PKT3_PKT4_S6_PT5_21rocsparse_index_base_b.num_vgpr, 18
	.set _ZN9rocsparseL41csrmvn_lrb_medium_rows_warp_reduce_kernelILj256ELj64EiiaaiiEEvbT1_lPT2_S3_jNS_24const_host_device_scalarIT6_EEPKS1_PKS2_PKT3_PKT4_S6_PT5_21rocsparse_index_base_b.num_agpr, 0
	.set _ZN9rocsparseL41csrmvn_lrb_medium_rows_warp_reduce_kernelILj256ELj64EiiaaiiEEvbT1_lPT2_S3_jNS_24const_host_device_scalarIT6_EEPKS1_PKS2_PKT3_PKT4_S6_PT5_21rocsparse_index_base_b.numbered_sgpr, 18
	.set _ZN9rocsparseL41csrmvn_lrb_medium_rows_warp_reduce_kernelILj256ELj64EiiaaiiEEvbT1_lPT2_S3_jNS_24const_host_device_scalarIT6_EEPKS1_PKS2_PKT3_PKT4_S6_PT5_21rocsparse_index_base_b.num_named_barrier, 0
	.set _ZN9rocsparseL41csrmvn_lrb_medium_rows_warp_reduce_kernelILj256ELj64EiiaaiiEEvbT1_lPT2_S3_jNS_24const_host_device_scalarIT6_EEPKS1_PKS2_PKT3_PKT4_S6_PT5_21rocsparse_index_base_b.private_seg_size, 0
	.set _ZN9rocsparseL41csrmvn_lrb_medium_rows_warp_reduce_kernelILj256ELj64EiiaaiiEEvbT1_lPT2_S3_jNS_24const_host_device_scalarIT6_EEPKS1_PKS2_PKT3_PKT4_S6_PT5_21rocsparse_index_base_b.uses_vcc, 1
	.set _ZN9rocsparseL41csrmvn_lrb_medium_rows_warp_reduce_kernelILj256ELj64EiiaaiiEEvbT1_lPT2_S3_jNS_24const_host_device_scalarIT6_EEPKS1_PKS2_PKT3_PKT4_S6_PT5_21rocsparse_index_base_b.uses_flat_scratch, 0
	.set _ZN9rocsparseL41csrmvn_lrb_medium_rows_warp_reduce_kernelILj256ELj64EiiaaiiEEvbT1_lPT2_S3_jNS_24const_host_device_scalarIT6_EEPKS1_PKS2_PKT3_PKT4_S6_PT5_21rocsparse_index_base_b.has_dyn_sized_stack, 0
	.set _ZN9rocsparseL41csrmvn_lrb_medium_rows_warp_reduce_kernelILj256ELj64EiiaaiiEEvbT1_lPT2_S3_jNS_24const_host_device_scalarIT6_EEPKS1_PKS2_PKT3_PKT4_S6_PT5_21rocsparse_index_base_b.has_recursion, 0
	.set _ZN9rocsparseL41csrmvn_lrb_medium_rows_warp_reduce_kernelILj256ELj64EiiaaiiEEvbT1_lPT2_S3_jNS_24const_host_device_scalarIT6_EEPKS1_PKS2_PKT3_PKT4_S6_PT5_21rocsparse_index_base_b.has_indirect_call, 0
	.section	.AMDGPU.csdata,"",@progbits
; Kernel info:
; codeLenInByte = 1324
; TotalNumSgprs: 20
; NumVgprs: 18
; ScratchSize: 0
; MemoryBound: 0
; FloatMode: 240
; IeeeMode: 1
; LDSByteSize: 0 bytes/workgroup (compile time only)
; SGPRBlocks: 0
; VGPRBlocks: 1
; NumSGPRsForWavesPerEU: 20
; NumVGPRsForWavesPerEU: 18
; NamedBarCnt: 0
; Occupancy: 16
; WaveLimiterHint : 1
; COMPUTE_PGM_RSRC2:SCRATCH_EN: 0
; COMPUTE_PGM_RSRC2:USER_SGPR: 2
; COMPUTE_PGM_RSRC2:TRAP_HANDLER: 0
; COMPUTE_PGM_RSRC2:TGID_X_EN: 1
; COMPUTE_PGM_RSRC2:TGID_Y_EN: 0
; COMPUTE_PGM_RSRC2:TGID_Z_EN: 0
; COMPUTE_PGM_RSRC2:TIDIG_COMP_CNT: 0
	.section	.text._ZN9rocsparseL29csrmvn_lrb_medium_rows_kernelILj256EiiaaiiEEvbT0_PT1_S3_jNS_24const_host_device_scalarIT5_EEPKS1_PKS2_PKT2_PKT3_S6_PT4_21rocsparse_index_base_b,"axG",@progbits,_ZN9rocsparseL29csrmvn_lrb_medium_rows_kernelILj256EiiaaiiEEvbT0_PT1_S3_jNS_24const_host_device_scalarIT5_EEPKS1_PKS2_PKT2_PKT3_S6_PT4_21rocsparse_index_base_b,comdat
	.globl	_ZN9rocsparseL29csrmvn_lrb_medium_rows_kernelILj256EiiaaiiEEvbT0_PT1_S3_jNS_24const_host_device_scalarIT5_EEPKS1_PKS2_PKT2_PKT3_S6_PT4_21rocsparse_index_base_b ; -- Begin function _ZN9rocsparseL29csrmvn_lrb_medium_rows_kernelILj256EiiaaiiEEvbT0_PT1_S3_jNS_24const_host_device_scalarIT5_EEPKS1_PKS2_PKT2_PKT3_S6_PT4_21rocsparse_index_base_b
	.p2align	8
	.type	_ZN9rocsparseL29csrmvn_lrb_medium_rows_kernelILj256EiiaaiiEEvbT0_PT1_S3_jNS_24const_host_device_scalarIT5_EEPKS1_PKS2_PKT2_PKT3_S6_PT4_21rocsparse_index_base_b,@function
_ZN9rocsparseL29csrmvn_lrb_medium_rows_kernelILj256EiiaaiiEEvbT0_PT1_S3_jNS_24const_host_device_scalarIT5_EEPKS1_PKS2_PKT2_PKT3_S6_PT4_21rocsparse_index_base_b: ; @_ZN9rocsparseL29csrmvn_lrb_medium_rows_kernelILj256EiiaaiiEEvbT0_PT1_S3_jNS_24const_host_device_scalarIT5_EEPKS1_PKS2_PKT2_PKT3_S6_PT4_21rocsparse_index_base_b
; %bb.0:
	s_clause 0x1
	s_load_b64 s[8:9], s[0:1], 0x58
	s_load_b64 s[4:5], s[0:1], 0x20
	s_mov_b32 s7, -1
                                        ; implicit-def: $sgpr14
	s_wait_kmcnt 0x0
	s_bitcmp1_b32 s9, 0
	s_cselect_b32 s2, -1, 0
	s_delay_alu instid0(SALU_CYCLE_1) | instskip(NEXT) | instid1(SALU_CYCLE_1)
	s_xor_b32 s6, s2, -1
	s_and_b32 vcc_lo, exec_lo, s6
	s_cbranch_vccnz .LBB84_4
; %bb.1:
	s_load_b64 s[2:3], s[0:1], 0x48
	s_and_not1_b32 vcc_lo, exec_lo, s7
	s_cbranch_vccz .LBB84_5
.LBB84_2:
	s_and_b32 vcc_lo, exec_lo, s6
	s_cbranch_vccz .LBB84_6
.LBB84_3:
	s_wait_kmcnt 0x0
	s_load_b32 s9, s[2:3], 0x0
	s_wait_xcnt 0x0
	s_cbranch_execz .LBB84_7
	s_branch .LBB84_8
.LBB84_4:
	s_load_b32 s14, s[4:5], 0x0
	s_load_b64 s[2:3], s[0:1], 0x48
	s_cbranch_execnz .LBB84_2
.LBB84_5:
	s_wait_kmcnt 0x0
	s_mov_b32 s14, s4
	s_and_b32 vcc_lo, exec_lo, s6
	s_cbranch_vccnz .LBB84_3
.LBB84_6:
	s_wait_kmcnt 0x0
                                        ; implicit-def: $sgpr9
.LBB84_7:
	s_wait_kmcnt 0x0
	s_mov_b32 s9, s2
.LBB84_8:
	s_cmp_lg_u32 s14, 0
	s_cselect_b32 s2, -1, 0
	s_wait_kmcnt 0x0
	s_cmp_lg_u32 s9, 1
	s_cselect_b32 s3, -1, 0
	s_delay_alu instid0(SALU_CYCLE_1) | instskip(NEXT) | instid1(SALU_CYCLE_1)
	s_or_b32 s2, s2, s3
	s_and_not1_b32 vcc_lo, exec_lo, s2
	s_cbranch_vccnz .LBB84_41
; %bb.9:
	s_clause 0x1
	s_load_b128 s[4:7], s[0:1], 0x8
	s_load_b32 s2, s[0:1], 0x18
	s_bfe_u32 s3, ttmp6, 0x4000c
	v_subrev_nc_u32_e32 v1, s8, v0
	s_add_co_i32 s3, s3, 1
	v_mov_b32_e32 v3, 0
	s_mul_i32 s3, ttmp9, s3
	s_wait_kmcnt 0x0
	s_load_b32 s2, s[6:7], s2 offset:0x0 scale_offset
	s_wait_xcnt 0x0
	s_and_b32 s6, ttmp6, 15
	s_getreg_b32 s7, hwreg(HW_REG_IB_STS2, 6, 4)
	s_add_co_i32 s6, s6, s3
	s_cmp_eq_u32 s7, 0
	s_cselect_b32 s3, ttmp9, s6
	s_wait_kmcnt 0x0
	s_add_co_i32 s2, s2, s3
	s_delay_alu instid0(SALU_CYCLE_1) | instskip(NEXT) | instid1(SALU_CYCLE_1)
	s_ashr_i32 s3, s2, 31
	s_lshl_b64 s[2:3], s[2:3], 2
	s_delay_alu instid0(SALU_CYCLE_1) | instskip(SKIP_4) | instid1(SALU_CYCLE_1)
	s_add_nc_u64 s[2:3], s[4:5], s[2:3]
	s_load_b32 s4, s[2:3], 0x0
	s_load_b64 s[6:7], s[0:1], 0x28
	s_wait_kmcnt 0x0
	s_ashr_i32 s5, s4, 31
	s_lshl_b64 s[2:3], s[4:5], 2
	s_delay_alu instid0(SALU_CYCLE_1)
	s_add_nc_u64 s[4:5], s[6:7], s[2:3]
	s_load_b64 s[12:13], s[4:5], 0x0
	s_wait_kmcnt 0x0
	v_add_nc_u32_e32 v2, s12, v1
	s_sub_co_i32 s15, s13, s8
	s_mov_b32 s13, exec_lo
	s_delay_alu instid0(VALU_DEP_1)
	v_cmpx_gt_i32_e64 s15, v2
	s_cbranch_execz .LBB84_21
; %bb.10:
	v_add_nc_u32_e32 v1, s12, v0
	v_not_b32_e32 v3, v0
	s_clause 0x1
	s_load_b128 s[4:7], s[0:1], 0x30
	s_load_b64 s[10:11], s[0:1], 0x40
	s_mov_b32 s16, exec_lo
	v_subrev_nc_u32_e32 v1, s8, v1
	s_delay_alu instid0(VALU_DEP_1) | instskip(NEXT) | instid1(VALU_DEP_1)
	v_add_max_i32_e64 v1, 0x100, v1, s15
	v_add3_u32 v1, s8, v1, v3
	v_mov_b32_e32 v3, 0
	s_delay_alu instid0(VALU_DEP_2) | instskip(NEXT) | instid1(VALU_DEP_1)
	v_subrev_nc_u32_e32 v1, s12, v1
	v_cmp_gt_u32_e64 s12, 0xf00, v1
	v_cmpx_lt_u32_e32 0xeff, v1
	s_cbranch_execz .LBB84_16
; %bb.11:
	v_and_b32_e32 v3, 0xffffff00, v1
	s_mov_b32 s18, -1
	s_delay_alu instid0(VALU_DEP_1) | instskip(NEXT) | instid1(VALU_DEP_1)
	v_add_nc_u32_e32 v3, v2, v3
	v_cmp_ge_i32_e32 vcc_lo, v3, v2
	v_mov_b32_e32 v3, 0
	s_and_saveexec_b32 s17, vcc_lo
	s_cbranch_execz .LBB84_15
; %bb.12:
	v_dual_lshrrev_b32 v1, 8, v1 :: v_dual_mov_b32 v7, 0
	v_add_nc_u32_e32 v3, 0x100, v2
	s_mov_b32 s18, s14
	s_mov_b32 s20, s8
	s_delay_alu instid0(VALU_DEP_2) | instskip(NEXT) | instid1(VALU_DEP_2)
	v_dual_mov_b32 v8, 0 :: v_dual_add_nc_u32 v1, 1, v1
	v_mov_b64_e32 v[4:5], v[2:3]
	s_mov_b32 s19, 0
	s_delay_alu instid0(VALU_DEP_2) | instskip(NEXT) | instid1(VALU_DEP_1)
	v_and_b32_e32 v6, 0x1fffffe, v1
	v_mov_b32_e32 v9, v6
.LBB84_13:                              ; =>This Inner Loop Header: Depth=1
	s_wait_kmcnt 0x0
	s_clause 0x1
	global_load_b32 v3, v5, s[4:5] scale_offset
	global_load_b32 v10, v4, s[4:5] scale_offset
	s_clause 0x1
	global_load_i8 v11, v5, s[6:7]
	global_load_i8 v12, v4, s[6:7]
	v_add_nc_u32_e32 v9, -2, v9
	s_wait_xcnt 0x1
	v_add_nc_u32_e32 v5, 0x200, v5
	s_wait_xcnt 0x0
	v_add_nc_u32_e32 v4, 0x200, v4
	v_cmp_eq_u32_e32 vcc_lo, 0, v9
	s_or_b32 s19, vcc_lo, s19
	s_wait_loadcnt 0x3
	v_subrev_nc_u32_e32 v3, s20, v3
	s_wait_loadcnt 0x2
	v_subrev_nc_u32_e32 v10, s8, v10
	s_clause 0x1
	global_load_i8 v13, v3, s[10:11]
	global_load_i8 v14, v10, s[10:11]
	s_wait_loadcnt 0x3
	s_wait_xcnt 0x1
	v_mul_lo_u32 v3, s18, v11
	s_wait_loadcnt 0x2
	s_wait_xcnt 0x0
	v_mul_lo_u32 v10, s14, v12
	s_wait_loadcnt 0x1
	s_delay_alu instid0(VALU_DEP_2) | instskip(SKIP_1) | instid1(VALU_DEP_2)
	v_mad_u32 v8, v3, v13, v8
	s_wait_loadcnt 0x0
	v_mad_u32 v7, v10, v14, v7
	s_and_not1_b32 exec_lo, exec_lo, s19
	s_cbranch_execnz .LBB84_13
; %bb.14:
	s_or_b32 exec_lo, exec_lo, s19
	v_cmp_ne_u32_e32 vcc_lo, v1, v6
	v_lshl_add_u32 v2, v6, 8, v2
	s_delay_alu instid0(VALU_DEP_3)
	v_add_nc_u32_e32 v3, v7, v8
	s_or_not1_b32 s18, vcc_lo, exec_lo
.LBB84_15:
	s_or_b32 exec_lo, exec_lo, s17
	s_delay_alu instid0(SALU_CYCLE_1) | instskip(SKIP_1) | instid1(SALU_CYCLE_1)
	s_and_not1_b32 s12, s12, exec_lo
	s_and_b32 s17, s18, exec_lo
	s_or_b32 s12, s12, s17
.LBB84_16:
	s_or_b32 exec_lo, exec_lo, s16
	s_and_saveexec_b32 s16, s12
	s_cbranch_execz .LBB84_20
; %bb.17:
	s_mov_b32 s12, 0
.LBB84_18:                              ; =>This Inner Loop Header: Depth=1
	s_wait_kmcnt 0x0
	s_clause 0x1
	global_load_b32 v1, v2, s[4:5] scale_offset
	global_load_i8 v4, v2, s[6:7]
	s_wait_xcnt 0x0
	v_add_nc_u32_e32 v2, 0x100, v2
	s_delay_alu instid0(VALU_DEP_1)
	v_cmp_le_i32_e32 vcc_lo, s15, v2
	s_or_b32 s12, vcc_lo, s12
	s_wait_loadcnt 0x1
	v_subrev_nc_u32_e32 v1, s8, v1
	s_wait_loadcnt 0x0
	v_mul_lo_u32 v4, s14, v4
	global_load_i8 v1, v1, s[10:11]
	s_wait_loadcnt 0x0
	v_mad_u32 v3, v4, v1, v3
	s_and_not1_b32 exec_lo, exec_lo, s12
	s_cbranch_execnz .LBB84_18
; %bb.19:
	s_or_b32 exec_lo, exec_lo, s12
.LBB84_20:
	s_delay_alu instid0(SALU_CYCLE_1)
	s_or_b32 exec_lo, exec_lo, s16
.LBB84_21:
	s_delay_alu instid0(SALU_CYCLE_1)
	s_or_b32 exec_lo, exec_lo, s13
	v_lshlrev_b32_e32 v1, 2, v0
	s_wait_kmcnt 0x0
	s_mov_b32 s4, exec_lo
	ds_store_b32 v1, v3
	s_wait_dscnt 0x0
	s_barrier_signal -1
	s_barrier_wait -1
	v_cmpx_gt_u32_e32 0x80, v0
	s_cbranch_execz .LBB84_23
; %bb.22:
	ds_load_2addr_stride64_b32 v[2:3], v1 offset1:2
	s_wait_dscnt 0x0
	v_add_nc_u32_e32 v2, v3, v2
	ds_store_b32 v1, v2
.LBB84_23:
	s_or_b32 exec_lo, exec_lo, s4
	s_delay_alu instid0(SALU_CYCLE_1)
	s_mov_b32 s4, exec_lo
	s_wait_dscnt 0x0
	s_barrier_signal -1
	s_barrier_wait -1
	v_cmpx_gt_u32_e32 64, v0
	s_cbranch_execz .LBB84_25
; %bb.24:
	ds_load_2addr_stride64_b32 v[2:3], v1 offset1:1
	s_wait_dscnt 0x0
	v_add_nc_u32_e32 v2, v3, v2
	ds_store_b32 v1, v2
.LBB84_25:
	s_or_b32 exec_lo, exec_lo, s4
	s_delay_alu instid0(SALU_CYCLE_1)
	s_mov_b32 s4, exec_lo
	s_wait_dscnt 0x0
	s_barrier_signal -1
	s_barrier_wait -1
	v_cmpx_gt_u32_e32 32, v0
	s_cbranch_execz .LBB84_27
; %bb.26:
	ds_load_2addr_b32 v[2:3], v1 offset1:32
	s_wait_dscnt 0x0
	v_add_nc_u32_e32 v2, v3, v2
	ds_store_b32 v1, v2
.LBB84_27:
	s_or_b32 exec_lo, exec_lo, s4
	s_delay_alu instid0(SALU_CYCLE_1)
	s_mov_b32 s4, exec_lo
	s_wait_dscnt 0x0
	s_barrier_signal -1
	s_barrier_wait -1
	v_cmpx_gt_u32_e32 16, v0
	s_cbranch_execz .LBB84_29
; %bb.28:
	ds_load_2addr_b32 v[2:3], v1 offset1:16
	s_wait_dscnt 0x0
	v_add_nc_u32_e32 v2, v3, v2
	ds_store_b32 v1, v2
.LBB84_29:
	;; [unrolled: 14-line block ×5, first 2 shown]
	s_or_b32 exec_lo, exec_lo, s4
	v_cmp_eq_u32_e32 vcc_lo, 0, v0
	s_wait_dscnt 0x0
	s_barrier_signal -1
	s_barrier_wait -1
	s_and_saveexec_b32 s4, vcc_lo
	s_cbranch_execz .LBB84_37
; %bb.36:
	v_mov_b32_e32 v2, 0
	ds_load_b64 v[0:1], v2
	s_wait_dscnt 0x0
	v_add_nc_u32_e32 v0, v1, v0
	ds_store_b32 v2, v0
.LBB84_37:
	s_or_b32 exec_lo, exec_lo, s4
	s_wait_dscnt 0x0
	s_barrier_signal -1
	s_barrier_wait -1
	s_and_saveexec_b32 s4, vcc_lo
	s_cbranch_execz .LBB84_41
; %bb.38:
	v_mov_b32_e32 v0, 0
	s_load_b64 s[0:1], s[0:1], 0x50
	s_cmp_eq_u32 s9, 0
	ds_load_b32 v1, v0
	s_cbranch_scc1 .LBB84_40
; %bb.39:
	s_wait_kmcnt 0x0
	s_add_nc_u64 s[4:5], s[0:1], s[2:3]
	s_load_b32 s4, s[4:5], 0x0
	s_wait_kmcnt 0x0
	s_mul_i32 s4, s4, s9
	s_wait_dscnt 0x0
	v_add_nc_u32_e32 v1, s4, v1
.LBB84_40:
	s_wait_kmcnt 0x0
	s_add_nc_u64 s[0:1], s[0:1], s[2:3]
	s_wait_dscnt 0x0
	global_store_b32 v0, v1, s[0:1]
.LBB84_41:
	s_endpgm
	.section	.rodata,"a",@progbits
	.p2align	6, 0x0
	.amdhsa_kernel _ZN9rocsparseL29csrmvn_lrb_medium_rows_kernelILj256EiiaaiiEEvbT0_PT1_S3_jNS_24const_host_device_scalarIT5_EEPKS1_PKS2_PKT2_PKT3_S6_PT4_21rocsparse_index_base_b
		.amdhsa_group_segment_fixed_size 1024
		.amdhsa_private_segment_fixed_size 0
		.amdhsa_kernarg_size 96
		.amdhsa_user_sgpr_count 2
		.amdhsa_user_sgpr_dispatch_ptr 0
		.amdhsa_user_sgpr_queue_ptr 0
		.amdhsa_user_sgpr_kernarg_segment_ptr 1
		.amdhsa_user_sgpr_dispatch_id 0
		.amdhsa_user_sgpr_kernarg_preload_length 0
		.amdhsa_user_sgpr_kernarg_preload_offset 0
		.amdhsa_user_sgpr_private_segment_size 0
		.amdhsa_wavefront_size32 1
		.amdhsa_uses_dynamic_stack 0
		.amdhsa_enable_private_segment 0
		.amdhsa_system_sgpr_workgroup_id_x 1
		.amdhsa_system_sgpr_workgroup_id_y 0
		.amdhsa_system_sgpr_workgroup_id_z 0
		.amdhsa_system_sgpr_workgroup_info 0
		.amdhsa_system_vgpr_workitem_id 0
		.amdhsa_next_free_vgpr 15
		.amdhsa_next_free_sgpr 21
		.amdhsa_named_barrier_count 0
		.amdhsa_reserve_vcc 1
		.amdhsa_float_round_mode_32 0
		.amdhsa_float_round_mode_16_64 0
		.amdhsa_float_denorm_mode_32 3
		.amdhsa_float_denorm_mode_16_64 3
		.amdhsa_fp16_overflow 0
		.amdhsa_memory_ordered 1
		.amdhsa_forward_progress 1
		.amdhsa_inst_pref_size 12
		.amdhsa_round_robin_scheduling 0
		.amdhsa_exception_fp_ieee_invalid_op 0
		.amdhsa_exception_fp_denorm_src 0
		.amdhsa_exception_fp_ieee_div_zero 0
		.amdhsa_exception_fp_ieee_overflow 0
		.amdhsa_exception_fp_ieee_underflow 0
		.amdhsa_exception_fp_ieee_inexact 0
		.amdhsa_exception_int_div_zero 0
	.end_amdhsa_kernel
	.section	.text._ZN9rocsparseL29csrmvn_lrb_medium_rows_kernelILj256EiiaaiiEEvbT0_PT1_S3_jNS_24const_host_device_scalarIT5_EEPKS1_PKS2_PKT2_PKT3_S6_PT4_21rocsparse_index_base_b,"axG",@progbits,_ZN9rocsparseL29csrmvn_lrb_medium_rows_kernelILj256EiiaaiiEEvbT0_PT1_S3_jNS_24const_host_device_scalarIT5_EEPKS1_PKS2_PKT2_PKT3_S6_PT4_21rocsparse_index_base_b,comdat
.Lfunc_end84:
	.size	_ZN9rocsparseL29csrmvn_lrb_medium_rows_kernelILj256EiiaaiiEEvbT0_PT1_S3_jNS_24const_host_device_scalarIT5_EEPKS1_PKS2_PKT2_PKT3_S6_PT4_21rocsparse_index_base_b, .Lfunc_end84-_ZN9rocsparseL29csrmvn_lrb_medium_rows_kernelILj256EiiaaiiEEvbT0_PT1_S3_jNS_24const_host_device_scalarIT5_EEPKS1_PKS2_PKT2_PKT3_S6_PT4_21rocsparse_index_base_b
                                        ; -- End function
	.set _ZN9rocsparseL29csrmvn_lrb_medium_rows_kernelILj256EiiaaiiEEvbT0_PT1_S3_jNS_24const_host_device_scalarIT5_EEPKS1_PKS2_PKT2_PKT3_S6_PT4_21rocsparse_index_base_b.num_vgpr, 15
	.set _ZN9rocsparseL29csrmvn_lrb_medium_rows_kernelILj256EiiaaiiEEvbT0_PT1_S3_jNS_24const_host_device_scalarIT5_EEPKS1_PKS2_PKT2_PKT3_S6_PT4_21rocsparse_index_base_b.num_agpr, 0
	.set _ZN9rocsparseL29csrmvn_lrb_medium_rows_kernelILj256EiiaaiiEEvbT0_PT1_S3_jNS_24const_host_device_scalarIT5_EEPKS1_PKS2_PKT2_PKT3_S6_PT4_21rocsparse_index_base_b.numbered_sgpr, 21
	.set _ZN9rocsparseL29csrmvn_lrb_medium_rows_kernelILj256EiiaaiiEEvbT0_PT1_S3_jNS_24const_host_device_scalarIT5_EEPKS1_PKS2_PKT2_PKT3_S6_PT4_21rocsparse_index_base_b.num_named_barrier, 0
	.set _ZN9rocsparseL29csrmvn_lrb_medium_rows_kernelILj256EiiaaiiEEvbT0_PT1_S3_jNS_24const_host_device_scalarIT5_EEPKS1_PKS2_PKT2_PKT3_S6_PT4_21rocsparse_index_base_b.private_seg_size, 0
	.set _ZN9rocsparseL29csrmvn_lrb_medium_rows_kernelILj256EiiaaiiEEvbT0_PT1_S3_jNS_24const_host_device_scalarIT5_EEPKS1_PKS2_PKT2_PKT3_S6_PT4_21rocsparse_index_base_b.uses_vcc, 1
	.set _ZN9rocsparseL29csrmvn_lrb_medium_rows_kernelILj256EiiaaiiEEvbT0_PT1_S3_jNS_24const_host_device_scalarIT5_EEPKS1_PKS2_PKT2_PKT3_S6_PT4_21rocsparse_index_base_b.uses_flat_scratch, 0
	.set _ZN9rocsparseL29csrmvn_lrb_medium_rows_kernelILj256EiiaaiiEEvbT0_PT1_S3_jNS_24const_host_device_scalarIT5_EEPKS1_PKS2_PKT2_PKT3_S6_PT4_21rocsparse_index_base_b.has_dyn_sized_stack, 0
	.set _ZN9rocsparseL29csrmvn_lrb_medium_rows_kernelILj256EiiaaiiEEvbT0_PT1_S3_jNS_24const_host_device_scalarIT5_EEPKS1_PKS2_PKT2_PKT3_S6_PT4_21rocsparse_index_base_b.has_recursion, 0
	.set _ZN9rocsparseL29csrmvn_lrb_medium_rows_kernelILj256EiiaaiiEEvbT0_PT1_S3_jNS_24const_host_device_scalarIT5_EEPKS1_PKS2_PKT2_PKT3_S6_PT4_21rocsparse_index_base_b.has_indirect_call, 0
	.section	.AMDGPU.csdata,"",@progbits
; Kernel info:
; codeLenInByte = 1536
; TotalNumSgprs: 23
; NumVgprs: 15
; ScratchSize: 0
; MemoryBound: 0
; FloatMode: 240
; IeeeMode: 1
; LDSByteSize: 1024 bytes/workgroup (compile time only)
; SGPRBlocks: 0
; VGPRBlocks: 0
; NumSGPRsForWavesPerEU: 23
; NumVGPRsForWavesPerEU: 15
; NamedBarCnt: 0
; Occupancy: 16
; WaveLimiterHint : 1
; COMPUTE_PGM_RSRC2:SCRATCH_EN: 0
; COMPUTE_PGM_RSRC2:USER_SGPR: 2
; COMPUTE_PGM_RSRC2:TRAP_HANDLER: 0
; COMPUTE_PGM_RSRC2:TGID_X_EN: 1
; COMPUTE_PGM_RSRC2:TGID_Y_EN: 0
; COMPUTE_PGM_RSRC2:TGID_Z_EN: 0
; COMPUTE_PGM_RSRC2:TIDIG_COMP_CNT: 0
	.section	.text._ZN9rocsparseL27csrmvn_lrb_long_rows_kernelIiiaaiiEEvbT_PjPT0_S4_jNS_24const_host_device_scalarIT4_EEPKS1_PKS3_PKT1_PKT2_S7_PT3_21rocsparse_index_base_b,"axG",@progbits,_ZN9rocsparseL27csrmvn_lrb_long_rows_kernelIiiaaiiEEvbT_PjPT0_S4_jNS_24const_host_device_scalarIT4_EEPKS1_PKS3_PKT1_PKT2_S7_PT3_21rocsparse_index_base_b,comdat
	.globl	_ZN9rocsparseL27csrmvn_lrb_long_rows_kernelIiiaaiiEEvbT_PjPT0_S4_jNS_24const_host_device_scalarIT4_EEPKS1_PKS3_PKT1_PKT2_S7_PT3_21rocsparse_index_base_b ; -- Begin function _ZN9rocsparseL27csrmvn_lrb_long_rows_kernelIiiaaiiEEvbT_PjPT0_S4_jNS_24const_host_device_scalarIT4_EEPKS1_PKS3_PKT1_PKT2_S7_PT3_21rocsparse_index_base_b
	.p2align	8
	.type	_ZN9rocsparseL27csrmvn_lrb_long_rows_kernelIiiaaiiEEvbT_PjPT0_S4_jNS_24const_host_device_scalarIT4_EEPKS1_PKS3_PKT1_PKT2_S7_PT3_21rocsparse_index_base_b,@function
_ZN9rocsparseL27csrmvn_lrb_long_rows_kernelIiiaaiiEEvbT_PjPT0_S4_jNS_24const_host_device_scalarIT4_EEPKS1_PKS3_PKT1_PKT2_S7_PT3_21rocsparse_index_base_b: ; @_ZN9rocsparseL27csrmvn_lrb_long_rows_kernelIiiaaiiEEvbT_PjPT0_S4_jNS_24const_host_device_scalarIT4_EEPKS1_PKS3_PKT1_PKT2_S7_PT3_21rocsparse_index_base_b
; %bb.0:
	s_clause 0x1
	s_load_b64 s[16:17], s[0:1], 0x60
	s_load_b64 s[4:5], s[0:1], 0x28
	s_mov_b32 s7, -1
                                        ; implicit-def: $sgpr20
	s_wait_kmcnt 0x0
	s_bitcmp1_b32 s17, 0
	s_cselect_b32 s2, -1, 0
	s_delay_alu instid0(SALU_CYCLE_1) | instskip(NEXT) | instid1(SALU_CYCLE_1)
	s_xor_b32 s6, s2, -1
	s_and_b32 vcc_lo, exec_lo, s6
	s_cbranch_vccnz .LBB85_4
; %bb.1:
	s_load_b64 s[2:3], s[0:1], 0x50
	s_and_not1_b32 vcc_lo, exec_lo, s7
	s_cbranch_vccz .LBB85_5
.LBB85_2:
	s_and_b32 vcc_lo, exec_lo, s6
	s_cbranch_vccz .LBB85_6
.LBB85_3:
	s_wait_kmcnt 0x0
	s_load_b32 s18, s[2:3], 0x0
	s_wait_xcnt 0x0
	s_cbranch_execz .LBB85_7
	s_branch .LBB85_8
.LBB85_4:
	s_load_b32 s20, s[4:5], 0x0
	s_load_b64 s[2:3], s[0:1], 0x50
	s_cbranch_execnz .LBB85_2
.LBB85_5:
	s_wait_kmcnt 0x0
	s_mov_b32 s20, s4
	s_and_b32 vcc_lo, exec_lo, s6
	s_cbranch_vccnz .LBB85_3
.LBB85_6:
	s_wait_kmcnt 0x0
                                        ; implicit-def: $sgpr18
.LBB85_7:
	s_wait_kmcnt 0x0
	s_mov_b32 s18, s2
.LBB85_8:
	s_cmp_lg_u32 s20, 0
	s_cselect_b32 s2, -1, 0
	s_wait_kmcnt 0x0
	s_cmp_lg_u32 s18, 1
	s_cselect_b32 s3, -1, 0
	s_delay_alu instid0(SALU_CYCLE_1) | instskip(NEXT) | instid1(SALU_CYCLE_1)
	s_or_b32 s2, s2, s3
	s_and_not1_b32 vcc_lo, exec_lo, s2
	s_cbranch_vccnz .LBB85_50
; %bb.9:
	s_load_b96 s[4:6], s[0:1], 0x18
	s_bfe_u32 s2, ttmp6, 0x4000c
	s_and_b32 s3, ttmp6, 15
	s_add_co_i32 s2, s2, 1
	s_getreg_b32 s7, hwreg(HW_REG_IB_STS2, 6, 4)
	s_mul_i32 s2, ttmp9, s2
	s_delay_alu instid0(SALU_CYCLE_1)
	s_add_co_i32 s3, s3, s2
	s_cmp_eq_u32 s7, 0
	s_cselect_b32 s8, ttmp9, s3
	s_wait_kmcnt 0x0
	s_lshl_b32 s2, -1, s6
	s_load_b32 s9, s[4:5], s6 offset:0x0 scale_offset
	s_not_b32 s2, s2
	s_wait_xcnt 0x0
	s_load_b128 s[4:7], s[0:1], 0x8
	s_mul_hi_u32 s2, s2, 0x2aaaaaab
	s_delay_alu instid0(SALU_CYCLE_1) | instskip(NEXT) | instid1(SALU_CYCLE_1)
	s_lshr_b32 s2, s2, 7
	s_add_co_i32 s19, s2, 1
	s_not_b32 s2, s2
	s_cvt_f32_u32 s3, s19
	s_delay_alu instid0(SALU_CYCLE_3) | instskip(SKIP_1) | instid1(TRANS32_DEP_1)
	v_rcp_iflag_f32_e32 v1, s3
	v_nop
	v_readfirstlane_b32 s3, v1
	s_mul_f32 s3, s3, 0x4f7ffffe
	s_delay_alu instid0(SALU_CYCLE_3) | instskip(NEXT) | instid1(SALU_CYCLE_3)
	s_cvt_u32_f32 s3, s3
	s_mul_i32 s2, s2, s3
	s_delay_alu instid0(SALU_CYCLE_1) | instskip(NEXT) | instid1(SALU_CYCLE_1)
	s_mul_hi_u32 s2, s3, s2
	s_add_co_i32 s3, s3, s2
	s_delay_alu instid0(SALU_CYCLE_1) | instskip(NEXT) | instid1(SALU_CYCLE_1)
	s_mul_hi_u32 s2, s8, s3
	s_mul_i32 s3, s2, s19
	s_add_co_i32 s10, s2, 1
	s_sub_co_i32 s3, s8, s3
	s_delay_alu instid0(SALU_CYCLE_1)
	s_sub_co_i32 s11, s3, s19
	s_cmp_ge_u32 s3, s19
	s_cselect_b32 s2, s10, s2
	s_cselect_b32 s3, s11, s3
	s_add_co_i32 s10, s2, 1
	s_cmp_ge_u32 s3, s19
	s_cselect_b32 s21, s10, s2
	s_wait_kmcnt 0x0
	s_add_co_i32 s2, s21, s9
	s_ashr_i32 s9, s8, 31
	s_ashr_i32 s3, s2, 31
	s_delay_alu instid0(SALU_CYCLE_1) | instskip(NEXT) | instid1(SALU_CYCLE_1)
	s_lshl_b64 s[2:3], s[2:3], 2
	s_add_nc_u64 s[6:7], s[6:7], s[2:3]
	s_load_b32 s10, s[6:7], 0x0
	s_clause 0x1
	s_load_b64 s[12:13], s[0:1], 0x30
	s_load_b64 s[2:3], s[0:1], 0x58
	s_wait_kmcnt 0x0
	s_ashr_i32 s11, s10, 31
	s_delay_alu instid0(SALU_CYCLE_1)
	s_lshl_b64 s[6:7], s[10:11], 2
	s_lshl_b64 s[10:11], s[8:9], 2
	s_add_nc_u64 s[14:15], s[12:13], s[6:7]
	s_add_nc_u64 s[12:13], s[4:5], s[10:11]
	s_load_b64 s[10:11], s[14:15], 0x0
	s_load_b32 s17, s[12:13], 0x0
	s_wait_xcnt 0x0
	s_mul_i32 s14, s21, s19
	s_delay_alu instid0(SALU_CYCLE_1) | instskip(NEXT) | instid1(SALU_CYCLE_1)
	s_sub_co_i32 s15, s8, s14
	v_or_b32_e32 v1, s15, v0
	s_delay_alu instid0(VALU_DEP_1)
	v_cmp_eq_u32_e32 vcc_lo, 0, v1
	v_mov_b32_e32 v1, 0
	s_and_saveexec_b32 s9, vcc_lo
	s_cbranch_execz .LBB85_13
; %bb.10:
	s_add_nc_u64 s[22:23], s[2:3], s[6:7]
	s_mov_b32 s19, exec_lo
	s_load_b32 s21, s[22:23], 0x0
	v_mbcnt_lo_u32_b32 v1, s19, 0
	s_add_co_i32 s18, s18, -1
	global_wb scope:SCOPE_DEV
	s_wait_storecnt 0x0
	global_inv scope:SCOPE_DEV
	s_wait_kmcnt 0x0
	s_mul_i32 s18, s21, s18
	s_mov_b32 s21, exec_lo
	v_cmpx_eq_u32_e32 0, v1
	s_cbranch_execz .LBB85_12
; %bb.11:
	s_bcnt1_i32_b32 s19, s19
	s_delay_alu instid0(SALU_CYCLE_1) | instskip(NEXT) | instid1(SALU_CYCLE_1)
	s_and_b32 s19, s19, 1
	v_dual_mov_b32 v1, s14 :: v_dual_mov_b32 v2, s19
	global_atomic_xor_b32 v1, v2, s[4:5] scale_offset scope:SCOPE_DEV
.LBB85_12:
	s_wait_xcnt 0x0
	s_or_b32 exec_lo, exec_lo, s21
	v_mov_b32_e32 v1, s18
.LBB85_13:
	s_or_b32 exec_lo, exec_lo, s9
	s_mul_i32 s9, s15, 0x300
	s_wait_kmcnt 0x0
	s_sub_co_i32 s11, s11, s16
	s_sub_co_i32 s9, s9, s16
	s_mov_b32 s21, exec_lo
	s_add_co_i32 s9, s9, s10
	s_delay_alu instid0(SALU_CYCLE_1) | instskip(SKIP_1) | instid1(SALU_CYCLE_1)
	v_add_nc_u32_e32 v2, s9, v0
	s_addk_co_i32 s9, 0x300
	s_min_i32 s22, s9, s11
	s_delay_alu instid0(VALU_DEP_1) | instid1(SALU_CYCLE_1)
	v_cmpx_gt_i32_e64 s22, v2
	s_cbranch_execz .LBB85_25
; %bb.14:
	s_mulk_i32 s8, 0x300
	v_not_b32_e32 v4, v0
	s_add_co_i32 s23, s10, s8
	s_mul_i32 s8, s14, 0x300
	v_add_nc_u32_e32 v3, s23, v0
	s_add_co_i32 s24, s8, s16
	s_clause 0x1
	s_load_b64 s[18:19], s[0:1], 0x48
	s_load_b128 s[8:11], s[0:1], 0x38
	s_wait_xcnt 0x0
	s_mov_b32 s1, exec_lo
	v_subrev_nc_u32_e32 v3, s24, v3
	s_delay_alu instid0(VALU_DEP_1) | instskip(NEXT) | instid1(VALU_DEP_1)
	v_add_max_i32_e64 v3, 0x100, v3, s22
	v_add3_u32 v3, s24, v3, v4
	s_delay_alu instid0(VALU_DEP_1) | instskip(NEXT) | instid1(VALU_DEP_1)
	v_subrev_nc_u32_e32 v3, s23, v3
	v_cmp_gt_u32_e64 s0, 0x1500, v3
	v_cmpx_lt_u32_e32 0x14ff, v3
	s_cbranch_execz .LBB85_20
; %bb.15:
	v_and_b32_e32 v4, 0xffffff00, v3
	s_mov_b32 s24, -1
	s_mov_b32 s23, exec_lo
	s_delay_alu instid0(VALU_DEP_1) | instskip(NEXT) | instid1(VALU_DEP_1)
	v_add_nc_u32_e32 v4, v2, v4
	v_cmpx_ge_i32_e64 v4, v2
	s_cbranch_execz .LBB85_19
; %bb.16:
	v_dual_mov_b32 v8, 0 :: v_dual_lshrrev_b32 v3, 8, v3
	s_mov_b32 s24, s20
	s_mov_b32 s26, s16
	;; [unrolled: 1-line block ×3, first 2 shown]
	s_delay_alu instid0(VALU_DEP_1) | instskip(SKIP_1) | instid1(VALU_DEP_2)
	v_add_nc_u32_e32 v6, 1, v3
	v_add_nc_u32_e32 v3, 0x100, v2
	v_and_b32_e32 v7, 0x1fffffe, v6
	s_delay_alu instid0(VALU_DEP_2) | instskip(NEXT) | instid1(VALU_DEP_2)
	v_mov_b64_e32 v[4:5], v[2:3]
	v_mov_b32_e32 v9, v7
.LBB85_17:                              ; =>This Inner Loop Header: Depth=1
	s_wait_kmcnt 0x0
	s_clause 0x1
	global_load_b32 v3, v5, s[8:9] scale_offset
	global_load_b32 v10, v4, s[8:9] scale_offset
	s_clause 0x1
	global_load_i8 v11, v5, s[10:11]
	global_load_i8 v12, v4, s[10:11]
	v_add_nc_u32_e32 v9, -2, v9
	s_wait_xcnt 0x1
	v_add_nc_u32_e32 v5, 0x200, v5
	s_wait_xcnt 0x0
	v_add_nc_u32_e32 v4, 0x200, v4
	v_cmp_eq_u32_e32 vcc_lo, 0, v9
	s_or_b32 s25, vcc_lo, s25
	s_wait_loadcnt 0x3
	v_subrev_nc_u32_e32 v3, s26, v3
	s_wait_loadcnt 0x2
	v_subrev_nc_u32_e32 v10, s16, v10
	s_clause 0x1
	global_load_i8 v13, v3, s[18:19]
	global_load_i8 v14, v10, s[18:19]
	s_wait_loadcnt 0x3
	s_wait_xcnt 0x1
	v_mul_lo_u32 v3, s24, v11
	s_wait_loadcnt 0x2
	s_wait_xcnt 0x0
	v_mul_lo_u32 v10, s20, v12
	s_wait_loadcnt 0x1
	s_delay_alu instid0(VALU_DEP_2) | instskip(SKIP_1) | instid1(VALU_DEP_2)
	v_mad_u32 v8, v3, v13, v8
	s_wait_loadcnt 0x0
	v_mad_u32 v1, v10, v14, v1
	s_and_not1_b32 exec_lo, exec_lo, s25
	s_cbranch_execnz .LBB85_17
; %bb.18:
	s_or_b32 exec_lo, exec_lo, s25
	v_cmp_ne_u32_e32 vcc_lo, v6, v7
	v_lshl_add_u32 v2, v7, 8, v2
	s_delay_alu instid0(VALU_DEP_3)
	v_add_nc_u32_e32 v1, v1, v8
	s_or_not1_b32 s24, vcc_lo, exec_lo
.LBB85_19:
	s_or_b32 exec_lo, exec_lo, s23
	s_delay_alu instid0(SALU_CYCLE_1) | instskip(SKIP_1) | instid1(SALU_CYCLE_1)
	s_and_not1_b32 s0, s0, exec_lo
	s_and_b32 s23, s24, exec_lo
	s_or_b32 s0, s0, s23
.LBB85_20:
	s_or_b32 exec_lo, exec_lo, s1
	s_and_saveexec_b32 s1, s0
	s_cbranch_execz .LBB85_24
; %bb.21:
	s_mov_b32 s0, 0
.LBB85_22:                              ; =>This Inner Loop Header: Depth=1
	s_wait_kmcnt 0x0
	s_clause 0x1
	global_load_b32 v3, v2, s[8:9] scale_offset
	global_load_i8 v4, v2, s[10:11]
	s_wait_xcnt 0x0
	v_add_nc_u32_e32 v2, 0x100, v2
	s_delay_alu instid0(VALU_DEP_1)
	v_cmp_le_i32_e32 vcc_lo, s22, v2
	s_or_b32 s0, vcc_lo, s0
	s_wait_loadcnt 0x1
	v_subrev_nc_u32_e32 v3, s16, v3
	s_wait_loadcnt 0x0
	v_mul_lo_u32 v4, s20, v4
	global_load_i8 v3, v3, s[18:19]
	s_wait_loadcnt 0x0
	v_mad_u32 v1, v4, v3, v1
	s_wait_xcnt 0x0
	s_and_not1_b32 exec_lo, exec_lo, s0
	s_cbranch_execnz .LBB85_22
; %bb.23:
	s_or_b32 exec_lo, exec_lo, s0
.LBB85_24:
	s_delay_alu instid0(SALU_CYCLE_1)
	s_or_b32 exec_lo, exec_lo, s1
.LBB85_25:
	s_delay_alu instid0(SALU_CYCLE_1)
	s_or_b32 exec_lo, exec_lo, s21
	v_lshlrev_b32_e32 v2, 2, v0
	s_mov_b32 s0, exec_lo
	ds_store_b32 v2, v1
	s_wait_storecnt 0x0
	s_wait_loadcnt_dscnt 0x0
	s_barrier_signal -1
	s_barrier_wait -1
	v_cmpx_gt_u32_e32 0x80, v0
	s_cbranch_execz .LBB85_27
; %bb.26:
	ds_load_2addr_stride64_b32 v[4:5], v2 offset1:2
	s_wait_dscnt 0x0
	v_add_nc_u32_e32 v1, v5, v4
	ds_store_b32 v2, v1
.LBB85_27:
	s_or_b32 exec_lo, exec_lo, s0
	s_delay_alu instid0(SALU_CYCLE_1)
	s_mov_b32 s0, exec_lo
	s_wait_dscnt 0x0
	s_barrier_signal -1
	s_barrier_wait -1
	v_cmpx_gt_u32_e32 64, v0
	s_cbranch_execz .LBB85_29
; %bb.28:
	ds_load_2addr_stride64_b32 v[4:5], v2 offset1:1
	s_wait_dscnt 0x0
	v_add_nc_u32_e32 v1, v5, v4
	ds_store_b32 v2, v1
.LBB85_29:
	s_or_b32 exec_lo, exec_lo, s0
	s_delay_alu instid0(SALU_CYCLE_1)
	s_mov_b32 s0, exec_lo
	s_wait_dscnt 0x0
	s_barrier_signal -1
	s_barrier_wait -1
	v_cmpx_gt_u32_e32 32, v0
	s_cbranch_execz .LBB85_31
; %bb.30:
	ds_load_2addr_b32 v[4:5], v2 offset1:32
	s_wait_dscnt 0x0
	v_add_nc_u32_e32 v1, v5, v4
	ds_store_b32 v2, v1
.LBB85_31:
	s_or_b32 exec_lo, exec_lo, s0
	s_delay_alu instid0(SALU_CYCLE_1)
	s_mov_b32 s0, exec_lo
	s_wait_dscnt 0x0
	s_barrier_signal -1
	s_barrier_wait -1
	v_cmpx_gt_u32_e32 16, v0
	s_cbranch_execz .LBB85_33
; %bb.32:
	ds_load_2addr_b32 v[4:5], v2 offset1:16
	s_wait_dscnt 0x0
	v_add_nc_u32_e32 v1, v5, v4
	ds_store_b32 v2, v1
.LBB85_33:
	;; [unrolled: 14-line block ×5, first 2 shown]
	s_or_b32 exec_lo, exec_lo, s0
	v_cmp_eq_u32_e32 vcc_lo, 0, v0
	s_wait_dscnt 0x0
	s_barrier_signal -1
	s_barrier_wait -1
	s_and_saveexec_b32 s0, vcc_lo
	s_cbranch_execz .LBB85_41
; %bb.40:
	v_mov_b32_e32 v2, 0
	ds_load_b64 v[0:1], v2
	s_wait_dscnt 0x0
	v_add_nc_u32_e32 v0, v1, v0
	ds_store_b32 v2, v0
.LBB85_41:
	s_or_b32 exec_lo, exec_lo, s0
	s_wait_dscnt 0x0
	s_barrier_signal -1
	s_barrier_wait -1
	s_and_saveexec_b32 s0, vcc_lo
	s_cbranch_execz .LBB85_50
; %bb.42:
	s_cmp_eq_u32 s15, 0
	s_cbranch_scc1 .LBB85_48
; %bb.43:
	s_ashr_i32 s15, s14, 31
	v_mov_b32_e32 v0, 0
	s_lshl_b64 s[0:1], s[14:15], 2
	s_delay_alu instid0(SALU_CYCLE_1)
	s_add_nc_u64 s[0:1], s[4:5], s[0:1]
	s_branch .LBB85_45
.LBB85_44:                              ;   in Loop: Header=BB85_45 Depth=1
	s_wait_xcnt 0x0
	s_or_b32 exec_lo, exec_lo, s4
	s_wait_loadcnt 0x0
	v_readfirstlane_b32 s4, v1
	s_cmp_eq_u32 s4, s17
	s_cbranch_scc0 .LBB85_47
.LBB85_45:                              ; =>This Inner Loop Header: Depth=1
	v_mbcnt_lo_u32_b32 v1, exec_lo, 0
	s_delay_alu instid0(VALU_DEP_1)
	v_cmp_eq_u32_e32 vcc_lo, 0, v1
                                        ; implicit-def: $vgpr1
	s_and_saveexec_b32 s4, vcc_lo
	s_cbranch_execz .LBB85_44
; %bb.46:                               ;   in Loop: Header=BB85_45 Depth=1
	global_load_b32 v1, v0, s[0:1] scope:SCOPE_DEV
	s_branch .LBB85_44
.LBB85_47:
	v_mov_b32_e32 v0, 0
	global_load_u16 v1, v0, s[12:13]
	s_wait_loadcnt 0x0
	v_xor_b32_e32 v1, 1, v1
	s_wait_kmcnt 0x0
	global_store_b16 v0, v1, s[12:13]
.LBB85_48:
	s_mov_b32 s0, exec_lo
	s_wait_xcnt 0x0
	v_mbcnt_lo_u32_b32 v0, s0, 0
	s_delay_alu instid0(VALU_DEP_1) | instskip(SKIP_1) | instid1(SALU_CYCLE_1)
	v_cmp_eq_u32_e32 vcc_lo, 0, v0
	s_and_b32 s1, exec_lo, vcc_lo
	s_mov_b32 exec_lo, s1
	s_cbranch_execz .LBB85_50
; %bb.49:
	v_mov_b32_e32 v0, 0
	s_bcnt1_i32_b32 s0, s0
	ds_load_b32 v1, v0
	s_wait_dscnt 0x0
	v_mul_lo_u32 v1, v1, s0
	s_add_nc_u64 s[0:1], s[2:3], s[6:7]
	global_atomic_add_u32 v0, v1, s[0:1] scope:SCOPE_DEV
.LBB85_50:
	s_endpgm
	.section	.rodata,"a",@progbits
	.p2align	6, 0x0
	.amdhsa_kernel _ZN9rocsparseL27csrmvn_lrb_long_rows_kernelIiiaaiiEEvbT_PjPT0_S4_jNS_24const_host_device_scalarIT4_EEPKS1_PKS3_PKT1_PKT2_S7_PT3_21rocsparse_index_base_b
		.amdhsa_group_segment_fixed_size 1024
		.amdhsa_private_segment_fixed_size 0
		.amdhsa_kernarg_size 104
		.amdhsa_user_sgpr_count 2
		.amdhsa_user_sgpr_dispatch_ptr 0
		.amdhsa_user_sgpr_queue_ptr 0
		.amdhsa_user_sgpr_kernarg_segment_ptr 1
		.amdhsa_user_sgpr_dispatch_id 0
		.amdhsa_user_sgpr_kernarg_preload_length 0
		.amdhsa_user_sgpr_kernarg_preload_offset 0
		.amdhsa_user_sgpr_private_segment_size 0
		.amdhsa_wavefront_size32 1
		.amdhsa_uses_dynamic_stack 0
		.amdhsa_enable_private_segment 0
		.amdhsa_system_sgpr_workgroup_id_x 1
		.amdhsa_system_sgpr_workgroup_id_y 0
		.amdhsa_system_sgpr_workgroup_id_z 0
		.amdhsa_system_sgpr_workgroup_info 0
		.amdhsa_system_vgpr_workitem_id 0
		.amdhsa_next_free_vgpr 15
		.amdhsa_next_free_sgpr 27
		.amdhsa_named_barrier_count 0
		.amdhsa_reserve_vcc 1
		.amdhsa_float_round_mode_32 0
		.amdhsa_float_round_mode_16_64 0
		.amdhsa_float_denorm_mode_32 3
		.amdhsa_float_denorm_mode_16_64 3
		.amdhsa_fp16_overflow 0
		.amdhsa_memory_ordered 1
		.amdhsa_forward_progress 1
		.amdhsa_inst_pref_size 16
		.amdhsa_round_robin_scheduling 0
		.amdhsa_exception_fp_ieee_invalid_op 0
		.amdhsa_exception_fp_denorm_src 0
		.amdhsa_exception_fp_ieee_div_zero 0
		.amdhsa_exception_fp_ieee_overflow 0
		.amdhsa_exception_fp_ieee_underflow 0
		.amdhsa_exception_fp_ieee_inexact 0
		.amdhsa_exception_int_div_zero 0
	.end_amdhsa_kernel
	.section	.text._ZN9rocsparseL27csrmvn_lrb_long_rows_kernelIiiaaiiEEvbT_PjPT0_S4_jNS_24const_host_device_scalarIT4_EEPKS1_PKS3_PKT1_PKT2_S7_PT3_21rocsparse_index_base_b,"axG",@progbits,_ZN9rocsparseL27csrmvn_lrb_long_rows_kernelIiiaaiiEEvbT_PjPT0_S4_jNS_24const_host_device_scalarIT4_EEPKS1_PKS3_PKT1_PKT2_S7_PT3_21rocsparse_index_base_b,comdat
.Lfunc_end85:
	.size	_ZN9rocsparseL27csrmvn_lrb_long_rows_kernelIiiaaiiEEvbT_PjPT0_S4_jNS_24const_host_device_scalarIT4_EEPKS1_PKS3_PKT1_PKT2_S7_PT3_21rocsparse_index_base_b, .Lfunc_end85-_ZN9rocsparseL27csrmvn_lrb_long_rows_kernelIiiaaiiEEvbT_PjPT0_S4_jNS_24const_host_device_scalarIT4_EEPKS1_PKS3_PKT1_PKT2_S7_PT3_21rocsparse_index_base_b
                                        ; -- End function
	.set _ZN9rocsparseL27csrmvn_lrb_long_rows_kernelIiiaaiiEEvbT_PjPT0_S4_jNS_24const_host_device_scalarIT4_EEPKS1_PKS3_PKT1_PKT2_S7_PT3_21rocsparse_index_base_b.num_vgpr, 15
	.set _ZN9rocsparseL27csrmvn_lrb_long_rows_kernelIiiaaiiEEvbT_PjPT0_S4_jNS_24const_host_device_scalarIT4_EEPKS1_PKS3_PKT1_PKT2_S7_PT3_21rocsparse_index_base_b.num_agpr, 0
	.set _ZN9rocsparseL27csrmvn_lrb_long_rows_kernelIiiaaiiEEvbT_PjPT0_S4_jNS_24const_host_device_scalarIT4_EEPKS1_PKS3_PKT1_PKT2_S7_PT3_21rocsparse_index_base_b.numbered_sgpr, 27
	.set _ZN9rocsparseL27csrmvn_lrb_long_rows_kernelIiiaaiiEEvbT_PjPT0_S4_jNS_24const_host_device_scalarIT4_EEPKS1_PKS3_PKT1_PKT2_S7_PT3_21rocsparse_index_base_b.num_named_barrier, 0
	.set _ZN9rocsparseL27csrmvn_lrb_long_rows_kernelIiiaaiiEEvbT_PjPT0_S4_jNS_24const_host_device_scalarIT4_EEPKS1_PKS3_PKT1_PKT2_S7_PT3_21rocsparse_index_base_b.private_seg_size, 0
	.set _ZN9rocsparseL27csrmvn_lrb_long_rows_kernelIiiaaiiEEvbT_PjPT0_S4_jNS_24const_host_device_scalarIT4_EEPKS1_PKS3_PKT1_PKT2_S7_PT3_21rocsparse_index_base_b.uses_vcc, 1
	.set _ZN9rocsparseL27csrmvn_lrb_long_rows_kernelIiiaaiiEEvbT_PjPT0_S4_jNS_24const_host_device_scalarIT4_EEPKS1_PKS3_PKT1_PKT2_S7_PT3_21rocsparse_index_base_b.uses_flat_scratch, 0
	.set _ZN9rocsparseL27csrmvn_lrb_long_rows_kernelIiiaaiiEEvbT_PjPT0_S4_jNS_24const_host_device_scalarIT4_EEPKS1_PKS3_PKT1_PKT2_S7_PT3_21rocsparse_index_base_b.has_dyn_sized_stack, 0
	.set _ZN9rocsparseL27csrmvn_lrb_long_rows_kernelIiiaaiiEEvbT_PjPT0_S4_jNS_24const_host_device_scalarIT4_EEPKS1_PKS3_PKT1_PKT2_S7_PT3_21rocsparse_index_base_b.has_recursion, 0
	.set _ZN9rocsparseL27csrmvn_lrb_long_rows_kernelIiiaaiiEEvbT_PjPT0_S4_jNS_24const_host_device_scalarIT4_EEPKS1_PKS3_PKT1_PKT2_S7_PT3_21rocsparse_index_base_b.has_indirect_call, 0
	.section	.AMDGPU.csdata,"",@progbits
; Kernel info:
; codeLenInByte = 2032
; TotalNumSgprs: 29
; NumVgprs: 15
; ScratchSize: 0
; MemoryBound: 0
; FloatMode: 240
; IeeeMode: 1
; LDSByteSize: 1024 bytes/workgroup (compile time only)
; SGPRBlocks: 0
; VGPRBlocks: 0
; NumSGPRsForWavesPerEU: 29
; NumVGPRsForWavesPerEU: 15
; NamedBarCnt: 0
; Occupancy: 16
; WaveLimiterHint : 1
; COMPUTE_PGM_RSRC2:SCRATCH_EN: 0
; COMPUTE_PGM_RSRC2:USER_SGPR: 2
; COMPUTE_PGM_RSRC2:TRAP_HANDLER: 0
; COMPUTE_PGM_RSRC2:TGID_X_EN: 1
; COMPUTE_PGM_RSRC2:TGID_Y_EN: 0
; COMPUTE_PGM_RSRC2:TGID_Z_EN: 0
; COMPUTE_PGM_RSRC2:TIDIG_COMP_CNT: 0
	.section	.text._ZN9rocsparseL28csrmvn_lrb_short_rows_kernelIliaaiiEEvbT_PT0_S3_jNS_24const_host_device_scalarIT4_EEPKS1_PKS2_PKT1_PKT2_S6_PT3_21rocsparse_index_base_b,"axG",@progbits,_ZN9rocsparseL28csrmvn_lrb_short_rows_kernelIliaaiiEEvbT_PT0_S3_jNS_24const_host_device_scalarIT4_EEPKS1_PKS2_PKT1_PKT2_S6_PT3_21rocsparse_index_base_b,comdat
	.globl	_ZN9rocsparseL28csrmvn_lrb_short_rows_kernelIliaaiiEEvbT_PT0_S3_jNS_24const_host_device_scalarIT4_EEPKS1_PKS2_PKT1_PKT2_S6_PT3_21rocsparse_index_base_b ; -- Begin function _ZN9rocsparseL28csrmvn_lrb_short_rows_kernelIliaaiiEEvbT_PT0_S3_jNS_24const_host_device_scalarIT4_EEPKS1_PKS2_PKT1_PKT2_S6_PT3_21rocsparse_index_base_b
	.p2align	8
	.type	_ZN9rocsparseL28csrmvn_lrb_short_rows_kernelIliaaiiEEvbT_PT0_S3_jNS_24const_host_device_scalarIT4_EEPKS1_PKS2_PKT1_PKT2_S6_PT3_21rocsparse_index_base_b,@function
_ZN9rocsparseL28csrmvn_lrb_short_rows_kernelIliaaiiEEvbT_PT0_S3_jNS_24const_host_device_scalarIT4_EEPKS1_PKS2_PKT1_PKT2_S6_PT3_21rocsparse_index_base_b: ; @_ZN9rocsparseL28csrmvn_lrb_short_rows_kernelIliaaiiEEvbT_PT0_S3_jNS_24const_host_device_scalarIT4_EEPKS1_PKS2_PKT1_PKT2_S6_PT3_21rocsparse_index_base_b
; %bb.0:
	s_clause 0x1
	s_load_b64 s[2:3], s[0:1], 0x60
	s_load_b64 s[6:7], s[0:1], 0x28
	s_mov_b32 s8, -1
                                        ; implicit-def: $sgpr17
	s_wait_kmcnt 0x0
	s_bitcmp1_b32 s3, 0
	s_cselect_b32 s3, -1, 0
	s_delay_alu instid0(SALU_CYCLE_1) | instskip(NEXT) | instid1(SALU_CYCLE_1)
	s_xor_b32 s3, s3, -1
	s_and_b32 vcc_lo, exec_lo, s3
	s_cbranch_vccnz .LBB86_4
; %bb.1:
	s_load_b64 s[4:5], s[0:1], 0x50
	s_and_not1_b32 vcc_lo, exec_lo, s8
	s_cbranch_vccz .LBB86_5
.LBB86_2:
	s_and_b32 vcc_lo, exec_lo, s3
	s_cbranch_vccz .LBB86_6
.LBB86_3:
	s_wait_kmcnt 0x0
	s_load_b32 s16, s[4:5], 0x0
	s_cbranch_execz .LBB86_7
	s_branch .LBB86_8
.LBB86_4:
	s_load_b32 s17, s[6:7], 0x0
	s_load_b64 s[4:5], s[0:1], 0x50
	s_cbranch_execnz .LBB86_2
.LBB86_5:
	s_wait_kmcnt 0x0
	s_mov_b32 s17, s6
	s_and_b32 vcc_lo, exec_lo, s3
	s_cbranch_vccnz .LBB86_3
.LBB86_6:
                                        ; implicit-def: $sgpr16
.LBB86_7:
	s_wait_kmcnt 0x0
	s_mov_b32 s16, s4
.LBB86_8:
	s_wait_kmcnt 0x0
	s_cmp_lg_u32 s17, 0
	s_cselect_b32 s3, -1, 0
	s_cmp_lg_u32 s16, 1
	s_cselect_b32 s4, -1, 0
	s_delay_alu instid0(SALU_CYCLE_1) | instskip(NEXT) | instid1(SALU_CYCLE_1)
	s_or_b32 s3, s3, s4
	s_and_not1_b32 vcc_lo, exec_lo, s3
	s_cbranch_vccnz .LBB86_22
; %bb.9:
	s_clause 0x1
	s_load_b32 s18, s[0:1], 0x20
	s_load_b128 s[12:15], s[0:1], 0x10
	s_and_b32 s5, ttmp6, 15
	s_getreg_b32 s6, hwreg(HW_REG_IB_STS2, 6, 4)
	s_wait_kmcnt 0x0
	s_add_co_i32 s3, s18, 1
	s_clause 0x1
	s_load_b32 s19, s[14:15], s18 offset:0x0 scale_offset
	s_load_b32 s4, s[14:15], s3 offset:0x0 scale_offset
	s_wait_xcnt 0x0
	s_bfe_u32 s3, ttmp6, 0x4000c
	s_delay_alu instid0(SALU_CYCLE_1) | instskip(NEXT) | instid1(SALU_CYCLE_1)
	s_add_co_i32 s3, s3, 1
	s_mul_i32 s3, ttmp9, s3
	s_delay_alu instid0(SALU_CYCLE_1) | instskip(SKIP_4) | instid1(SALU_CYCLE_1)
	s_add_co_i32 s5, s5, s3
	s_wait_kmcnt 0x0
	s_sub_co_i32 s4, s4, s19
	s_cmp_eq_u32 s6, 0
	s_cselect_b32 s3, ttmp9, s5
	s_lshl_b32 s14, s3, 8
	s_delay_alu instid0(SALU_CYCLE_1) | instskip(NEXT) | instid1(SALU_CYCLE_1)
	s_add_co_i32 s3, s14, 0x100
	s_min_u32 s15, s4, s3
	s_cmp_gt_u32 s18, 23
	s_cbranch_scc1 .LBB86_16
; %bb.10:
	s_load_b256 s[4:11], s[0:1], 0x30
	v_bfe_u32 v6, v0, 0, s18
	v_mov_b32_e32 v7, 0
	v_lshl_add_u32 v1, v0, 2, 0
	s_mov_b32 s3, 0
	s_lshl_b32 s20, 0x100, s18
	s_mov_b32 s21, s3
	s_branch .LBB86_13
.LBB86_11:                              ;   in Loop: Header=BB86_13 Depth=1
	s_wait_xcnt 0x0
	s_or_b32 exec_lo, exec_lo, s23
	ds_store_b32 v1, v4
.LBB86_12:                              ;   in Loop: Header=BB86_13 Depth=1
	s_or_b32 exec_lo, exec_lo, s22
	v_add_nc_u32_e32 v1, 0x400, v1
	s_addk_co_i32 s21, 0x100
	s_delay_alu instid0(SALU_CYCLE_1)
	s_cmp_ge_u32 s21, s20
	s_cbranch_scc1 .LBB86_16
.LBB86_13:                              ; =>This Inner Loop Header: Depth=1
	v_add_nc_u32_e32 v2, s21, v0
	s_mov_b32 s22, exec_lo
	s_delay_alu instid0(VALU_DEP_1) | instskip(NEXT) | instid1(VALU_DEP_1)
	v_lshrrev_b32_e32 v2, s18, v2
	v_add_nc_u32_e32 v2, s14, v2
	s_delay_alu instid0(VALU_DEP_1)
	v_cmpx_gt_u32_e64 s15, v2
	s_cbranch_execz .LBB86_12
; %bb.14:                               ;   in Loop: Header=BB86_13 Depth=1
	v_add_nc_u32_e32 v2, s19, v2
	global_load_b32 v2, v2, s[12:13] scale_offset
	s_wait_loadcnt 0x0
	v_ashrrev_i32_e32 v3, 31, v2
	s_wait_kmcnt 0x0
	s_wait_xcnt 0x0
	s_delay_alu instid0(VALU_DEP_1) | instskip(SKIP_3) | instid1(VALU_DEP_1)
	v_lshl_add_u64 v[2:3], v[2:3], 3, s[4:5]
	global_load_b128 v[2:5], v[2:3], off
	s_wait_loadcnt 0x0
	v_sub_nc_u64_e32 v[4:5], v[4:5], v[2:3]
	v_cmp_gt_i64_e32 vcc_lo, v[4:5], v[6:7]
	v_mov_b32_e32 v4, 0
	s_wait_xcnt 0x0
	s_and_saveexec_b32 s23, vcc_lo
	s_cbranch_execz .LBB86_11
; %bb.15:                               ;   in Loop: Header=BB86_13 Depth=1
	v_sub_nc_u64_e64 v[2:3], v[2:3], s[2:3]
	s_delay_alu instid0(VALU_DEP_1) | instskip(NEXT) | instid1(VALU_DEP_1)
	v_add_nc_u64_e32 v[2:3], v[2:3], v[6:7]
	v_lshl_add_u64 v[4:5], v[2:3], 2, s[6:7]
	v_add_nc_u64_e32 v[2:3], s[8:9], v[2:3]
	global_load_b32 v4, v[4:5], off
	global_load_i8 v2, v[2:3], off
	s_wait_loadcnt 0x1
	s_wait_xcnt 0x0
	v_subrev_nc_u32_e32 v3, s2, v4
	s_wait_loadcnt 0x0
	v_mul_lo_u32 v2, s17, v2
	global_load_i8 v3, v3, s[10:11]
	s_wait_loadcnt 0x0
	v_mul_lo_u32 v4, v2, v3
	s_branch .LBB86_11
.LBB86_16:
	s_sub_co_i32 s2, s15, s14
	s_wait_dscnt 0x0
	v_cmp_gt_u32_e32 vcc_lo, s2, v0
	s_barrier_signal -1
	s_barrier_wait -1
	s_and_saveexec_b32 s2, vcc_lo
	s_cbranch_execz .LBB86_22
; %bb.17:
	v_add3_u32 v1, s19, s14, v0
	s_wait_xcnt 0x0
	s_load_b64 s[0:1], s[0:1], 0x58
	v_dual_lshlrev_b32 v0, s18, v0 :: v_dual_mov_b32 v4, 0
	s_mov_b32 s2, 1
	global_load_b32 v2, v1, s[12:13] scale_offset
	v_lshl_add_u32 v0, v0, 2, 0
.LBB86_18:                              ; =>This Inner Loop Header: Depth=1
	s_wait_xcnt 0x0
	ds_load_b32 v1, v0
	v_add_nc_u32_e32 v0, 4, v0
	s_lshr_b32 s3, s2, s18
	s_add_co_i32 s2, s2, 1
	s_cmp_lg_u32 s3, 0
	s_wait_dscnt 0x0
	v_add_nc_u32_e32 v4, v1, v4
	s_cbranch_scc0 .LBB86_18
; %bb.19:
	s_wait_loadcnt 0x0
	v_ashrrev_i32_e32 v3, 31, v2
	s_cmp_lg_u32 s16, 0
	s_wait_kmcnt 0x0
	s_delay_alu instid0(VALU_DEP_1)
	v_lshl_add_u64 v[0:1], v[2:3], 2, s[0:1]
	s_cbranch_scc0 .LBB86_21
; %bb.20:
	global_load_b32 v2, v[0:1], off
	s_wait_loadcnt 0x0
	v_mad_u32 v4, v2, s16, v4
.LBB86_21:
	global_store_b32 v[0:1], v4, off
.LBB86_22:
	s_endpgm
	.section	.rodata,"a",@progbits
	.p2align	6, 0x0
	.amdhsa_kernel _ZN9rocsparseL28csrmvn_lrb_short_rows_kernelIliaaiiEEvbT_PT0_S3_jNS_24const_host_device_scalarIT4_EEPKS1_PKS2_PKT1_PKT2_S6_PT3_21rocsparse_index_base_b
		.amdhsa_group_segment_fixed_size 0
		.amdhsa_private_segment_fixed_size 0
		.amdhsa_kernarg_size 104
		.amdhsa_user_sgpr_count 2
		.amdhsa_user_sgpr_dispatch_ptr 0
		.amdhsa_user_sgpr_queue_ptr 0
		.amdhsa_user_sgpr_kernarg_segment_ptr 1
		.amdhsa_user_sgpr_dispatch_id 0
		.amdhsa_user_sgpr_kernarg_preload_length 0
		.amdhsa_user_sgpr_kernarg_preload_offset 0
		.amdhsa_user_sgpr_private_segment_size 0
		.amdhsa_wavefront_size32 1
		.amdhsa_uses_dynamic_stack 0
		.amdhsa_enable_private_segment 0
		.amdhsa_system_sgpr_workgroup_id_x 1
		.amdhsa_system_sgpr_workgroup_id_y 0
		.amdhsa_system_sgpr_workgroup_id_z 0
		.amdhsa_system_sgpr_workgroup_info 0
		.amdhsa_system_vgpr_workitem_id 0
		.amdhsa_next_free_vgpr 8
		.amdhsa_next_free_sgpr 24
		.amdhsa_named_barrier_count 0
		.amdhsa_reserve_vcc 1
		.amdhsa_float_round_mode_32 0
		.amdhsa_float_round_mode_16_64 0
		.amdhsa_float_denorm_mode_32 3
		.amdhsa_float_denorm_mode_16_64 3
		.amdhsa_fp16_overflow 0
		.amdhsa_memory_ordered 1
		.amdhsa_forward_progress 1
		.amdhsa_inst_pref_size 7
		.amdhsa_round_robin_scheduling 0
		.amdhsa_exception_fp_ieee_invalid_op 0
		.amdhsa_exception_fp_denorm_src 0
		.amdhsa_exception_fp_ieee_div_zero 0
		.amdhsa_exception_fp_ieee_overflow 0
		.amdhsa_exception_fp_ieee_underflow 0
		.amdhsa_exception_fp_ieee_inexact 0
		.amdhsa_exception_int_div_zero 0
	.end_amdhsa_kernel
	.section	.text._ZN9rocsparseL28csrmvn_lrb_short_rows_kernelIliaaiiEEvbT_PT0_S3_jNS_24const_host_device_scalarIT4_EEPKS1_PKS2_PKT1_PKT2_S6_PT3_21rocsparse_index_base_b,"axG",@progbits,_ZN9rocsparseL28csrmvn_lrb_short_rows_kernelIliaaiiEEvbT_PT0_S3_jNS_24const_host_device_scalarIT4_EEPKS1_PKS2_PKT1_PKT2_S6_PT3_21rocsparse_index_base_b,comdat
.Lfunc_end86:
	.size	_ZN9rocsparseL28csrmvn_lrb_short_rows_kernelIliaaiiEEvbT_PT0_S3_jNS_24const_host_device_scalarIT4_EEPKS1_PKS2_PKT1_PKT2_S6_PT3_21rocsparse_index_base_b, .Lfunc_end86-_ZN9rocsparseL28csrmvn_lrb_short_rows_kernelIliaaiiEEvbT_PT0_S3_jNS_24const_host_device_scalarIT4_EEPKS1_PKS2_PKT1_PKT2_S6_PT3_21rocsparse_index_base_b
                                        ; -- End function
	.set _ZN9rocsparseL28csrmvn_lrb_short_rows_kernelIliaaiiEEvbT_PT0_S3_jNS_24const_host_device_scalarIT4_EEPKS1_PKS2_PKT1_PKT2_S6_PT3_21rocsparse_index_base_b.num_vgpr, 8
	.set _ZN9rocsparseL28csrmvn_lrb_short_rows_kernelIliaaiiEEvbT_PT0_S3_jNS_24const_host_device_scalarIT4_EEPKS1_PKS2_PKT1_PKT2_S6_PT3_21rocsparse_index_base_b.num_agpr, 0
	.set _ZN9rocsparseL28csrmvn_lrb_short_rows_kernelIliaaiiEEvbT_PT0_S3_jNS_24const_host_device_scalarIT4_EEPKS1_PKS2_PKT1_PKT2_S6_PT3_21rocsparse_index_base_b.numbered_sgpr, 24
	.set _ZN9rocsparseL28csrmvn_lrb_short_rows_kernelIliaaiiEEvbT_PT0_S3_jNS_24const_host_device_scalarIT4_EEPKS1_PKS2_PKT1_PKT2_S6_PT3_21rocsparse_index_base_b.num_named_barrier, 0
	.set _ZN9rocsparseL28csrmvn_lrb_short_rows_kernelIliaaiiEEvbT_PT0_S3_jNS_24const_host_device_scalarIT4_EEPKS1_PKS2_PKT1_PKT2_S6_PT3_21rocsparse_index_base_b.private_seg_size, 0
	.set _ZN9rocsparseL28csrmvn_lrb_short_rows_kernelIliaaiiEEvbT_PT0_S3_jNS_24const_host_device_scalarIT4_EEPKS1_PKS2_PKT1_PKT2_S6_PT3_21rocsparse_index_base_b.uses_vcc, 1
	.set _ZN9rocsparseL28csrmvn_lrb_short_rows_kernelIliaaiiEEvbT_PT0_S3_jNS_24const_host_device_scalarIT4_EEPKS1_PKS2_PKT1_PKT2_S6_PT3_21rocsparse_index_base_b.uses_flat_scratch, 0
	.set _ZN9rocsparseL28csrmvn_lrb_short_rows_kernelIliaaiiEEvbT_PT0_S3_jNS_24const_host_device_scalarIT4_EEPKS1_PKS2_PKT1_PKT2_S6_PT3_21rocsparse_index_base_b.has_dyn_sized_stack, 0
	.set _ZN9rocsparseL28csrmvn_lrb_short_rows_kernelIliaaiiEEvbT_PT0_S3_jNS_24const_host_device_scalarIT4_EEPKS1_PKS2_PKT1_PKT2_S6_PT3_21rocsparse_index_base_b.has_recursion, 0
	.set _ZN9rocsparseL28csrmvn_lrb_short_rows_kernelIliaaiiEEvbT_PT0_S3_jNS_24const_host_device_scalarIT4_EEPKS1_PKS2_PKT1_PKT2_S6_PT3_21rocsparse_index_base_b.has_indirect_call, 0
	.section	.AMDGPU.csdata,"",@progbits
; Kernel info:
; codeLenInByte = 820
; TotalNumSgprs: 26
; NumVgprs: 8
; ScratchSize: 0
; MemoryBound: 0
; FloatMode: 240
; IeeeMode: 1
; LDSByteSize: 0 bytes/workgroup (compile time only)
; SGPRBlocks: 0
; VGPRBlocks: 0
; NumSGPRsForWavesPerEU: 26
; NumVGPRsForWavesPerEU: 8
; NamedBarCnt: 0
; Occupancy: 16
; WaveLimiterHint : 1
; COMPUTE_PGM_RSRC2:SCRATCH_EN: 0
; COMPUTE_PGM_RSRC2:USER_SGPR: 2
; COMPUTE_PGM_RSRC2:TRAP_HANDLER: 0
; COMPUTE_PGM_RSRC2:TGID_X_EN: 1
; COMPUTE_PGM_RSRC2:TGID_Y_EN: 0
; COMPUTE_PGM_RSRC2:TGID_Z_EN: 0
; COMPUTE_PGM_RSRC2:TIDIG_COMP_CNT: 0
	.section	.text._ZN9rocsparseL30csrmvn_lrb_short_rows_2_kernelIliaaiiEEvbT_PT0_S3_jNS_24const_host_device_scalarIT4_EEPKS1_PKS2_PKT1_PKT2_S6_PT3_21rocsparse_index_base_b,"axG",@progbits,_ZN9rocsparseL30csrmvn_lrb_short_rows_2_kernelIliaaiiEEvbT_PT0_S3_jNS_24const_host_device_scalarIT4_EEPKS1_PKS2_PKT1_PKT2_S6_PT3_21rocsparse_index_base_b,comdat
	.globl	_ZN9rocsparseL30csrmvn_lrb_short_rows_2_kernelIliaaiiEEvbT_PT0_S3_jNS_24const_host_device_scalarIT4_EEPKS1_PKS2_PKT1_PKT2_S6_PT3_21rocsparse_index_base_b ; -- Begin function _ZN9rocsparseL30csrmvn_lrb_short_rows_2_kernelIliaaiiEEvbT_PT0_S3_jNS_24const_host_device_scalarIT4_EEPKS1_PKS2_PKT1_PKT2_S6_PT3_21rocsparse_index_base_b
	.p2align	8
	.type	_ZN9rocsparseL30csrmvn_lrb_short_rows_2_kernelIliaaiiEEvbT_PT0_S3_jNS_24const_host_device_scalarIT4_EEPKS1_PKS2_PKT1_PKT2_S6_PT3_21rocsparse_index_base_b,@function
_ZN9rocsparseL30csrmvn_lrb_short_rows_2_kernelIliaaiiEEvbT_PT0_S3_jNS_24const_host_device_scalarIT4_EEPKS1_PKS2_PKT1_PKT2_S6_PT3_21rocsparse_index_base_b: ; @_ZN9rocsparseL30csrmvn_lrb_short_rows_2_kernelIliaaiiEEvbT_PT0_S3_jNS_24const_host_device_scalarIT4_EEPKS1_PKS2_PKT1_PKT2_S6_PT3_21rocsparse_index_base_b
; %bb.0:
	s_clause 0x1
	s_load_b64 s[2:3], s[0:1], 0x60
	s_load_b64 s[6:7], s[0:1], 0x28
	s_mov_b32 s8, -1
                                        ; implicit-def: $sgpr18
	s_wait_kmcnt 0x0
	s_bitcmp1_b32 s3, 0
	s_cselect_b32 s3, -1, 0
	s_delay_alu instid0(SALU_CYCLE_1) | instskip(NEXT) | instid1(SALU_CYCLE_1)
	s_xor_b32 s3, s3, -1
	s_and_b32 vcc_lo, exec_lo, s3
	s_cbranch_vccnz .LBB87_4
; %bb.1:
	s_load_b64 s[4:5], s[0:1], 0x50
	s_and_not1_b32 vcc_lo, exec_lo, s8
	s_cbranch_vccz .LBB87_5
.LBB87_2:
	s_and_b32 vcc_lo, exec_lo, s3
	s_cbranch_vccz .LBB87_6
.LBB87_3:
	s_wait_kmcnt 0x0
	s_load_b32 s16, s[4:5], 0x0
	s_cbranch_execz .LBB87_7
	s_branch .LBB87_8
.LBB87_4:
	s_load_b32 s18, s[6:7], 0x0
	s_load_b64 s[4:5], s[0:1], 0x50
	s_cbranch_execnz .LBB87_2
.LBB87_5:
	s_wait_kmcnt 0x0
	s_mov_b32 s18, s6
	s_and_b32 vcc_lo, exec_lo, s3
	s_cbranch_vccnz .LBB87_3
.LBB87_6:
                                        ; implicit-def: $sgpr16
.LBB87_7:
	s_wait_kmcnt 0x0
	s_mov_b32 s16, s4
.LBB87_8:
	s_wait_kmcnt 0x0
	s_cmp_lg_u32 s18, 0
	s_cselect_b32 s3, -1, 0
	s_cmp_lg_u32 s16, 1
	s_cselect_b32 s4, -1, 0
	s_delay_alu instid0(SALU_CYCLE_1) | instskip(NEXT) | instid1(SALU_CYCLE_1)
	s_or_b32 s3, s3, s4
	s_and_not1_b32 vcc_lo, exec_lo, s3
	s_mov_b32 s3, 0
	s_cbranch_vccnz .LBB87_34
; %bb.9:
	s_clause 0x1
	s_load_b32 s17, s[0:1], 0x20
	s_load_b128 s[12:15], s[0:1], 0x10
	s_getreg_b32 s21, hwreg(HW_REG_IB_STS2, 6, 4)
	s_wait_kmcnt 0x0
	v_dual_mov_b32 v7, 0 :: v_dual_lshrrev_b32 v1, s17, v0
	s_add_co_i32 s4, s17, 1
	s_clause 0x1
	s_load_b32 s19, s[14:15], s17 offset:0x0 scale_offset
	s_load_b32 s20, s[14:15], s4 offset:0x0 scale_offset
	s_wait_xcnt 0x0
	s_bfe_u32 s14, ttmp6, 0x4000c
	s_load_b256 s[4:11], s[0:1], 0x30
	s_add_co_i32 s14, s14, 1
	s_and_b32 s15, ttmp6, 15
	s_mul_i32 s14, ttmp9, s14
	v_bfe_u32 v6, v0, 0, s17
	s_add_co_i32 s15, s15, s14
	s_lshr_b32 s14, 0x400, s17
	s_wait_kmcnt 0x0
	s_sub_co_i32 s20, s20, s19
	s_cmp_eq_u32 s21, 0
	s_cselect_b32 s15, ttmp9, s15
	s_delay_alu instid0(SALU_CYCLE_1) | instskip(NEXT) | instid1(SALU_CYCLE_1)
	s_mul_i32 s15, s14, s15
	v_add_nc_u32_e32 v1, s15, v1
	s_add_co_i32 s21, s15, s14
	s_delay_alu instid0(SALU_CYCLE_1) | instskip(SKIP_1) | instid1(VALU_DEP_1)
	s_min_u32 s20, s20, s21
	s_mov_b32 s21, exec_lo
	v_cmpx_gt_u32_e64 s20, v1
	s_cbranch_execz .LBB87_13
; %bb.10:
	v_add_nc_u32_e32 v1, s19, v1
	s_mov_b32 s22, exec_lo
	global_load_b32 v2, v1, s[12:13] scale_offset
	s_wait_loadcnt 0x0
	v_dual_mov_b32 v1, v7 :: v_dual_ashrrev_i32 v3, 31, v2
	s_delay_alu instid0(VALU_DEP_1) | instskip(SKIP_3) | instid1(VALU_DEP_1)
	v_lshl_add_u64 v[2:3], v[2:3], 3, s[4:5]
	global_load_b128 v[2:5], v[2:3], off
	s_wait_loadcnt 0x0
	v_sub_nc_u64_e32 v[4:5], v[4:5], v[2:3]
	v_cmpx_gt_i64_e64 v[4:5], v[6:7]
	s_cbranch_execz .LBB87_12
; %bb.11:
	v_sub_nc_u64_e64 v[2:3], v[2:3], s[2:3]
	s_delay_alu instid0(VALU_DEP_1) | instskip(NEXT) | instid1(VALU_DEP_1)
	v_add_nc_u64_e32 v[2:3], v[2:3], v[6:7]
	v_lshl_add_u64 v[4:5], v[2:3], 2, s[6:7]
	v_add_nc_u64_e32 v[2:3], s[8:9], v[2:3]
	global_load_b32 v1, v[4:5], off
	global_load_i8 v2, v[2:3], off
	s_wait_loadcnt 0x1
	v_subrev_nc_u32_e32 v1, s2, v1
	s_wait_loadcnt 0x0
	v_mul_lo_u32 v2, s18, v2
	global_load_i8 v1, v1, s[10:11]
	s_wait_loadcnt 0x0
	v_mul_lo_u32 v1, v2, v1
.LBB87_12:
	s_or_b32 exec_lo, exec_lo, s22
	v_lshlrev_b32_e32 v2, 2, v0
	ds_store_b32 v2, v1
.LBB87_13:
	s_or_b32 exec_lo, exec_lo, s21
	s_load_b64 s[0:1], s[0:1], 0x58
	v_or_b32_e32 v1, 0x100, v0
	s_mov_b32 s21, exec_lo
	s_delay_alu instid0(VALU_DEP_1) | instskip(NEXT) | instid1(VALU_DEP_1)
	v_lshrrev_b32_e32 v1, s17, v1
	v_add_nc_u32_e32 v1, s15, v1
	s_delay_alu instid0(VALU_DEP_1)
	v_cmpx_gt_u32_e64 s20, v1
	s_cbranch_execz .LBB87_17
; %bb.14:
	v_add_nc_u32_e32 v1, s19, v1
	s_mov_b32 s22, exec_lo
	global_load_b32 v2, v1, s[12:13] scale_offset
	s_wait_loadcnt 0x0
	v_dual_mov_b32 v1, 0 :: v_dual_ashrrev_i32 v3, 31, v2
	s_delay_alu instid0(VALU_DEP_1) | instskip(SKIP_3) | instid1(VALU_DEP_1)
	v_lshl_add_u64 v[2:3], v[2:3], 3, s[4:5]
	global_load_b128 v[2:5], v[2:3], off
	s_wait_loadcnt 0x0
	v_sub_nc_u64_e32 v[4:5], v[4:5], v[2:3]
	v_cmpx_gt_i64_e64 v[4:5], v[6:7]
	s_cbranch_execz .LBB87_16
; %bb.15:
	v_sub_nc_u64_e64 v[2:3], v[2:3], s[2:3]
	s_delay_alu instid0(VALU_DEP_1) | instskip(NEXT) | instid1(VALU_DEP_1)
	v_add_nc_u64_e32 v[2:3], v[2:3], v[6:7]
	v_lshl_add_u64 v[4:5], v[2:3], 2, s[6:7]
	v_add_nc_u64_e32 v[2:3], s[8:9], v[2:3]
	global_load_b32 v1, v[4:5], off
	global_load_i8 v2, v[2:3], off
	s_wait_loadcnt 0x1
	v_subrev_nc_u32_e32 v1, s2, v1
	s_wait_loadcnt 0x0
	v_mul_lo_u32 v2, s18, v2
	global_load_i8 v1, v1, s[10:11]
	s_wait_loadcnt 0x0
	v_mul_lo_u32 v1, v2, v1
.LBB87_16:
	s_or_b32 exec_lo, exec_lo, s22
	v_lshlrev_b32_e32 v2, 2, v0
	ds_store_b32 v2, v1 offset:1024
.LBB87_17:
	s_or_b32 exec_lo, exec_lo, s21
	v_or_b32_e32 v1, 0x200, v0
	s_mov_b32 s21, exec_lo
	s_delay_alu instid0(VALU_DEP_1) | instskip(NEXT) | instid1(VALU_DEP_1)
	v_lshrrev_b32_e32 v1, s17, v1
	v_add_nc_u32_e32 v1, s15, v1
	s_delay_alu instid0(VALU_DEP_1)
	v_cmpx_gt_u32_e64 s20, v1
	s_cbranch_execz .LBB87_21
; %bb.18:
	v_add_nc_u32_e32 v1, s19, v1
	s_mov_b32 s22, exec_lo
	global_load_b32 v2, v1, s[12:13] scale_offset
	s_wait_loadcnt 0x0
	v_dual_mov_b32 v1, 0 :: v_dual_ashrrev_i32 v3, 31, v2
	s_delay_alu instid0(VALU_DEP_1) | instskip(SKIP_3) | instid1(VALU_DEP_1)
	v_lshl_add_u64 v[2:3], v[2:3], 3, s[4:5]
	global_load_b128 v[2:5], v[2:3], off
	s_wait_loadcnt 0x0
	v_sub_nc_u64_e32 v[4:5], v[4:5], v[2:3]
	v_cmpx_gt_i64_e64 v[4:5], v[6:7]
	s_cbranch_execz .LBB87_20
; %bb.19:
	v_sub_nc_u64_e64 v[2:3], v[2:3], s[2:3]
	s_delay_alu instid0(VALU_DEP_1) | instskip(NEXT) | instid1(VALU_DEP_1)
	v_add_nc_u64_e32 v[2:3], v[2:3], v[6:7]
	v_lshl_add_u64 v[4:5], v[2:3], 2, s[6:7]
	v_add_nc_u64_e32 v[2:3], s[8:9], v[2:3]
	global_load_b32 v1, v[4:5], off
	global_load_i8 v2, v[2:3], off
	s_wait_loadcnt 0x1
	v_subrev_nc_u32_e32 v1, s2, v1
	s_wait_loadcnt 0x0
	v_mul_lo_u32 v2, s18, v2
	global_load_i8 v1, v1, s[10:11]
	s_wait_loadcnt 0x0
	v_mul_lo_u32 v1, v2, v1
.LBB87_20:
	s_or_b32 exec_lo, exec_lo, s22
	v_lshlrev_b32_e32 v2, 2, v0
	ds_store_b32 v2, v1 offset:2048
.LBB87_21:
	s_or_b32 exec_lo, exec_lo, s21
	v_or_b32_e32 v1, 0x300, v0
	s_mov_b32 s21, exec_lo
	s_delay_alu instid0(VALU_DEP_1) | instskip(NEXT) | instid1(VALU_DEP_1)
	v_lshrrev_b32_e32 v1, s17, v1
	v_add_nc_u32_e32 v1, s15, v1
	s_delay_alu instid0(VALU_DEP_1)
	v_cmpx_gt_u32_e64 s20, v1
	s_cbranch_execz .LBB87_25
; %bb.22:
	v_add_nc_u32_e32 v1, s19, v1
	global_load_b32 v2, v1, s[12:13] scale_offset
	s_wait_loadcnt 0x0
	v_dual_mov_b32 v1, 0 :: v_dual_ashrrev_i32 v3, 31, v2
	s_delay_alu instid0(VALU_DEP_1) | instskip(SKIP_4) | instid1(VALU_DEP_1)
	v_lshl_add_u64 v[2:3], v[2:3], 3, s[4:5]
	s_mov_b32 s4, exec_lo
	global_load_b128 v[2:5], v[2:3], off
	s_wait_loadcnt 0x0
	v_sub_nc_u64_e32 v[4:5], v[4:5], v[2:3]
	v_cmpx_gt_i64_e64 v[4:5], v[6:7]
	s_cbranch_execz .LBB87_24
; %bb.23:
	v_sub_nc_u64_e64 v[2:3], v[2:3], s[2:3]
	s_delay_alu instid0(VALU_DEP_1) | instskip(NEXT) | instid1(VALU_DEP_1)
	v_add_nc_u64_e32 v[2:3], v[2:3], v[6:7]
	v_lshl_add_u64 v[4:5], v[2:3], 2, s[6:7]
	v_add_nc_u64_e32 v[2:3], s[8:9], v[2:3]
	global_load_b32 v1, v[4:5], off
	global_load_i8 v2, v[2:3], off
	s_wait_loadcnt 0x1
	v_subrev_nc_u32_e32 v1, s2, v1
	s_wait_loadcnt 0x0
	v_mul_lo_u32 v2, s18, v2
	global_load_i8 v1, v1, s[10:11]
	s_wait_loadcnt 0x0
	v_mul_lo_u32 v1, v2, v1
.LBB87_24:
	s_or_b32 exec_lo, exec_lo, s4
	v_lshlrev_b32_e32 v2, 2, v0
	ds_store_b32 v2, v1 offset:3072
.LBB87_25:
	s_or_b32 exec_lo, exec_lo, s21
	s_cmp_lt_u32 s17, 11
	s_wait_dscnt 0x0
	s_barrier_signal -1
	s_barrier_wait -1
	s_cbranch_scc0 .LBB87_34
; %bb.26:
	s_sub_co_i32 s2, s20, s15
	s_add_co_i32 s19, s19, s15
	s_cmp_lg_u32 s16, 0
	s_cselect_b32 s4, -1, 0
	s_branch .LBB87_29
.LBB87_27:                              ;   in Loop: Header=BB87_29 Depth=1
	global_store_b32 v[2:3], v1, off
.LBB87_28:                              ;   in Loop: Header=BB87_29 Depth=1
	s_wait_xcnt 0x0
	s_or_b32 exec_lo, exec_lo, s5
	s_addk_co_i32 s3, 0x100
	s_delay_alu instid0(SALU_CYCLE_1)
	s_cmp_lt_u32 s3, s14
	s_cbranch_scc0 .LBB87_34
.LBB87_29:                              ; =>This Loop Header: Depth=1
                                        ;     Child Loop BB87_31 Depth 2
	v_add_nc_u32_e32 v1, s3, v0
	s_mov_b32 s5, exec_lo
	s_delay_alu instid0(VALU_DEP_1)
	v_cmpx_gt_u32_e64 s2, v1
	s_cbranch_execz .LBB87_28
; %bb.30:                               ;   in Loop: Header=BB87_29 Depth=1
	v_dual_add_nc_u32 v2, s19, v1 :: v_dual_lshlrev_b32 v1, s17, v1
	s_mov_b32 s6, 1
	global_load_b32 v2, v2, s[12:13] scale_offset
	v_dual_lshlrev_b32 v3, 2, v1 :: v_dual_mov_b32 v1, 0
.LBB87_31:                              ;   Parent Loop BB87_29 Depth=1
                                        ; =>  This Inner Loop Header: Depth=2
	ds_load_b32 v4, v3
	v_add_nc_u32_e32 v3, 4, v3
	s_lshr_b32 s7, s6, s17
	s_add_co_i32 s6, s6, 1
	s_cmp_lg_u32 s7, 0
	s_wait_dscnt 0x0
	v_add_nc_u32_e32 v1, v4, v1
	s_cbranch_scc0 .LBB87_31
; %bb.32:                               ;   in Loop: Header=BB87_29 Depth=1
	s_wait_loadcnt 0x0
	v_ashrrev_i32_e32 v3, 31, v2
	s_and_b32 vcc_lo, exec_lo, s4
	s_wait_kmcnt 0x0
	s_wait_xcnt 0x0
	s_delay_alu instid0(VALU_DEP_1)
	v_lshl_add_u64 v[2:3], v[2:3], 2, s[0:1]
	s_cbranch_vccz .LBB87_27
; %bb.33:                               ;   in Loop: Header=BB87_29 Depth=1
	global_load_b32 v4, v[2:3], off
	s_wait_loadcnt 0x0
	v_mad_u32 v1, v4, s16, v1
	s_branch .LBB87_27
.LBB87_34:
	s_endpgm
	.section	.rodata,"a",@progbits
	.p2align	6, 0x0
	.amdhsa_kernel _ZN9rocsparseL30csrmvn_lrb_short_rows_2_kernelIliaaiiEEvbT_PT0_S3_jNS_24const_host_device_scalarIT4_EEPKS1_PKS2_PKT1_PKT2_S6_PT3_21rocsparse_index_base_b
		.amdhsa_group_segment_fixed_size 4096
		.amdhsa_private_segment_fixed_size 0
		.amdhsa_kernarg_size 104
		.amdhsa_user_sgpr_count 2
		.amdhsa_user_sgpr_dispatch_ptr 0
		.amdhsa_user_sgpr_queue_ptr 0
		.amdhsa_user_sgpr_kernarg_segment_ptr 1
		.amdhsa_user_sgpr_dispatch_id 0
		.amdhsa_user_sgpr_kernarg_preload_length 0
		.amdhsa_user_sgpr_kernarg_preload_offset 0
		.amdhsa_user_sgpr_private_segment_size 0
		.amdhsa_wavefront_size32 1
		.amdhsa_uses_dynamic_stack 0
		.amdhsa_enable_private_segment 0
		.amdhsa_system_sgpr_workgroup_id_x 1
		.amdhsa_system_sgpr_workgroup_id_y 0
		.amdhsa_system_sgpr_workgroup_id_z 0
		.amdhsa_system_sgpr_workgroup_info 0
		.amdhsa_system_vgpr_workitem_id 0
		.amdhsa_next_free_vgpr 8
		.amdhsa_next_free_sgpr 23
		.amdhsa_named_barrier_count 0
		.amdhsa_reserve_vcc 1
		.amdhsa_float_round_mode_32 0
		.amdhsa_float_round_mode_16_64 0
		.amdhsa_float_denorm_mode_32 3
		.amdhsa_float_denorm_mode_16_64 3
		.amdhsa_fp16_overflow 0
		.amdhsa_memory_ordered 1
		.amdhsa_forward_progress 1
		.amdhsa_inst_pref_size 12
		.amdhsa_round_robin_scheduling 0
		.amdhsa_exception_fp_ieee_invalid_op 0
		.amdhsa_exception_fp_denorm_src 0
		.amdhsa_exception_fp_ieee_div_zero 0
		.amdhsa_exception_fp_ieee_overflow 0
		.amdhsa_exception_fp_ieee_underflow 0
		.amdhsa_exception_fp_ieee_inexact 0
		.amdhsa_exception_int_div_zero 0
	.end_amdhsa_kernel
	.section	.text._ZN9rocsparseL30csrmvn_lrb_short_rows_2_kernelIliaaiiEEvbT_PT0_S3_jNS_24const_host_device_scalarIT4_EEPKS1_PKS2_PKT1_PKT2_S6_PT3_21rocsparse_index_base_b,"axG",@progbits,_ZN9rocsparseL30csrmvn_lrb_short_rows_2_kernelIliaaiiEEvbT_PT0_S3_jNS_24const_host_device_scalarIT4_EEPKS1_PKS2_PKT1_PKT2_S6_PT3_21rocsparse_index_base_b,comdat
.Lfunc_end87:
	.size	_ZN9rocsparseL30csrmvn_lrb_short_rows_2_kernelIliaaiiEEvbT_PT0_S3_jNS_24const_host_device_scalarIT4_EEPKS1_PKS2_PKT1_PKT2_S6_PT3_21rocsparse_index_base_b, .Lfunc_end87-_ZN9rocsparseL30csrmvn_lrb_short_rows_2_kernelIliaaiiEEvbT_PT0_S3_jNS_24const_host_device_scalarIT4_EEPKS1_PKS2_PKT1_PKT2_S6_PT3_21rocsparse_index_base_b
                                        ; -- End function
	.set _ZN9rocsparseL30csrmvn_lrb_short_rows_2_kernelIliaaiiEEvbT_PT0_S3_jNS_24const_host_device_scalarIT4_EEPKS1_PKS2_PKT1_PKT2_S6_PT3_21rocsparse_index_base_b.num_vgpr, 8
	.set _ZN9rocsparseL30csrmvn_lrb_short_rows_2_kernelIliaaiiEEvbT_PT0_S3_jNS_24const_host_device_scalarIT4_EEPKS1_PKS2_PKT1_PKT2_S6_PT3_21rocsparse_index_base_b.num_agpr, 0
	.set _ZN9rocsparseL30csrmvn_lrb_short_rows_2_kernelIliaaiiEEvbT_PT0_S3_jNS_24const_host_device_scalarIT4_EEPKS1_PKS2_PKT1_PKT2_S6_PT3_21rocsparse_index_base_b.numbered_sgpr, 23
	.set _ZN9rocsparseL30csrmvn_lrb_short_rows_2_kernelIliaaiiEEvbT_PT0_S3_jNS_24const_host_device_scalarIT4_EEPKS1_PKS2_PKT1_PKT2_S6_PT3_21rocsparse_index_base_b.num_named_barrier, 0
	.set _ZN9rocsparseL30csrmvn_lrb_short_rows_2_kernelIliaaiiEEvbT_PT0_S3_jNS_24const_host_device_scalarIT4_EEPKS1_PKS2_PKT1_PKT2_S6_PT3_21rocsparse_index_base_b.private_seg_size, 0
	.set _ZN9rocsparseL30csrmvn_lrb_short_rows_2_kernelIliaaiiEEvbT_PT0_S3_jNS_24const_host_device_scalarIT4_EEPKS1_PKS2_PKT1_PKT2_S6_PT3_21rocsparse_index_base_b.uses_vcc, 1
	.set _ZN9rocsparseL30csrmvn_lrb_short_rows_2_kernelIliaaiiEEvbT_PT0_S3_jNS_24const_host_device_scalarIT4_EEPKS1_PKS2_PKT1_PKT2_S6_PT3_21rocsparse_index_base_b.uses_flat_scratch, 0
	.set _ZN9rocsparseL30csrmvn_lrb_short_rows_2_kernelIliaaiiEEvbT_PT0_S3_jNS_24const_host_device_scalarIT4_EEPKS1_PKS2_PKT1_PKT2_S6_PT3_21rocsparse_index_base_b.has_dyn_sized_stack, 0
	.set _ZN9rocsparseL30csrmvn_lrb_short_rows_2_kernelIliaaiiEEvbT_PT0_S3_jNS_24const_host_device_scalarIT4_EEPKS1_PKS2_PKT1_PKT2_S6_PT3_21rocsparse_index_base_b.has_recursion, 0
	.set _ZN9rocsparseL30csrmvn_lrb_short_rows_2_kernelIliaaiiEEvbT_PT0_S3_jNS_24const_host_device_scalarIT4_EEPKS1_PKS2_PKT1_PKT2_S6_PT3_21rocsparse_index_base_b.has_indirect_call, 0
	.section	.AMDGPU.csdata,"",@progbits
; Kernel info:
; codeLenInByte = 1508
; TotalNumSgprs: 25
; NumVgprs: 8
; ScratchSize: 0
; MemoryBound: 0
; FloatMode: 240
; IeeeMode: 1
; LDSByteSize: 4096 bytes/workgroup (compile time only)
; SGPRBlocks: 0
; VGPRBlocks: 0
; NumSGPRsForWavesPerEU: 25
; NumVGPRsForWavesPerEU: 8
; NamedBarCnt: 0
; Occupancy: 16
; WaveLimiterHint : 1
; COMPUTE_PGM_RSRC2:SCRATCH_EN: 0
; COMPUTE_PGM_RSRC2:USER_SGPR: 2
; COMPUTE_PGM_RSRC2:TRAP_HANDLER: 0
; COMPUTE_PGM_RSRC2:TGID_X_EN: 1
; COMPUTE_PGM_RSRC2:TGID_Y_EN: 0
; COMPUTE_PGM_RSRC2:TGID_Z_EN: 0
; COMPUTE_PGM_RSRC2:TIDIG_COMP_CNT: 0
	.section	.text._ZN9rocsparseL41csrmvn_lrb_medium_rows_warp_reduce_kernelILj256ELj32EliaaiiEEvbT1_lPT2_S3_jNS_24const_host_device_scalarIT6_EEPKS1_PKS2_PKT3_PKT4_S6_PT5_21rocsparse_index_base_b,"axG",@progbits,_ZN9rocsparseL41csrmvn_lrb_medium_rows_warp_reduce_kernelILj256ELj32EliaaiiEEvbT1_lPT2_S3_jNS_24const_host_device_scalarIT6_EEPKS1_PKS2_PKT3_PKT4_S6_PT5_21rocsparse_index_base_b,comdat
	.globl	_ZN9rocsparseL41csrmvn_lrb_medium_rows_warp_reduce_kernelILj256ELj32EliaaiiEEvbT1_lPT2_S3_jNS_24const_host_device_scalarIT6_EEPKS1_PKS2_PKT3_PKT4_S6_PT5_21rocsparse_index_base_b ; -- Begin function _ZN9rocsparseL41csrmvn_lrb_medium_rows_warp_reduce_kernelILj256ELj32EliaaiiEEvbT1_lPT2_S3_jNS_24const_host_device_scalarIT6_EEPKS1_PKS2_PKT3_PKT4_S6_PT5_21rocsparse_index_base_b
	.p2align	8
	.type	_ZN9rocsparseL41csrmvn_lrb_medium_rows_warp_reduce_kernelILj256ELj32EliaaiiEEvbT1_lPT2_S3_jNS_24const_host_device_scalarIT6_EEPKS1_PKS2_PKT3_PKT4_S6_PT5_21rocsparse_index_base_b,@function
_ZN9rocsparseL41csrmvn_lrb_medium_rows_warp_reduce_kernelILj256ELj32EliaaiiEEvbT1_lPT2_S3_jNS_24const_host_device_scalarIT6_EEPKS1_PKS2_PKT3_PKT4_S6_PT5_21rocsparse_index_base_b: ; @_ZN9rocsparseL41csrmvn_lrb_medium_rows_warp_reduce_kernelILj256ELj32EliaaiiEEvbT1_lPT2_S3_jNS_24const_host_device_scalarIT6_EEPKS1_PKS2_PKT3_PKT4_S6_PT5_21rocsparse_index_base_b
; %bb.0:
	s_clause 0x1
	s_load_b64 s[2:3], s[0:1], 0x68
	s_load_b64 s[6:7], s[0:1], 0x30
	s_mov_b32 s8, -1
                                        ; implicit-def: $sgpr11
	s_wait_kmcnt 0x0
	s_bitcmp1_b32 s3, 0
	s_cselect_b32 s3, -1, 0
	s_delay_alu instid0(SALU_CYCLE_1) | instskip(NEXT) | instid1(SALU_CYCLE_1)
	s_xor_b32 s3, s3, -1
	s_and_b32 vcc_lo, exec_lo, s3
	s_cbranch_vccnz .LBB88_4
; %bb.1:
	s_load_b64 s[4:5], s[0:1], 0x58
	s_and_not1_b32 vcc_lo, exec_lo, s8
	s_cbranch_vccz .LBB88_5
.LBB88_2:
	s_and_b32 vcc_lo, exec_lo, s3
	s_cbranch_vccz .LBB88_6
.LBB88_3:
	s_wait_kmcnt 0x0
	s_load_b32 s10, s[4:5], 0x0
	s_cbranch_execz .LBB88_7
	s_branch .LBB88_8
.LBB88_4:
	s_load_b32 s11, s[6:7], 0x0
	s_load_b64 s[4:5], s[0:1], 0x58
	s_cbranch_execnz .LBB88_2
.LBB88_5:
	s_wait_kmcnt 0x0
	s_mov_b32 s11, s6
	s_and_b32 vcc_lo, exec_lo, s3
	s_cbranch_vccnz .LBB88_3
.LBB88_6:
                                        ; implicit-def: $sgpr10
.LBB88_7:
	s_wait_kmcnt 0x0
	s_mov_b32 s10, s4
.LBB88_8:
	s_wait_kmcnt 0x0
	s_cmp_lg_u32 s11, 0
	s_cselect_b32 s3, -1, 0
	s_cmp_lg_u32 s10, 1
	s_cselect_b32 s4, -1, 0
	s_delay_alu instid0(SALU_CYCLE_1) | instskip(NEXT) | instid1(SALU_CYCLE_1)
	s_or_b32 s3, s3, s4
	s_and_not1_b32 vcc_lo, exec_lo, s3
	s_cbranch_vccnz .LBB88_24
; %bb.9:
	s_bfe_u32 s3, ttmp6, 0x4000c
	s_load_b64 s[4:5], s[0:1], 0x10
	s_add_co_i32 s3, s3, 1
	s_and_b32 s6, ttmp6, 15
	s_mul_i32 s3, ttmp9, s3
	s_getreg_b32 s7, hwreg(HW_REG_IB_STS2, 6, 4)
	v_lshrrev_b32_e32 v1, 5, v0
	s_add_co_i32 s6, s6, s3
	s_cmp_eq_u32 s7, 0
	s_cselect_b32 s3, ttmp9, s6
	s_delay_alu instid0(VALU_DEP_1) | instid1(SALU_CYCLE_1)
	v_lshl_or_b32 v2, s3, 3, v1
	s_mov_b32 s3, exec_lo
	s_delay_alu instid0(VALU_DEP_1) | instskip(SKIP_1) | instid1(VALU_DEP_1)
	v_ashrrev_i32_e32 v3, 31, v2
	s_wait_kmcnt 0x0
	v_cmpx_gt_i64_e64 s[4:5], v[2:3]
	s_cbranch_execz .LBB88_24
; %bb.10:
	s_clause 0x1
	s_load_b128 s[4:7], s[0:1], 0x18
	s_load_b32 s3, s[0:1], 0x28
	s_mov_b32 s12, exec_lo
	v_and_b32_e32 v0, 31, v0
	s_wait_kmcnt 0x0
	s_load_b32 s3, s[6:7], s3 offset:0x0 scale_offset
	s_wait_kmcnt 0x0
	v_add_nc_u32_e32 v1, s3, v2
	s_mov_b32 s3, 0
	global_load_b32 v6, v1, s[4:5] scale_offset
	s_wait_xcnt 0x0
	s_load_b64 s[4:5], s[0:1], 0x38
	v_mov_b32_e32 v1, 0
	s_delay_alu instid0(VALU_DEP_1) | instskip(SKIP_3) | instid1(VALU_DEP_1)
	v_sub_nc_u64_e64 v[8:9], v[0:1], s[2:3]
	s_wait_loadcnt 0x0
	v_ashrrev_i32_e32 v7, 31, v6
	s_wait_kmcnt 0x0
	v_lshl_add_u64 v[2:3], v[6:7], 3, s[4:5]
	global_load_b128 v[2:5], v[2:3], off
	s_wait_loadcnt 0x0
	v_sub_nc_u64_e64 v[4:5], v[4:5], s[2:3]
	v_add_nc_u64_e32 v[8:9], v[2:3], v[8:9]
	s_delay_alu instid0(VALU_DEP_1)
	v_cmpx_lt_i64_e64 v[8:9], v[4:5]
	s_cbranch_execz .LBB88_20
; %bb.11:
	v_add_nc_u64_e32 v[10:11], v[2:3], v[0:1]
	s_clause 0x1
	s_load_b64 s[8:9], s[0:1], 0x50
	s_load_b128 s[4:7], s[0:1], 0x40
	v_not_b32_e32 v3, v3
	v_not_b32_e32 v2, v2
	s_mov_b32 s13, -1
	v_sub_nc_u64_e64 v[10:11], v[10:11], s[2:3]
	s_delay_alu instid0(VALU_DEP_1) | instskip(NEXT) | instid1(VALU_DEP_1)
	v_add_nc_u64_e32 v[12:13], 32, v[10:11]
	v_max_i64 v[10:11], v[12:13], v[4:5]
	s_delay_alu instid0(VALU_DEP_1) | instskip(SKIP_1) | instid1(VALU_DEP_1)
	v_add_nc_u64_e32 v[10:11], s[2:3], v[10:11]
	s_mov_b32 s3, exec_lo
	v_add_nc_u64_e32 v[2:3], v[10:11], v[2:3]
	s_delay_alu instid0(VALU_DEP_1) | instskip(SKIP_1) | instid1(VALU_DEP_2)
	v_sub_nc_u64_e32 v[2:3], v[2:3], v[0:1]
	v_mov_b32_e32 v1, 0
	v_cmpx_lt_u64_e32 31, v[2:3]
	s_cbranch_execz .LBB88_15
; %bb.12:
	v_lshrrev_b64 v[2:3], 5, v[2:3]
	s_wait_kmcnt 0x0
	v_lshl_add_u64 v[14:15], v[8:9], 2, s[4:5]
	v_add_nc_u64_e32 v[12:13], s[6:7], v[12:13]
	v_dual_mov_b32 v1, 0 :: v_dual_mov_b32 v18, 0
	s_mov_b32 s13, s11
	s_delay_alu instid0(VALU_DEP_3) | instskip(SKIP_3) | instid1(VALU_DEP_1)
	v_add_nc_u64_e32 v[14:15], 0x80, v[14:15]
	v_add_nc_u64_e32 v[2:3], 1, v[2:3]
	s_mov_b32 s15, s2
	s_mov_b32 s14, 0
	v_dual_mov_b32 v11, v3 :: v_dual_bitop2_b32 v10, -2, v2 bitop3:0x40
	s_delay_alu instid0(VALU_DEP_1)
	v_mov_b64_e32 v[16:17], v[10:11]
.LBB88_13:                              ; =>This Inner Loop Header: Depth=1
	s_clause 0x1
	global_load_b32 v19, v[14:15], off
	global_load_b32 v20, v[14:15], off offset:-128
	s_clause 0x1
	global_load_i8 v21, v[12:13], off
	global_load_i8 v22, v[12:13], off offset:-32
	v_add_nc_u64_e32 v[16:17], -2, v[16:17]
	s_wait_xcnt 0x0
	v_add_nc_u64_e32 v[12:13], 64, v[12:13]
	v_add_nc_u64_e32 v[14:15], 0x100, v[14:15]
	s_delay_alu instid0(VALU_DEP_3)
	v_cmp_eq_u64_e32 vcc_lo, 0, v[16:17]
	s_or_b32 s14, vcc_lo, s14
	s_wait_loadcnt 0x3
	v_subrev_nc_u32_e32 v19, s15, v19
	s_wait_loadcnt 0x2
	v_subrev_nc_u32_e32 v20, s2, v20
	s_clause 0x1
	global_load_i8 v23, v19, s[8:9]
	global_load_i8 v24, v20, s[8:9]
	s_wait_loadcnt 0x3
	s_wait_xcnt 0x1
	v_mul_lo_u32 v19, s13, v21
	s_wait_loadcnt 0x2
	s_wait_xcnt 0x0
	v_mul_lo_u32 v20, s11, v22
	s_wait_loadcnt 0x1
	s_delay_alu instid0(VALU_DEP_2) | instskip(SKIP_1) | instid1(VALU_DEP_2)
	v_mad_u32 v18, v19, v23, v18
	s_wait_loadcnt 0x0
	v_mad_u32 v1, v20, v24, v1
	s_and_not1_b32 exec_lo, exec_lo, s14
	s_cbranch_execnz .LBB88_13
; %bb.14:
	s_or_b32 exec_lo, exec_lo, s14
	v_lshlrev_b64_e32 v[12:13], 5, v[10:11]
	v_cmp_ne_u64_e32 vcc_lo, v[2:3], v[10:11]
	s_delay_alu instid0(VALU_DEP_3) | instskip(NEXT) | instid1(VALU_DEP_3)
	v_add_nc_u32_e32 v1, v1, v18
	v_add_nc_u64_e32 v[8:9], v[8:9], v[12:13]
	s_or_not1_b32 s13, vcc_lo, exec_lo
.LBB88_15:
	s_or_b32 exec_lo, exec_lo, s3
	s_and_saveexec_b32 s3, s13
	s_cbranch_execz .LBB88_19
; %bb.16:
	s_wait_kmcnt 0x0
	s_delay_alu instid0(VALU_DEP_1)
	v_lshl_add_u64 v[2:3], v[8:9], 2, s[4:5]
	s_mov_b32 s4, 0
.LBB88_17:                              ; =>This Inner Loop Header: Depth=1
	global_load_b32 v12, v[2:3], off
	v_add_nc_u64_e32 v[10:11], s[6:7], v[8:9]
	v_add_nc_u64_e32 v[8:9], 32, v[8:9]
	s_wait_xcnt 0x0
	v_add_nc_u64_e32 v[2:3], 0x80, v[2:3]
	global_load_i8 v10, v[10:11], off
	v_cmp_ge_i64_e32 vcc_lo, v[8:9], v[4:5]
	s_or_b32 s4, vcc_lo, s4
	s_wait_loadcnt 0x1
	s_wait_xcnt 0x0
	v_subrev_nc_u32_e32 v11, s2, v12
	global_load_i8 v11, v11, s[8:9]
	s_wait_loadcnt 0x1
	v_mul_lo_u32 v10, s11, v10
	s_wait_loadcnt 0x0
	s_delay_alu instid0(VALU_DEP_1)
	v_mad_u32 v1, v10, v11, v1
	s_and_not1_b32 exec_lo, exec_lo, s4
	s_cbranch_execnz .LBB88_17
; %bb.18:
	s_or_b32 exec_lo, exec_lo, s4
.LBB88_19:
	s_delay_alu instid0(SALU_CYCLE_1)
	s_or_b32 exec_lo, exec_lo, s3
.LBB88_20:
	s_delay_alu instid0(SALU_CYCLE_1) | instskip(SKIP_1) | instid1(VALU_DEP_1)
	s_or_b32 exec_lo, exec_lo, s12
	v_mbcnt_lo_u32_b32 v2, -1, 0
	v_xor_b32_e32 v4, 8, v2
	v_xor_b32_e32 v3, 16, v2
	s_delay_alu instid0(VALU_DEP_1) | instskip(SKIP_1) | instid1(VALU_DEP_4)
	v_cmp_gt_i32_e32 vcc_lo, 32, v3
	v_cndmask_b32_e32 v3, v2, v3, vcc_lo
	v_cmp_gt_i32_e32 vcc_lo, 32, v4
	v_cndmask_b32_e32 v4, v2, v4, vcc_lo
	s_delay_alu instid0(VALU_DEP_1)
	v_dual_lshlrev_b32 v4, 2, v4 :: v_dual_lshlrev_b32 v3, 2, v3
	ds_bpermute_b32 v3, v3, v1
	s_wait_dscnt 0x0
	v_add_nc_u32_e32 v1, v3, v1
	ds_bpermute_b32 v3, v4, v1
	v_xor_b32_e32 v4, 4, v2
	s_delay_alu instid0(VALU_DEP_1) | instskip(SKIP_2) | instid1(VALU_DEP_1)
	v_cmp_gt_i32_e32 vcc_lo, 32, v4
	s_wait_dscnt 0x0
	v_dual_cndmask_b32 v4, v2, v4 :: v_dual_add_nc_u32 v1, v3, v1
	v_lshlrev_b32_e32 v4, 2, v4
	ds_bpermute_b32 v3, v4, v1
	s_wait_dscnt 0x0
	v_dual_add_nc_u32 v1, v3, v1 :: v_dual_bitop2_b32 v4, 2, v2 bitop3:0x14
	s_delay_alu instid0(VALU_DEP_1) | instskip(SKIP_1) | instid1(VALU_DEP_1)
	v_cmp_gt_i32_e32 vcc_lo, 32, v4
	v_cndmask_b32_e32 v4, v2, v4, vcc_lo
	v_lshlrev_b32_e32 v4, 2, v4
	ds_bpermute_b32 v3, v4, v1
	v_xor_b32_e32 v4, 1, v2
	s_delay_alu instid0(VALU_DEP_1) | instskip(SKIP_3) | instid1(VALU_DEP_2)
	v_cmp_gt_i32_e32 vcc_lo, 32, v4
	v_cndmask_b32_e32 v2, v2, v4, vcc_lo
	v_cmp_eq_u32_e32 vcc_lo, 31, v0
	s_wait_dscnt 0x0
	v_dual_lshlrev_b32 v2, 2, v2 :: v_dual_add_nc_u32 v1, v3, v1
	ds_bpermute_b32 v2, v2, v1
	s_and_b32 exec_lo, exec_lo, vcc_lo
	s_cbranch_execz .LBB88_24
; %bb.21:
	s_wait_xcnt 0x0
	s_load_b64 s[0:1], s[0:1], 0x60
	s_wait_dscnt 0x0
	v_add_nc_u32_e32 v2, v2, v1
	s_cmp_eq_u32 s10, 0
	s_wait_kmcnt 0x0
	v_lshl_add_u64 v[0:1], v[6:7], 2, s[0:1]
	s_cbranch_scc1 .LBB88_23
; %bb.22:
	global_load_b32 v3, v[0:1], off
	s_wait_loadcnt 0x0
	v_mad_u32 v2, v3, s10, v2
.LBB88_23:
	global_store_b32 v[0:1], v2, off
.LBB88_24:
	s_endpgm
	.section	.rodata,"a",@progbits
	.p2align	6, 0x0
	.amdhsa_kernel _ZN9rocsparseL41csrmvn_lrb_medium_rows_warp_reduce_kernelILj256ELj32EliaaiiEEvbT1_lPT2_S3_jNS_24const_host_device_scalarIT6_EEPKS1_PKS2_PKT3_PKT4_S6_PT5_21rocsparse_index_base_b
		.amdhsa_group_segment_fixed_size 0
		.amdhsa_private_segment_fixed_size 0
		.amdhsa_kernarg_size 112
		.amdhsa_user_sgpr_count 2
		.amdhsa_user_sgpr_dispatch_ptr 0
		.amdhsa_user_sgpr_queue_ptr 0
		.amdhsa_user_sgpr_kernarg_segment_ptr 1
		.amdhsa_user_sgpr_dispatch_id 0
		.amdhsa_user_sgpr_kernarg_preload_length 0
		.amdhsa_user_sgpr_kernarg_preload_offset 0
		.amdhsa_user_sgpr_private_segment_size 0
		.amdhsa_wavefront_size32 1
		.amdhsa_uses_dynamic_stack 0
		.amdhsa_enable_private_segment 0
		.amdhsa_system_sgpr_workgroup_id_x 1
		.amdhsa_system_sgpr_workgroup_id_y 0
		.amdhsa_system_sgpr_workgroup_id_z 0
		.amdhsa_system_sgpr_workgroup_info 0
		.amdhsa_system_vgpr_workitem_id 0
		.amdhsa_next_free_vgpr 25
		.amdhsa_next_free_sgpr 16
		.amdhsa_named_barrier_count 0
		.amdhsa_reserve_vcc 1
		.amdhsa_float_round_mode_32 0
		.amdhsa_float_round_mode_16_64 0
		.amdhsa_float_denorm_mode_32 3
		.amdhsa_float_denorm_mode_16_64 3
		.amdhsa_fp16_overflow 0
		.amdhsa_memory_ordered 1
		.amdhsa_forward_progress 1
		.amdhsa_inst_pref_size 10
		.amdhsa_round_robin_scheduling 0
		.amdhsa_exception_fp_ieee_invalid_op 0
		.amdhsa_exception_fp_denorm_src 0
		.amdhsa_exception_fp_ieee_div_zero 0
		.amdhsa_exception_fp_ieee_overflow 0
		.amdhsa_exception_fp_ieee_underflow 0
		.amdhsa_exception_fp_ieee_inexact 0
		.amdhsa_exception_int_div_zero 0
	.end_amdhsa_kernel
	.section	.text._ZN9rocsparseL41csrmvn_lrb_medium_rows_warp_reduce_kernelILj256ELj32EliaaiiEEvbT1_lPT2_S3_jNS_24const_host_device_scalarIT6_EEPKS1_PKS2_PKT3_PKT4_S6_PT5_21rocsparse_index_base_b,"axG",@progbits,_ZN9rocsparseL41csrmvn_lrb_medium_rows_warp_reduce_kernelILj256ELj32EliaaiiEEvbT1_lPT2_S3_jNS_24const_host_device_scalarIT6_EEPKS1_PKS2_PKT3_PKT4_S6_PT5_21rocsparse_index_base_b,comdat
.Lfunc_end88:
	.size	_ZN9rocsparseL41csrmvn_lrb_medium_rows_warp_reduce_kernelILj256ELj32EliaaiiEEvbT1_lPT2_S3_jNS_24const_host_device_scalarIT6_EEPKS1_PKS2_PKT3_PKT4_S6_PT5_21rocsparse_index_base_b, .Lfunc_end88-_ZN9rocsparseL41csrmvn_lrb_medium_rows_warp_reduce_kernelILj256ELj32EliaaiiEEvbT1_lPT2_S3_jNS_24const_host_device_scalarIT6_EEPKS1_PKS2_PKT3_PKT4_S6_PT5_21rocsparse_index_base_b
                                        ; -- End function
	.set _ZN9rocsparseL41csrmvn_lrb_medium_rows_warp_reduce_kernelILj256ELj32EliaaiiEEvbT1_lPT2_S3_jNS_24const_host_device_scalarIT6_EEPKS1_PKS2_PKT3_PKT4_S6_PT5_21rocsparse_index_base_b.num_vgpr, 25
	.set _ZN9rocsparseL41csrmvn_lrb_medium_rows_warp_reduce_kernelILj256ELj32EliaaiiEEvbT1_lPT2_S3_jNS_24const_host_device_scalarIT6_EEPKS1_PKS2_PKT3_PKT4_S6_PT5_21rocsparse_index_base_b.num_agpr, 0
	.set _ZN9rocsparseL41csrmvn_lrb_medium_rows_warp_reduce_kernelILj256ELj32EliaaiiEEvbT1_lPT2_S3_jNS_24const_host_device_scalarIT6_EEPKS1_PKS2_PKT3_PKT4_S6_PT5_21rocsparse_index_base_b.numbered_sgpr, 16
	.set _ZN9rocsparseL41csrmvn_lrb_medium_rows_warp_reduce_kernelILj256ELj32EliaaiiEEvbT1_lPT2_S3_jNS_24const_host_device_scalarIT6_EEPKS1_PKS2_PKT3_PKT4_S6_PT5_21rocsparse_index_base_b.num_named_barrier, 0
	.set _ZN9rocsparseL41csrmvn_lrb_medium_rows_warp_reduce_kernelILj256ELj32EliaaiiEEvbT1_lPT2_S3_jNS_24const_host_device_scalarIT6_EEPKS1_PKS2_PKT3_PKT4_S6_PT5_21rocsparse_index_base_b.private_seg_size, 0
	.set _ZN9rocsparseL41csrmvn_lrb_medium_rows_warp_reduce_kernelILj256ELj32EliaaiiEEvbT1_lPT2_S3_jNS_24const_host_device_scalarIT6_EEPKS1_PKS2_PKT3_PKT4_S6_PT5_21rocsparse_index_base_b.uses_vcc, 1
	.set _ZN9rocsparseL41csrmvn_lrb_medium_rows_warp_reduce_kernelILj256ELj32EliaaiiEEvbT1_lPT2_S3_jNS_24const_host_device_scalarIT6_EEPKS1_PKS2_PKT3_PKT4_S6_PT5_21rocsparse_index_base_b.uses_flat_scratch, 0
	.set _ZN9rocsparseL41csrmvn_lrb_medium_rows_warp_reduce_kernelILj256ELj32EliaaiiEEvbT1_lPT2_S3_jNS_24const_host_device_scalarIT6_EEPKS1_PKS2_PKT3_PKT4_S6_PT5_21rocsparse_index_base_b.has_dyn_sized_stack, 0
	.set _ZN9rocsparseL41csrmvn_lrb_medium_rows_warp_reduce_kernelILj256ELj32EliaaiiEEvbT1_lPT2_S3_jNS_24const_host_device_scalarIT6_EEPKS1_PKS2_PKT3_PKT4_S6_PT5_21rocsparse_index_base_b.has_recursion, 0
	.set _ZN9rocsparseL41csrmvn_lrb_medium_rows_warp_reduce_kernelILj256ELj32EliaaiiEEvbT1_lPT2_S3_jNS_24const_host_device_scalarIT6_EEPKS1_PKS2_PKT3_PKT4_S6_PT5_21rocsparse_index_base_b.has_indirect_call, 0
	.section	.AMDGPU.csdata,"",@progbits
; Kernel info:
; codeLenInByte = 1272
; TotalNumSgprs: 18
; NumVgprs: 25
; ScratchSize: 0
; MemoryBound: 0
; FloatMode: 240
; IeeeMode: 1
; LDSByteSize: 0 bytes/workgroup (compile time only)
; SGPRBlocks: 0
; VGPRBlocks: 1
; NumSGPRsForWavesPerEU: 18
; NumVGPRsForWavesPerEU: 25
; NamedBarCnt: 0
; Occupancy: 16
; WaveLimiterHint : 1
; COMPUTE_PGM_RSRC2:SCRATCH_EN: 0
; COMPUTE_PGM_RSRC2:USER_SGPR: 2
; COMPUTE_PGM_RSRC2:TRAP_HANDLER: 0
; COMPUTE_PGM_RSRC2:TGID_X_EN: 1
; COMPUTE_PGM_RSRC2:TGID_Y_EN: 0
; COMPUTE_PGM_RSRC2:TGID_Z_EN: 0
; COMPUTE_PGM_RSRC2:TIDIG_COMP_CNT: 0
	.section	.text._ZN9rocsparseL41csrmvn_lrb_medium_rows_warp_reduce_kernelILj256ELj64EliaaiiEEvbT1_lPT2_S3_jNS_24const_host_device_scalarIT6_EEPKS1_PKS2_PKT3_PKT4_S6_PT5_21rocsparse_index_base_b,"axG",@progbits,_ZN9rocsparseL41csrmvn_lrb_medium_rows_warp_reduce_kernelILj256ELj64EliaaiiEEvbT1_lPT2_S3_jNS_24const_host_device_scalarIT6_EEPKS1_PKS2_PKT3_PKT4_S6_PT5_21rocsparse_index_base_b,comdat
	.globl	_ZN9rocsparseL41csrmvn_lrb_medium_rows_warp_reduce_kernelILj256ELj64EliaaiiEEvbT1_lPT2_S3_jNS_24const_host_device_scalarIT6_EEPKS1_PKS2_PKT3_PKT4_S6_PT5_21rocsparse_index_base_b ; -- Begin function _ZN9rocsparseL41csrmvn_lrb_medium_rows_warp_reduce_kernelILj256ELj64EliaaiiEEvbT1_lPT2_S3_jNS_24const_host_device_scalarIT6_EEPKS1_PKS2_PKT3_PKT4_S6_PT5_21rocsparse_index_base_b
	.p2align	8
	.type	_ZN9rocsparseL41csrmvn_lrb_medium_rows_warp_reduce_kernelILj256ELj64EliaaiiEEvbT1_lPT2_S3_jNS_24const_host_device_scalarIT6_EEPKS1_PKS2_PKT3_PKT4_S6_PT5_21rocsparse_index_base_b,@function
_ZN9rocsparseL41csrmvn_lrb_medium_rows_warp_reduce_kernelILj256ELj64EliaaiiEEvbT1_lPT2_S3_jNS_24const_host_device_scalarIT6_EEPKS1_PKS2_PKT3_PKT4_S6_PT5_21rocsparse_index_base_b: ; @_ZN9rocsparseL41csrmvn_lrb_medium_rows_warp_reduce_kernelILj256ELj64EliaaiiEEvbT1_lPT2_S3_jNS_24const_host_device_scalarIT6_EEPKS1_PKS2_PKT3_PKT4_S6_PT5_21rocsparse_index_base_b
; %bb.0:
	s_clause 0x1
	s_load_b64 s[2:3], s[0:1], 0x68
	s_load_b64 s[6:7], s[0:1], 0x30
	s_mov_b32 s8, -1
                                        ; implicit-def: $sgpr11
	s_wait_kmcnt 0x0
	s_bitcmp1_b32 s3, 0
	s_cselect_b32 s3, -1, 0
	s_delay_alu instid0(SALU_CYCLE_1) | instskip(NEXT) | instid1(SALU_CYCLE_1)
	s_xor_b32 s3, s3, -1
	s_and_b32 vcc_lo, exec_lo, s3
	s_cbranch_vccnz .LBB89_4
; %bb.1:
	s_load_b64 s[4:5], s[0:1], 0x58
	s_and_not1_b32 vcc_lo, exec_lo, s8
	s_cbranch_vccz .LBB89_5
.LBB89_2:
	s_and_b32 vcc_lo, exec_lo, s3
	s_cbranch_vccz .LBB89_6
.LBB89_3:
	s_wait_kmcnt 0x0
	s_load_b32 s10, s[4:5], 0x0
	s_cbranch_execz .LBB89_7
	s_branch .LBB89_8
.LBB89_4:
	s_load_b32 s11, s[6:7], 0x0
	s_load_b64 s[4:5], s[0:1], 0x58
	s_cbranch_execnz .LBB89_2
.LBB89_5:
	s_wait_kmcnt 0x0
	s_mov_b32 s11, s6
	s_and_b32 vcc_lo, exec_lo, s3
	s_cbranch_vccnz .LBB89_3
.LBB89_6:
                                        ; implicit-def: $sgpr10
.LBB89_7:
	s_wait_kmcnt 0x0
	s_mov_b32 s10, s4
.LBB89_8:
	s_wait_kmcnt 0x0
	s_cmp_lg_u32 s11, 0
	s_cselect_b32 s3, -1, 0
	s_cmp_lg_u32 s10, 1
	s_cselect_b32 s4, -1, 0
	s_delay_alu instid0(SALU_CYCLE_1) | instskip(NEXT) | instid1(SALU_CYCLE_1)
	s_or_b32 s3, s3, s4
	s_and_not1_b32 vcc_lo, exec_lo, s3
	s_cbranch_vccnz .LBB89_24
; %bb.9:
	s_bfe_u32 s3, ttmp6, 0x4000c
	s_load_b64 s[4:5], s[0:1], 0x10
	s_add_co_i32 s3, s3, 1
	s_and_b32 s6, ttmp6, 15
	s_mul_i32 s3, ttmp9, s3
	s_getreg_b32 s7, hwreg(HW_REG_IB_STS2, 6, 4)
	v_lshrrev_b32_e32 v1, 6, v0
	s_add_co_i32 s6, s6, s3
	s_cmp_eq_u32 s7, 0
	s_cselect_b32 s3, ttmp9, s6
	s_delay_alu instid0(VALU_DEP_1) | instid1(SALU_CYCLE_1)
	v_lshl_or_b32 v2, s3, 2, v1
	s_mov_b32 s3, exec_lo
	s_delay_alu instid0(VALU_DEP_1) | instskip(SKIP_1) | instid1(VALU_DEP_1)
	v_ashrrev_i32_e32 v3, 31, v2
	s_wait_kmcnt 0x0
	v_cmpx_gt_i64_e64 s[4:5], v[2:3]
	s_cbranch_execz .LBB89_24
; %bb.10:
	s_clause 0x1
	s_load_b128 s[4:7], s[0:1], 0x18
	s_load_b32 s3, s[0:1], 0x28
	s_mov_b32 s12, exec_lo
	v_and_b32_e32 v0, 63, v0
	s_wait_kmcnt 0x0
	s_load_b32 s3, s[6:7], s3 offset:0x0 scale_offset
	s_wait_kmcnt 0x0
	v_add_nc_u32_e32 v1, s3, v2
	s_mov_b32 s3, 0
	global_load_b32 v6, v1, s[4:5] scale_offset
	s_wait_xcnt 0x0
	s_load_b64 s[4:5], s[0:1], 0x38
	v_mov_b32_e32 v1, 0
	s_delay_alu instid0(VALU_DEP_1) | instskip(SKIP_3) | instid1(VALU_DEP_1)
	v_sub_nc_u64_e64 v[8:9], v[0:1], s[2:3]
	s_wait_loadcnt 0x0
	v_ashrrev_i32_e32 v7, 31, v6
	s_wait_kmcnt 0x0
	v_lshl_add_u64 v[2:3], v[6:7], 3, s[4:5]
	global_load_b128 v[2:5], v[2:3], off
	s_wait_loadcnt 0x0
	v_sub_nc_u64_e64 v[4:5], v[4:5], s[2:3]
	v_add_nc_u64_e32 v[8:9], v[2:3], v[8:9]
	s_delay_alu instid0(VALU_DEP_1)
	v_cmpx_lt_i64_e64 v[8:9], v[4:5]
	s_cbranch_execz .LBB89_20
; %bb.11:
	v_add_nc_u64_e32 v[10:11], v[2:3], v[0:1]
	s_clause 0x1
	s_load_b64 s[8:9], s[0:1], 0x50
	s_load_b128 s[4:7], s[0:1], 0x40
	v_not_b32_e32 v3, v3
	v_not_b32_e32 v2, v2
	s_mov_b32 s13, -1
	v_sub_nc_u64_e64 v[10:11], v[10:11], s[2:3]
	s_delay_alu instid0(VALU_DEP_1) | instskip(NEXT) | instid1(VALU_DEP_1)
	v_add_nc_u64_e32 v[12:13], 64, v[10:11]
	v_max_i64 v[10:11], v[12:13], v[4:5]
	s_delay_alu instid0(VALU_DEP_1) | instskip(SKIP_1) | instid1(VALU_DEP_1)
	v_add_nc_u64_e32 v[10:11], s[2:3], v[10:11]
	s_mov_b32 s3, exec_lo
	v_add_nc_u64_e32 v[2:3], v[10:11], v[2:3]
	s_delay_alu instid0(VALU_DEP_1) | instskip(SKIP_1) | instid1(VALU_DEP_2)
	v_sub_nc_u64_e32 v[2:3], v[2:3], v[0:1]
	v_mov_b32_e32 v1, 0
	v_cmpx_lt_u64_e32 63, v[2:3]
	s_cbranch_execz .LBB89_15
; %bb.12:
	v_lshrrev_b64 v[2:3], 6, v[2:3]
	s_wait_kmcnt 0x0
	v_lshl_add_u64 v[14:15], v[8:9], 2, s[4:5]
	v_add_nc_u64_e32 v[12:13], s[6:7], v[12:13]
	v_dual_mov_b32 v1, 0 :: v_dual_mov_b32 v18, 0
	s_mov_b32 s13, s11
	s_delay_alu instid0(VALU_DEP_3) | instskip(SKIP_3) | instid1(VALU_DEP_1)
	v_add_nc_u64_e32 v[14:15], 0x100, v[14:15]
	v_add_nc_u64_e32 v[2:3], 1, v[2:3]
	s_mov_b32 s15, s2
	s_mov_b32 s14, 0
	v_dual_mov_b32 v11, v3 :: v_dual_bitop2_b32 v10, -2, v2 bitop3:0x40
	s_delay_alu instid0(VALU_DEP_1)
	v_mov_b64_e32 v[16:17], v[10:11]
.LBB89_13:                              ; =>This Inner Loop Header: Depth=1
	s_clause 0x1
	global_load_b32 v19, v[14:15], off
	global_load_b32 v20, v[14:15], off offset:-256
	s_clause 0x1
	global_load_i8 v21, v[12:13], off
	global_load_i8 v22, v[12:13], off offset:-64
	v_add_nc_u64_e32 v[16:17], -2, v[16:17]
	s_wait_xcnt 0x0
	v_add_nc_u64_e32 v[12:13], 0x80, v[12:13]
	v_add_nc_u64_e32 v[14:15], 0x200, v[14:15]
	s_delay_alu instid0(VALU_DEP_3)
	v_cmp_eq_u64_e32 vcc_lo, 0, v[16:17]
	s_or_b32 s14, vcc_lo, s14
	s_wait_loadcnt 0x3
	v_subrev_nc_u32_e32 v19, s15, v19
	s_wait_loadcnt 0x2
	v_subrev_nc_u32_e32 v20, s2, v20
	s_clause 0x1
	global_load_i8 v23, v19, s[8:9]
	global_load_i8 v24, v20, s[8:9]
	s_wait_loadcnt 0x3
	s_wait_xcnt 0x1
	v_mul_lo_u32 v19, s13, v21
	s_wait_loadcnt 0x2
	s_wait_xcnt 0x0
	v_mul_lo_u32 v20, s11, v22
	s_wait_loadcnt 0x1
	s_delay_alu instid0(VALU_DEP_2) | instskip(SKIP_1) | instid1(VALU_DEP_2)
	v_mad_u32 v18, v19, v23, v18
	s_wait_loadcnt 0x0
	v_mad_u32 v1, v20, v24, v1
	s_and_not1_b32 exec_lo, exec_lo, s14
	s_cbranch_execnz .LBB89_13
; %bb.14:
	s_or_b32 exec_lo, exec_lo, s14
	v_lshlrev_b64_e32 v[12:13], 6, v[10:11]
	v_cmp_ne_u64_e32 vcc_lo, v[2:3], v[10:11]
	s_delay_alu instid0(VALU_DEP_3) | instskip(NEXT) | instid1(VALU_DEP_3)
	v_add_nc_u32_e32 v1, v1, v18
	v_add_nc_u64_e32 v[8:9], v[8:9], v[12:13]
	s_or_not1_b32 s13, vcc_lo, exec_lo
.LBB89_15:
	s_or_b32 exec_lo, exec_lo, s3
	s_and_saveexec_b32 s3, s13
	s_cbranch_execz .LBB89_19
; %bb.16:
	s_wait_kmcnt 0x0
	s_delay_alu instid0(VALU_DEP_1)
	v_lshl_add_u64 v[2:3], v[8:9], 2, s[4:5]
	s_mov_b32 s4, 0
.LBB89_17:                              ; =>This Inner Loop Header: Depth=1
	global_load_b32 v12, v[2:3], off
	v_add_nc_u64_e32 v[10:11], s[6:7], v[8:9]
	v_add_nc_u64_e32 v[8:9], 64, v[8:9]
	s_wait_xcnt 0x0
	v_add_nc_u64_e32 v[2:3], 0x100, v[2:3]
	global_load_i8 v10, v[10:11], off
	v_cmp_ge_i64_e32 vcc_lo, v[8:9], v[4:5]
	s_or_b32 s4, vcc_lo, s4
	s_wait_loadcnt 0x1
	s_wait_xcnt 0x0
	v_subrev_nc_u32_e32 v11, s2, v12
	global_load_i8 v11, v11, s[8:9]
	s_wait_loadcnt 0x1
	v_mul_lo_u32 v10, s11, v10
	s_wait_loadcnt 0x0
	s_delay_alu instid0(VALU_DEP_1)
	v_mad_u32 v1, v10, v11, v1
	s_and_not1_b32 exec_lo, exec_lo, s4
	s_cbranch_execnz .LBB89_17
; %bb.18:
	s_or_b32 exec_lo, exec_lo, s4
.LBB89_19:
	s_delay_alu instid0(SALU_CYCLE_1)
	s_or_b32 exec_lo, exec_lo, s3
.LBB89_20:
	s_delay_alu instid0(SALU_CYCLE_1) | instskip(SKIP_1) | instid1(VALU_DEP_1)
	s_or_b32 exec_lo, exec_lo, s12
	v_mbcnt_lo_u32_b32 v2, -1, 0
	v_xor_b32_e32 v4, 16, v2
	v_or_b32_e32 v3, 32, v2
	s_delay_alu instid0(VALU_DEP_1) | instskip(SKIP_1) | instid1(VALU_DEP_4)
	v_cmp_gt_i32_e32 vcc_lo, 32, v3
	v_cndmask_b32_e32 v3, v2, v3, vcc_lo
	v_cmp_gt_i32_e32 vcc_lo, 32, v4
	v_cndmask_b32_e32 v4, v2, v4, vcc_lo
	s_delay_alu instid0(VALU_DEP_1)
	v_dual_lshlrev_b32 v4, 2, v4 :: v_dual_lshlrev_b32 v3, 2, v3
	ds_bpermute_b32 v3, v3, v1
	s_wait_dscnt 0x0
	v_add_nc_u32_e32 v1, v3, v1
	ds_bpermute_b32 v3, v4, v1
	v_xor_b32_e32 v4, 8, v2
	s_delay_alu instid0(VALU_DEP_1) | instskip(SKIP_2) | instid1(VALU_DEP_1)
	v_cmp_gt_i32_e32 vcc_lo, 32, v4
	s_wait_dscnt 0x0
	v_dual_cndmask_b32 v4, v2, v4 :: v_dual_add_nc_u32 v1, v3, v1
	v_lshlrev_b32_e32 v4, 2, v4
	ds_bpermute_b32 v3, v4, v1
	s_wait_dscnt 0x0
	v_dual_add_nc_u32 v1, v3, v1 :: v_dual_bitop2_b32 v4, 4, v2 bitop3:0x14
	s_delay_alu instid0(VALU_DEP_1) | instskip(SKIP_1) | instid1(VALU_DEP_1)
	v_cmp_gt_i32_e32 vcc_lo, 32, v4
	v_cndmask_b32_e32 v4, v2, v4, vcc_lo
	v_lshlrev_b32_e32 v4, 2, v4
	ds_bpermute_b32 v3, v4, v1
	v_xor_b32_e32 v4, 2, v2
	s_delay_alu instid0(VALU_DEP_1) | instskip(SKIP_2) | instid1(VALU_DEP_1)
	v_cmp_gt_i32_e32 vcc_lo, 32, v4
	v_cndmask_b32_e32 v4, v2, v4, vcc_lo
	s_wait_dscnt 0x0
	v_dual_lshlrev_b32 v4, 2, v4 :: v_dual_add_nc_u32 v1, v3, v1
	ds_bpermute_b32 v3, v4, v1
	v_xor_b32_e32 v4, 1, v2
	s_delay_alu instid0(VALU_DEP_1) | instskip(SKIP_3) | instid1(VALU_DEP_2)
	v_cmp_gt_i32_e32 vcc_lo, 32, v4
	v_cndmask_b32_e32 v2, v2, v4, vcc_lo
	v_cmp_eq_u32_e32 vcc_lo, 63, v0
	s_wait_dscnt 0x0
	v_dual_lshlrev_b32 v2, 2, v2 :: v_dual_add_nc_u32 v1, v3, v1
	ds_bpermute_b32 v2, v2, v1
	s_and_b32 exec_lo, exec_lo, vcc_lo
	s_cbranch_execz .LBB89_24
; %bb.21:
	s_wait_xcnt 0x0
	s_load_b64 s[0:1], s[0:1], 0x60
	s_wait_dscnt 0x0
	v_add_nc_u32_e32 v2, v2, v1
	s_cmp_eq_u32 s10, 0
	s_wait_kmcnt 0x0
	v_lshl_add_u64 v[0:1], v[6:7], 2, s[0:1]
	s_cbranch_scc1 .LBB89_23
; %bb.22:
	global_load_b32 v3, v[0:1], off
	s_wait_loadcnt 0x0
	v_mad_u32 v2, v3, s10, v2
.LBB89_23:
	global_store_b32 v[0:1], v2, off
.LBB89_24:
	s_endpgm
	.section	.rodata,"a",@progbits
	.p2align	6, 0x0
	.amdhsa_kernel _ZN9rocsparseL41csrmvn_lrb_medium_rows_warp_reduce_kernelILj256ELj64EliaaiiEEvbT1_lPT2_S3_jNS_24const_host_device_scalarIT6_EEPKS1_PKS2_PKT3_PKT4_S6_PT5_21rocsparse_index_base_b
		.amdhsa_group_segment_fixed_size 0
		.amdhsa_private_segment_fixed_size 0
		.amdhsa_kernarg_size 112
		.amdhsa_user_sgpr_count 2
		.amdhsa_user_sgpr_dispatch_ptr 0
		.amdhsa_user_sgpr_queue_ptr 0
		.amdhsa_user_sgpr_kernarg_segment_ptr 1
		.amdhsa_user_sgpr_dispatch_id 0
		.amdhsa_user_sgpr_kernarg_preload_length 0
		.amdhsa_user_sgpr_kernarg_preload_offset 0
		.amdhsa_user_sgpr_private_segment_size 0
		.amdhsa_wavefront_size32 1
		.amdhsa_uses_dynamic_stack 0
		.amdhsa_enable_private_segment 0
		.amdhsa_system_sgpr_workgroup_id_x 1
		.amdhsa_system_sgpr_workgroup_id_y 0
		.amdhsa_system_sgpr_workgroup_id_z 0
		.amdhsa_system_sgpr_workgroup_info 0
		.amdhsa_system_vgpr_workitem_id 0
		.amdhsa_next_free_vgpr 25
		.amdhsa_next_free_sgpr 16
		.amdhsa_named_barrier_count 0
		.amdhsa_reserve_vcc 1
		.amdhsa_float_round_mode_32 0
		.amdhsa_float_round_mode_16_64 0
		.amdhsa_float_denorm_mode_32 3
		.amdhsa_float_denorm_mode_16_64 3
		.amdhsa_fp16_overflow 0
		.amdhsa_memory_ordered 1
		.amdhsa_forward_progress 1
		.amdhsa_inst_pref_size 11
		.amdhsa_round_robin_scheduling 0
		.amdhsa_exception_fp_ieee_invalid_op 0
		.amdhsa_exception_fp_denorm_src 0
		.amdhsa_exception_fp_ieee_div_zero 0
		.amdhsa_exception_fp_ieee_overflow 0
		.amdhsa_exception_fp_ieee_underflow 0
		.amdhsa_exception_fp_ieee_inexact 0
		.amdhsa_exception_int_div_zero 0
	.end_amdhsa_kernel
	.section	.text._ZN9rocsparseL41csrmvn_lrb_medium_rows_warp_reduce_kernelILj256ELj64EliaaiiEEvbT1_lPT2_S3_jNS_24const_host_device_scalarIT6_EEPKS1_PKS2_PKT3_PKT4_S6_PT5_21rocsparse_index_base_b,"axG",@progbits,_ZN9rocsparseL41csrmvn_lrb_medium_rows_warp_reduce_kernelILj256ELj64EliaaiiEEvbT1_lPT2_S3_jNS_24const_host_device_scalarIT6_EEPKS1_PKS2_PKT3_PKT4_S6_PT5_21rocsparse_index_base_b,comdat
.Lfunc_end89:
	.size	_ZN9rocsparseL41csrmvn_lrb_medium_rows_warp_reduce_kernelILj256ELj64EliaaiiEEvbT1_lPT2_S3_jNS_24const_host_device_scalarIT6_EEPKS1_PKS2_PKT3_PKT4_S6_PT5_21rocsparse_index_base_b, .Lfunc_end89-_ZN9rocsparseL41csrmvn_lrb_medium_rows_warp_reduce_kernelILj256ELj64EliaaiiEEvbT1_lPT2_S3_jNS_24const_host_device_scalarIT6_EEPKS1_PKS2_PKT3_PKT4_S6_PT5_21rocsparse_index_base_b
                                        ; -- End function
	.set _ZN9rocsparseL41csrmvn_lrb_medium_rows_warp_reduce_kernelILj256ELj64EliaaiiEEvbT1_lPT2_S3_jNS_24const_host_device_scalarIT6_EEPKS1_PKS2_PKT3_PKT4_S6_PT5_21rocsparse_index_base_b.num_vgpr, 25
	.set _ZN9rocsparseL41csrmvn_lrb_medium_rows_warp_reduce_kernelILj256ELj64EliaaiiEEvbT1_lPT2_S3_jNS_24const_host_device_scalarIT6_EEPKS1_PKS2_PKT3_PKT4_S6_PT5_21rocsparse_index_base_b.num_agpr, 0
	.set _ZN9rocsparseL41csrmvn_lrb_medium_rows_warp_reduce_kernelILj256ELj64EliaaiiEEvbT1_lPT2_S3_jNS_24const_host_device_scalarIT6_EEPKS1_PKS2_PKT3_PKT4_S6_PT5_21rocsparse_index_base_b.numbered_sgpr, 16
	.set _ZN9rocsparseL41csrmvn_lrb_medium_rows_warp_reduce_kernelILj256ELj64EliaaiiEEvbT1_lPT2_S3_jNS_24const_host_device_scalarIT6_EEPKS1_PKS2_PKT3_PKT4_S6_PT5_21rocsparse_index_base_b.num_named_barrier, 0
	.set _ZN9rocsparseL41csrmvn_lrb_medium_rows_warp_reduce_kernelILj256ELj64EliaaiiEEvbT1_lPT2_S3_jNS_24const_host_device_scalarIT6_EEPKS1_PKS2_PKT3_PKT4_S6_PT5_21rocsparse_index_base_b.private_seg_size, 0
	.set _ZN9rocsparseL41csrmvn_lrb_medium_rows_warp_reduce_kernelILj256ELj64EliaaiiEEvbT1_lPT2_S3_jNS_24const_host_device_scalarIT6_EEPKS1_PKS2_PKT3_PKT4_S6_PT5_21rocsparse_index_base_b.uses_vcc, 1
	.set _ZN9rocsparseL41csrmvn_lrb_medium_rows_warp_reduce_kernelILj256ELj64EliaaiiEEvbT1_lPT2_S3_jNS_24const_host_device_scalarIT6_EEPKS1_PKS2_PKT3_PKT4_S6_PT5_21rocsparse_index_base_b.uses_flat_scratch, 0
	.set _ZN9rocsparseL41csrmvn_lrb_medium_rows_warp_reduce_kernelILj256ELj64EliaaiiEEvbT1_lPT2_S3_jNS_24const_host_device_scalarIT6_EEPKS1_PKS2_PKT3_PKT4_S6_PT5_21rocsparse_index_base_b.has_dyn_sized_stack, 0
	.set _ZN9rocsparseL41csrmvn_lrb_medium_rows_warp_reduce_kernelILj256ELj64EliaaiiEEvbT1_lPT2_S3_jNS_24const_host_device_scalarIT6_EEPKS1_PKS2_PKT3_PKT4_S6_PT5_21rocsparse_index_base_b.has_recursion, 0
	.set _ZN9rocsparseL41csrmvn_lrb_medium_rows_warp_reduce_kernelILj256ELj64EliaaiiEEvbT1_lPT2_S3_jNS_24const_host_device_scalarIT6_EEPKS1_PKS2_PKT3_PKT4_S6_PT5_21rocsparse_index_base_b.has_indirect_call, 0
	.section	.AMDGPU.csdata,"",@progbits
; Kernel info:
; codeLenInByte = 1316
; TotalNumSgprs: 18
; NumVgprs: 25
; ScratchSize: 0
; MemoryBound: 0
; FloatMode: 240
; IeeeMode: 1
; LDSByteSize: 0 bytes/workgroup (compile time only)
; SGPRBlocks: 0
; VGPRBlocks: 1
; NumSGPRsForWavesPerEU: 18
; NumVGPRsForWavesPerEU: 25
; NamedBarCnt: 0
; Occupancy: 16
; WaveLimiterHint : 1
; COMPUTE_PGM_RSRC2:SCRATCH_EN: 0
; COMPUTE_PGM_RSRC2:USER_SGPR: 2
; COMPUTE_PGM_RSRC2:TRAP_HANDLER: 0
; COMPUTE_PGM_RSRC2:TGID_X_EN: 1
; COMPUTE_PGM_RSRC2:TGID_Y_EN: 0
; COMPUTE_PGM_RSRC2:TGID_Z_EN: 0
; COMPUTE_PGM_RSRC2:TIDIG_COMP_CNT: 0
	.section	.text._ZN9rocsparseL29csrmvn_lrb_medium_rows_kernelILj256EliaaiiEEvbT0_PT1_S3_jNS_24const_host_device_scalarIT5_EEPKS1_PKS2_PKT2_PKT3_S6_PT4_21rocsparse_index_base_b,"axG",@progbits,_ZN9rocsparseL29csrmvn_lrb_medium_rows_kernelILj256EliaaiiEEvbT0_PT1_S3_jNS_24const_host_device_scalarIT5_EEPKS1_PKS2_PKT2_PKT3_S6_PT4_21rocsparse_index_base_b,comdat
	.globl	_ZN9rocsparseL29csrmvn_lrb_medium_rows_kernelILj256EliaaiiEEvbT0_PT1_S3_jNS_24const_host_device_scalarIT5_EEPKS1_PKS2_PKT2_PKT3_S6_PT4_21rocsparse_index_base_b ; -- Begin function _ZN9rocsparseL29csrmvn_lrb_medium_rows_kernelILj256EliaaiiEEvbT0_PT1_S3_jNS_24const_host_device_scalarIT5_EEPKS1_PKS2_PKT2_PKT3_S6_PT4_21rocsparse_index_base_b
	.p2align	8
	.type	_ZN9rocsparseL29csrmvn_lrb_medium_rows_kernelILj256EliaaiiEEvbT0_PT1_S3_jNS_24const_host_device_scalarIT5_EEPKS1_PKS2_PKT2_PKT3_S6_PT4_21rocsparse_index_base_b,@function
_ZN9rocsparseL29csrmvn_lrb_medium_rows_kernelILj256EliaaiiEEvbT0_PT1_S3_jNS_24const_host_device_scalarIT5_EEPKS1_PKS2_PKT2_PKT3_S6_PT4_21rocsparse_index_base_b: ; @_ZN9rocsparseL29csrmvn_lrb_medium_rows_kernelILj256EliaaiiEEvbT0_PT1_S3_jNS_24const_host_device_scalarIT5_EEPKS1_PKS2_PKT2_PKT3_S6_PT4_21rocsparse_index_base_b
; %bb.0:
	s_clause 0x1
	s_load_b64 s[8:9], s[0:1], 0x60
	s_load_b64 s[4:5], s[0:1], 0x28
	s_mov_b32 s7, -1
                                        ; implicit-def: $sgpr15
	s_wait_kmcnt 0x0
	s_bitcmp1_b32 s9, 0
	s_cselect_b32 s2, -1, 0
	s_delay_alu instid0(SALU_CYCLE_1) | instskip(NEXT) | instid1(SALU_CYCLE_1)
	s_xor_b32 s6, s2, -1
	s_and_b32 vcc_lo, exec_lo, s6
	s_cbranch_vccnz .LBB90_4
; %bb.1:
	s_load_b64 s[2:3], s[0:1], 0x50
	s_and_not1_b32 vcc_lo, exec_lo, s7
	s_cbranch_vccz .LBB90_5
.LBB90_2:
	s_and_b32 vcc_lo, exec_lo, s6
	s_cbranch_vccz .LBB90_6
.LBB90_3:
	s_wait_kmcnt 0x0
	s_load_b32 s14, s[2:3], 0x0
	s_wait_xcnt 0x0
	s_cbranch_execz .LBB90_7
	s_branch .LBB90_8
.LBB90_4:
	s_load_b32 s15, s[4:5], 0x0
	s_load_b64 s[2:3], s[0:1], 0x50
	s_cbranch_execnz .LBB90_2
.LBB90_5:
	s_wait_kmcnt 0x0
	s_mov_b32 s15, s4
	s_and_b32 vcc_lo, exec_lo, s6
	s_cbranch_vccnz .LBB90_3
.LBB90_6:
	s_wait_kmcnt 0x0
                                        ; implicit-def: $sgpr14
.LBB90_7:
	s_wait_kmcnt 0x0
	s_mov_b32 s14, s2
.LBB90_8:
	s_cmp_lg_u32 s15, 0
	s_mov_b32 s9, 0
	s_cselect_b32 s2, -1, 0
	s_wait_kmcnt 0x0
	s_cmp_lg_u32 s14, 1
	s_cselect_b32 s3, -1, 0
	s_delay_alu instid0(SALU_CYCLE_1) | instskip(NEXT) | instid1(SALU_CYCLE_1)
	s_or_b32 s2, s2, s3
	s_and_not1_b32 vcc_lo, exec_lo, s2
	s_cbranch_vccnz .LBB90_39
; %bb.9:
	s_clause 0x1
	s_load_b128 s[4:7], s[0:1], 0x10
	s_load_b32 s2, s[0:1], 0x20
	s_bfe_u32 s3, ttmp6, 0x4000c
	v_mov_b32_e32 v1, 0
	s_add_co_i32 s3, s3, 1
	s_mov_b32 s16, exec_lo
	s_mul_i32 s3, ttmp9, s3
	s_delay_alu instid0(VALU_DEP_1)
	v_sub_nc_u64_e64 v[2:3], v[0:1], s[8:9]
	s_wait_kmcnt 0x0
	s_load_b32 s2, s[6:7], s2 offset:0x0 scale_offset
	s_wait_xcnt 0x0
	s_and_b32 s6, ttmp6, 15
	s_getreg_b32 s7, hwreg(HW_REG_IB_STS2, 6, 4)
	s_add_co_i32 s6, s6, s3
	s_cmp_eq_u32 s7, 0
	s_cselect_b32 s3, ttmp9, s6
	s_wait_kmcnt 0x0
	s_add_co_i32 s2, s2, s3
	s_delay_alu instid0(SALU_CYCLE_1) | instskip(NEXT) | instid1(SALU_CYCLE_1)
	s_ashr_i32 s3, s2, 31
	s_lshl_b64 s[2:3], s[2:3], 2
	s_delay_alu instid0(SALU_CYCLE_1) | instskip(SKIP_4) | instid1(SALU_CYCLE_1)
	s_add_nc_u64 s[4:5], s[4:5], s[2:3]
	s_load_b32 s2, s[4:5], 0x0
	s_load_b64 s[6:7], s[0:1], 0x30
	s_wait_kmcnt 0x0
	s_ashr_i32 s3, s2, 31
	s_lshl_b64 s[4:5], s[2:3], 3
	s_delay_alu instid0(SALU_CYCLE_1)
	s_add_nc_u64 s[10:11], s[6:7], s[4:5]
	s_load_b128 s[4:7], s[10:11], 0x0
	s_wait_kmcnt 0x0
	v_add_nc_u64_e32 v[2:3], s[4:5], v[2:3]
	s_sub_nc_u64 s[10:11], s[6:7], s[8:9]
	s_delay_alu instid0(VALU_DEP_1) | instid1(SALU_CYCLE_1)
	v_cmpx_gt_i64_e64 s[10:11], v[2:3]
	s_cbranch_execz .LBB90_19
; %bb.10:
	v_add_nc_u64_e32 v[4:5], s[4:5], v[0:1]
	s_not_b64 s[4:5], s[4:5]
	s_mov_b32 s17, -1
	s_add_nc_u64 s[4:5], s[4:5], s[8:9]
	s_delay_alu instid0(VALU_DEP_1) | instskip(SKIP_1) | instid1(VALU_DEP_1)
	v_sub_nc_u64_e64 v[4:5], v[4:5], s[8:9]
	s_mov_b32 s9, exec_lo
	v_add_nc_u64_e32 v[8:9], 0x100, v[4:5]
	s_delay_alu instid0(VALU_DEP_1) | instskip(NEXT) | instid1(VALU_DEP_1)
	v_max_i64 v[4:5], v[8:9], s[10:11]
	v_add_nc_u64_e32 v[4:5], s[4:5], v[4:5]
	s_clause 0x1
	s_load_b64 s[12:13], s[0:1], 0x48
	s_load_b128 s[4:7], s[0:1], 0x38
	s_delay_alu instid0(VALU_DEP_1) | instskip(NEXT) | instid1(VALU_DEP_1)
	v_sub_nc_u64_e32 v[4:5], v[4:5], v[0:1]
	v_cmpx_lt_u64_e32 0xff, v[4:5]
	s_cbranch_execz .LBB90_14
; %bb.11:
	v_lshrrev_b64 v[4:5], 8, v[4:5]
	s_wait_kmcnt 0x0
	v_lshl_add_u64 v[10:11], v[2:3], 2, s[4:5]
	v_add_nc_u64_e32 v[8:9], s[6:7], v[8:9]
	v_dual_mov_b32 v1, 0 :: v_dual_mov_b32 v14, 0
	s_mov_b32 s17, s15
	s_delay_alu instid0(VALU_DEP_3) | instskip(SKIP_3) | instid1(VALU_DEP_1)
	v_add_nc_u64_e32 v[10:11], 0x400, v[10:11]
	v_add_nc_u64_e32 v[4:5], 1, v[4:5]
	s_mov_b32 s19, s8
	s_mov_b32 s18, 0
	v_dual_mov_b32 v7, v5 :: v_dual_bitop2_b32 v6, -2, v4 bitop3:0x40
	s_delay_alu instid0(VALU_DEP_1)
	v_mov_b64_e32 v[12:13], v[6:7]
.LBB90_12:                              ; =>This Inner Loop Header: Depth=1
	s_clause 0x1
	global_load_b32 v15, v[10:11], off
	global_load_b32 v16, v[10:11], off offset:-1024
	s_clause 0x1
	global_load_i8 v17, v[8:9], off
	global_load_i8 v18, v[8:9], off offset:-256
	v_add_nc_u64_e32 v[12:13], -2, v[12:13]
	s_wait_xcnt 0x0
	v_add_nc_u64_e32 v[8:9], 0x200, v[8:9]
	v_add_nc_u64_e32 v[10:11], 0x800, v[10:11]
	s_delay_alu instid0(VALU_DEP_3)
	v_cmp_eq_u64_e32 vcc_lo, 0, v[12:13]
	s_or_b32 s18, vcc_lo, s18
	s_wait_loadcnt 0x3
	v_subrev_nc_u32_e32 v15, s19, v15
	s_wait_loadcnt 0x2
	v_subrev_nc_u32_e32 v16, s8, v16
	s_clause 0x1
	global_load_i8 v19, v15, s[12:13]
	global_load_i8 v20, v16, s[12:13]
	s_wait_loadcnt 0x3
	s_wait_xcnt 0x1
	v_mul_lo_u32 v15, s17, v17
	s_wait_loadcnt 0x2
	s_wait_xcnt 0x0
	v_mul_lo_u32 v16, s15, v18
	s_wait_loadcnt 0x1
	s_delay_alu instid0(VALU_DEP_2) | instskip(SKIP_1) | instid1(VALU_DEP_2)
	v_mad_u32 v14, v15, v19, v14
	s_wait_loadcnt 0x0
	v_mad_u32 v1, v16, v20, v1
	s_and_not1_b32 exec_lo, exec_lo, s18
	s_cbranch_execnz .LBB90_12
; %bb.13:
	s_or_b32 exec_lo, exec_lo, s18
	v_lshlrev_b64_e32 v[8:9], 8, v[6:7]
	v_cmp_ne_u64_e32 vcc_lo, v[4:5], v[6:7]
	s_delay_alu instid0(VALU_DEP_3) | instskip(NEXT) | instid1(VALU_DEP_3)
	v_add_nc_u32_e32 v1, v1, v14
	v_add_nc_u64_e32 v[2:3], v[2:3], v[8:9]
	s_or_not1_b32 s17, vcc_lo, exec_lo
.LBB90_14:
	s_or_b32 exec_lo, exec_lo, s9
	s_and_saveexec_b32 s9, s17
	s_cbranch_execz .LBB90_18
; %bb.15:
	s_wait_kmcnt 0x0
	s_delay_alu instid0(VALU_DEP_1)
	v_lshl_add_u64 v[4:5], v[2:3], 2, s[4:5]
	s_mov_b32 s4, 0
.LBB90_16:                              ; =>This Inner Loop Header: Depth=1
	global_load_b32 v8, v[4:5], off
	v_add_nc_u64_e32 v[6:7], s[6:7], v[2:3]
	v_add_nc_u64_e32 v[2:3], 0x100, v[2:3]
	s_wait_xcnt 0x0
	v_add_nc_u64_e32 v[4:5], 0x400, v[4:5]
	global_load_i8 v6, v[6:7], off
	v_cmp_le_i64_e32 vcc_lo, s[10:11], v[2:3]
	s_or_b32 s4, vcc_lo, s4
	s_wait_loadcnt 0x1
	s_wait_xcnt 0x0
	v_subrev_nc_u32_e32 v7, s8, v8
	global_load_i8 v7, v7, s[12:13]
	s_wait_loadcnt 0x1
	v_mul_lo_u32 v6, s15, v6
	s_wait_loadcnt 0x0
	s_delay_alu instid0(VALU_DEP_1)
	v_mad_u32 v1, v6, v7, v1
	s_and_not1_b32 exec_lo, exec_lo, s4
	s_cbranch_execnz .LBB90_16
; %bb.17:
	s_or_b32 exec_lo, exec_lo, s4
.LBB90_18:
	s_delay_alu instid0(SALU_CYCLE_1)
	s_or_b32 exec_lo, exec_lo, s9
.LBB90_19:
	s_delay_alu instid0(SALU_CYCLE_1)
	s_or_b32 exec_lo, exec_lo, s16
	v_lshlrev_b32_e32 v2, 2, v0
	s_wait_kmcnt 0x0
	s_mov_b32 s4, exec_lo
	ds_store_b32 v2, v1
	s_wait_dscnt 0x0
	s_barrier_signal -1
	s_barrier_wait -1
	v_cmpx_gt_u32_e32 0x80, v0
	s_cbranch_execz .LBB90_21
; %bb.20:
	ds_load_2addr_stride64_b32 v[4:5], v2 offset1:2
	s_wait_dscnt 0x0
	v_add_nc_u32_e32 v1, v5, v4
	ds_store_b32 v2, v1
.LBB90_21:
	s_or_b32 exec_lo, exec_lo, s4
	s_delay_alu instid0(SALU_CYCLE_1)
	s_mov_b32 s4, exec_lo
	s_wait_dscnt 0x0
	s_barrier_signal -1
	s_barrier_wait -1
	v_cmpx_gt_u32_e32 64, v0
	s_cbranch_execz .LBB90_23
; %bb.22:
	ds_load_2addr_stride64_b32 v[4:5], v2 offset1:1
	s_wait_dscnt 0x0
	v_add_nc_u32_e32 v1, v5, v4
	ds_store_b32 v2, v1
.LBB90_23:
	s_or_b32 exec_lo, exec_lo, s4
	s_delay_alu instid0(SALU_CYCLE_1)
	s_mov_b32 s4, exec_lo
	s_wait_dscnt 0x0
	s_barrier_signal -1
	s_barrier_wait -1
	v_cmpx_gt_u32_e32 32, v0
	s_cbranch_execz .LBB90_25
; %bb.24:
	ds_load_2addr_b32 v[4:5], v2 offset1:32
	s_wait_dscnt 0x0
	v_add_nc_u32_e32 v1, v5, v4
	ds_store_b32 v2, v1
.LBB90_25:
	s_or_b32 exec_lo, exec_lo, s4
	s_delay_alu instid0(SALU_CYCLE_1)
	s_mov_b32 s4, exec_lo
	s_wait_dscnt 0x0
	s_barrier_signal -1
	s_barrier_wait -1
	v_cmpx_gt_u32_e32 16, v0
	s_cbranch_execz .LBB90_27
; %bb.26:
	ds_load_2addr_b32 v[4:5], v2 offset1:16
	s_wait_dscnt 0x0
	v_add_nc_u32_e32 v1, v5, v4
	ds_store_b32 v2, v1
.LBB90_27:
	;; [unrolled: 14-line block ×5, first 2 shown]
	s_or_b32 exec_lo, exec_lo, s4
	v_cmp_eq_u32_e32 vcc_lo, 0, v0
	s_wait_dscnt 0x0
	s_barrier_signal -1
	s_barrier_wait -1
	s_and_saveexec_b32 s4, vcc_lo
	s_cbranch_execz .LBB90_35
; %bb.34:
	v_mov_b32_e32 v2, 0
	ds_load_b64 v[0:1], v2
	s_wait_dscnt 0x0
	v_add_nc_u32_e32 v0, v1, v0
	ds_store_b32 v2, v0
.LBB90_35:
	s_or_b32 exec_lo, exec_lo, s4
	s_wait_dscnt 0x0
	s_barrier_signal -1
	s_barrier_wait -1
	s_and_saveexec_b32 s4, vcc_lo
	s_cbranch_execz .LBB90_39
; %bb.36:
	v_mov_b32_e32 v0, 0
	s_load_b64 s[0:1], s[0:1], 0x58
	s_cmp_eq_u32 s14, 0
	ds_load_b32 v1, v0
	s_cbranch_scc1 .LBB90_38
; %bb.37:
	s_lshl_b64 s[4:5], s[2:3], 2
	s_wait_kmcnt 0x0
	s_add_nc_u64 s[4:5], s[0:1], s[4:5]
	s_load_b32 s4, s[4:5], 0x0
	s_wait_kmcnt 0x0
	s_mul_i32 s4, s4, s14
	s_wait_dscnt 0x0
	v_add_nc_u32_e32 v1, s4, v1
.LBB90_38:
	s_lshl_b64 s[2:3], s[2:3], 2
	s_wait_kmcnt 0x0
	s_add_nc_u64 s[0:1], s[0:1], s[2:3]
	s_wait_dscnt 0x0
	global_store_b32 v0, v1, s[0:1]
.LBB90_39:
	s_endpgm
	.section	.rodata,"a",@progbits
	.p2align	6, 0x0
	.amdhsa_kernel _ZN9rocsparseL29csrmvn_lrb_medium_rows_kernelILj256EliaaiiEEvbT0_PT1_S3_jNS_24const_host_device_scalarIT5_EEPKS1_PKS2_PKT2_PKT3_S6_PT4_21rocsparse_index_base_b
		.amdhsa_group_segment_fixed_size 1024
		.amdhsa_private_segment_fixed_size 0
		.amdhsa_kernarg_size 104
		.amdhsa_user_sgpr_count 2
		.amdhsa_user_sgpr_dispatch_ptr 0
		.amdhsa_user_sgpr_queue_ptr 0
		.amdhsa_user_sgpr_kernarg_segment_ptr 1
		.amdhsa_user_sgpr_dispatch_id 0
		.amdhsa_user_sgpr_kernarg_preload_length 0
		.amdhsa_user_sgpr_kernarg_preload_offset 0
		.amdhsa_user_sgpr_private_segment_size 0
		.amdhsa_wavefront_size32 1
		.amdhsa_uses_dynamic_stack 0
		.amdhsa_enable_private_segment 0
		.amdhsa_system_sgpr_workgroup_id_x 1
		.amdhsa_system_sgpr_workgroup_id_y 0
		.amdhsa_system_sgpr_workgroup_id_z 0
		.amdhsa_system_sgpr_workgroup_info 0
		.amdhsa_system_vgpr_workitem_id 0
		.amdhsa_next_free_vgpr 21
		.amdhsa_next_free_sgpr 20
		.amdhsa_named_barrier_count 0
		.amdhsa_reserve_vcc 1
		.amdhsa_float_round_mode_32 0
		.amdhsa_float_round_mode_16_64 0
		.amdhsa_float_denorm_mode_32 3
		.amdhsa_float_denorm_mode_16_64 3
		.amdhsa_fp16_overflow 0
		.amdhsa_memory_ordered 1
		.amdhsa_forward_progress 1
		.amdhsa_inst_pref_size 12
		.amdhsa_round_robin_scheduling 0
		.amdhsa_exception_fp_ieee_invalid_op 0
		.amdhsa_exception_fp_denorm_src 0
		.amdhsa_exception_fp_ieee_div_zero 0
		.amdhsa_exception_fp_ieee_overflow 0
		.amdhsa_exception_fp_ieee_underflow 0
		.amdhsa_exception_fp_ieee_inexact 0
		.amdhsa_exception_int_div_zero 0
	.end_amdhsa_kernel
	.section	.text._ZN9rocsparseL29csrmvn_lrb_medium_rows_kernelILj256EliaaiiEEvbT0_PT1_S3_jNS_24const_host_device_scalarIT5_EEPKS1_PKS2_PKT2_PKT3_S6_PT4_21rocsparse_index_base_b,"axG",@progbits,_ZN9rocsparseL29csrmvn_lrb_medium_rows_kernelILj256EliaaiiEEvbT0_PT1_S3_jNS_24const_host_device_scalarIT5_EEPKS1_PKS2_PKT2_PKT3_S6_PT4_21rocsparse_index_base_b,comdat
.Lfunc_end90:
	.size	_ZN9rocsparseL29csrmvn_lrb_medium_rows_kernelILj256EliaaiiEEvbT0_PT1_S3_jNS_24const_host_device_scalarIT5_EEPKS1_PKS2_PKT2_PKT3_S6_PT4_21rocsparse_index_base_b, .Lfunc_end90-_ZN9rocsparseL29csrmvn_lrb_medium_rows_kernelILj256EliaaiiEEvbT0_PT1_S3_jNS_24const_host_device_scalarIT5_EEPKS1_PKS2_PKT2_PKT3_S6_PT4_21rocsparse_index_base_b
                                        ; -- End function
	.set _ZN9rocsparseL29csrmvn_lrb_medium_rows_kernelILj256EliaaiiEEvbT0_PT1_S3_jNS_24const_host_device_scalarIT5_EEPKS1_PKS2_PKT2_PKT3_S6_PT4_21rocsparse_index_base_b.num_vgpr, 21
	.set _ZN9rocsparseL29csrmvn_lrb_medium_rows_kernelILj256EliaaiiEEvbT0_PT1_S3_jNS_24const_host_device_scalarIT5_EEPKS1_PKS2_PKT2_PKT3_S6_PT4_21rocsparse_index_base_b.num_agpr, 0
	.set _ZN9rocsparseL29csrmvn_lrb_medium_rows_kernelILj256EliaaiiEEvbT0_PT1_S3_jNS_24const_host_device_scalarIT5_EEPKS1_PKS2_PKT2_PKT3_S6_PT4_21rocsparse_index_base_b.numbered_sgpr, 20
	.set _ZN9rocsparseL29csrmvn_lrb_medium_rows_kernelILj256EliaaiiEEvbT0_PT1_S3_jNS_24const_host_device_scalarIT5_EEPKS1_PKS2_PKT2_PKT3_S6_PT4_21rocsparse_index_base_b.num_named_barrier, 0
	.set _ZN9rocsparseL29csrmvn_lrb_medium_rows_kernelILj256EliaaiiEEvbT0_PT1_S3_jNS_24const_host_device_scalarIT5_EEPKS1_PKS2_PKT2_PKT3_S6_PT4_21rocsparse_index_base_b.private_seg_size, 0
	.set _ZN9rocsparseL29csrmvn_lrb_medium_rows_kernelILj256EliaaiiEEvbT0_PT1_S3_jNS_24const_host_device_scalarIT5_EEPKS1_PKS2_PKT2_PKT3_S6_PT4_21rocsparse_index_base_b.uses_vcc, 1
	.set _ZN9rocsparseL29csrmvn_lrb_medium_rows_kernelILj256EliaaiiEEvbT0_PT1_S3_jNS_24const_host_device_scalarIT5_EEPKS1_PKS2_PKT2_PKT3_S6_PT4_21rocsparse_index_base_b.uses_flat_scratch, 0
	.set _ZN9rocsparseL29csrmvn_lrb_medium_rows_kernelILj256EliaaiiEEvbT0_PT1_S3_jNS_24const_host_device_scalarIT5_EEPKS1_PKS2_PKT2_PKT3_S6_PT4_21rocsparse_index_base_b.has_dyn_sized_stack, 0
	.set _ZN9rocsparseL29csrmvn_lrb_medium_rows_kernelILj256EliaaiiEEvbT0_PT1_S3_jNS_24const_host_device_scalarIT5_EEPKS1_PKS2_PKT2_PKT3_S6_PT4_21rocsparse_index_base_b.has_recursion, 0
	.set _ZN9rocsparseL29csrmvn_lrb_medium_rows_kernelILj256EliaaiiEEvbT0_PT1_S3_jNS_24const_host_device_scalarIT5_EEPKS1_PKS2_PKT2_PKT3_S6_PT4_21rocsparse_index_base_b.has_indirect_call, 0
	.section	.AMDGPU.csdata,"",@progbits
; Kernel info:
; codeLenInByte = 1536
; TotalNumSgprs: 22
; NumVgprs: 21
; ScratchSize: 0
; MemoryBound: 0
; FloatMode: 240
; IeeeMode: 1
; LDSByteSize: 1024 bytes/workgroup (compile time only)
; SGPRBlocks: 0
; VGPRBlocks: 1
; NumSGPRsForWavesPerEU: 22
; NumVGPRsForWavesPerEU: 21
; NamedBarCnt: 0
; Occupancy: 16
; WaveLimiterHint : 1
; COMPUTE_PGM_RSRC2:SCRATCH_EN: 0
; COMPUTE_PGM_RSRC2:USER_SGPR: 2
; COMPUTE_PGM_RSRC2:TRAP_HANDLER: 0
; COMPUTE_PGM_RSRC2:TGID_X_EN: 1
; COMPUTE_PGM_RSRC2:TGID_Y_EN: 0
; COMPUTE_PGM_RSRC2:TGID_Z_EN: 0
; COMPUTE_PGM_RSRC2:TIDIG_COMP_CNT: 0
	.section	.text._ZN9rocsparseL27csrmvn_lrb_long_rows_kernelIliaaiiEEvbT_PjPT0_S4_jNS_24const_host_device_scalarIT4_EEPKS1_PKS3_PKT1_PKT2_S7_PT3_21rocsparse_index_base_b,"axG",@progbits,_ZN9rocsparseL27csrmvn_lrb_long_rows_kernelIliaaiiEEvbT_PjPT0_S4_jNS_24const_host_device_scalarIT4_EEPKS1_PKS3_PKT1_PKT2_S7_PT3_21rocsparse_index_base_b,comdat
	.globl	_ZN9rocsparseL27csrmvn_lrb_long_rows_kernelIliaaiiEEvbT_PjPT0_S4_jNS_24const_host_device_scalarIT4_EEPKS1_PKS3_PKT1_PKT2_S7_PT3_21rocsparse_index_base_b ; -- Begin function _ZN9rocsparseL27csrmvn_lrb_long_rows_kernelIliaaiiEEvbT_PjPT0_S4_jNS_24const_host_device_scalarIT4_EEPKS1_PKS3_PKT1_PKT2_S7_PT3_21rocsparse_index_base_b
	.p2align	8
	.type	_ZN9rocsparseL27csrmvn_lrb_long_rows_kernelIliaaiiEEvbT_PjPT0_S4_jNS_24const_host_device_scalarIT4_EEPKS1_PKS3_PKT1_PKT2_S7_PT3_21rocsparse_index_base_b,@function
_ZN9rocsparseL27csrmvn_lrb_long_rows_kernelIliaaiiEEvbT_PjPT0_S4_jNS_24const_host_device_scalarIT4_EEPKS1_PKS3_PKT1_PKT2_S7_PT3_21rocsparse_index_base_b: ; @_ZN9rocsparseL27csrmvn_lrb_long_rows_kernelIliaaiiEEvbT_PjPT0_S4_jNS_24const_host_device_scalarIT4_EEPKS1_PKS3_PKT1_PKT2_S7_PT3_21rocsparse_index_base_b
; %bb.0:
	s_clause 0x1
	s_load_b64 s[16:17], s[0:1], 0x68
	s_load_b64 s[4:5], s[0:1], 0x30
	s_mov_b32 s7, -1
                                        ; implicit-def: $sgpr21
	s_wait_kmcnt 0x0
	s_bitcmp1_b32 s17, 0
	s_cselect_b32 s2, -1, 0
	s_delay_alu instid0(SALU_CYCLE_1) | instskip(NEXT) | instid1(SALU_CYCLE_1)
	s_xor_b32 s6, s2, -1
	s_and_b32 vcc_lo, exec_lo, s6
	s_cbranch_vccnz .LBB91_4
; %bb.1:
	s_load_b64 s[2:3], s[0:1], 0x58
	s_and_not1_b32 vcc_lo, exec_lo, s7
	s_cbranch_vccz .LBB91_5
.LBB91_2:
	s_and_b32 vcc_lo, exec_lo, s6
	s_cbranch_vccz .LBB91_6
.LBB91_3:
	s_wait_kmcnt 0x0
	s_load_b32 s17, s[2:3], 0x0
	s_wait_xcnt 0x0
	s_cbranch_execz .LBB91_7
	s_branch .LBB91_8
.LBB91_4:
	s_load_b32 s21, s[4:5], 0x0
	s_load_b64 s[2:3], s[0:1], 0x58
	s_cbranch_execnz .LBB91_2
.LBB91_5:
	s_wait_kmcnt 0x0
	s_mov_b32 s21, s4
	s_and_b32 vcc_lo, exec_lo, s6
	s_cbranch_vccnz .LBB91_3
.LBB91_6:
	s_wait_kmcnt 0x0
                                        ; implicit-def: $sgpr17
.LBB91_7:
	s_wait_kmcnt 0x0
	s_mov_b32 s17, s2
.LBB91_8:
	s_cmp_lg_u32 s21, 0
	s_cselect_b32 s2, -1, 0
	s_wait_kmcnt 0x0
	s_cmp_lg_u32 s17, 1
	s_cselect_b32 s3, -1, 0
	s_delay_alu instid0(SALU_CYCLE_1) | instskip(NEXT) | instid1(SALU_CYCLE_1)
	s_or_b32 s2, s2, s3
	s_and_not1_b32 vcc_lo, exec_lo, s2
	s_cbranch_vccnz .LBB91_48
; %bb.9:
	s_load_b96 s[4:6], s[0:1], 0x20
	s_bfe_u32 s8, ttmp6, 0x4000c
	s_and_b32 s7, ttmp6, 15
	s_add_co_i32 s8, s8, 1
	s_getreg_b32 s9, hwreg(HW_REG_IB_STS2, 6, 4)
	s_mul_i32 s8, ttmp9, s8
	s_delay_alu instid0(SALU_CYCLE_1) | instskip(SKIP_4) | instid1(SALU_CYCLE_1)
	s_add_co_i32 s7, s7, s8
	s_wait_kmcnt 0x0
	s_lshl_b32 s2, -1, s6
	s_load_b32 s8, s[4:5], s6 offset:0x0 scale_offset
	s_not_b32 s2, s2
	s_mul_hi_u32 s2, s2, 0x2aaaaaab
	s_delay_alu instid0(SALU_CYCLE_1) | instskip(NEXT) | instid1(SALU_CYCLE_1)
	s_lshr_b32 s2, s2, 7
	s_add_co_i32 s22, s2, 1
	s_not_b32 s2, s2
	s_cvt_f32_u32 s3, s22
	s_delay_alu instid0(SALU_CYCLE_3) | instskip(SKIP_1) | instid1(TRANS32_DEP_1)
	v_rcp_iflag_f32_e32 v1, s3
	v_nop
	v_readfirstlane_b32 s3, v1
	v_mov_b32_e32 v1, 0
	s_mul_f32 s3, s3, 0x4f7ffffe
	s_delay_alu instid0(VALU_DEP_1) | instskip(NEXT) | instid1(SALU_CYCLE_2)
	v_mov_b32_e32 v16, v1
	s_cvt_u32_f32 s3, s3
	s_delay_alu instid0(SALU_CYCLE_3) | instskip(NEXT) | instid1(SALU_CYCLE_1)
	s_mul_i32 s2, s2, s3
	s_mul_hi_u32 s2, s3, s2
	s_delay_alu instid0(SALU_CYCLE_1)
	s_add_co_i32 s3, s3, s2
	s_cmp_eq_u32 s9, 0
	s_cselect_b32 s18, ttmp9, s7
	s_wait_xcnt 0x0
	s_load_b128 s[4:7], s[0:1], 0x10
	s_mul_hi_u32 s2, s18, s3
	s_delay_alu instid0(SALU_CYCLE_1) | instskip(SKIP_2) | instid1(SALU_CYCLE_1)
	s_mul_i32 s3, s2, s22
	s_add_co_i32 s9, s2, 1
	s_sub_co_i32 s3, s18, s3
	s_sub_co_i32 s10, s3, s22
	s_cmp_ge_u32 s3, s22
	s_cselect_b32 s2, s9, s2
	s_cselect_b32 s3, s10, s3
	s_add_co_i32 s9, s2, 1
	s_cmp_ge_u32 s3, s22
	s_cselect_b32 s23, s9, s2
	s_ashr_i32 s19, s18, 31
	s_wait_kmcnt 0x0
	s_add_co_i32 s2, s23, s8
	s_lshl_b64 s[12:13], s[18:19], 2
	s_ashr_i32 s3, s2, 31
	s_add_nc_u64 s[12:13], s[4:5], s[12:13]
	s_lshl_b64 s[2:3], s[2:3], 2
	s_delay_alu instid0(SALU_CYCLE_1)
	s_add_nc_u64 s[8:9], s[6:7], s[2:3]
	s_load_b32 s2, s[8:9], 0x0
	s_clause 0x1
	s_load_b64 s[10:11], s[0:1], 0x38
	s_load_b64 s[6:7], s[0:1], 0x60
	s_wait_kmcnt 0x0
	s_ashr_i32 s3, s2, 31
	s_delay_alu instid0(SALU_CYCLE_1) | instskip(NEXT) | instid1(SALU_CYCLE_1)
	s_lshl_b64 s[8:9], s[2:3], 3
	s_add_nc_u64 s[14:15], s[10:11], s[8:9]
	s_load_b128 s[8:11], s[14:15], 0x0
	s_load_b32 s20, s[12:13], 0x0
	s_wait_xcnt 0x0
	s_mul_i32 s14, s23, s22
	s_delay_alu instid0(SALU_CYCLE_1) | instskip(SKIP_2) | instid1(VALU_DEP_1)
	s_sub_co_i32 s15, s18, s14
	s_mov_b32 s18, exec_lo
	v_or_b32_e32 v2, s15, v0
	v_cmpx_eq_u32_e32 0, v2
	s_cbranch_execz .LBB91_13
; %bb.10:
	s_lshl_b64 s[22:23], s[2:3], 2
	s_mov_b32 s19, exec_lo
	s_add_nc_u64 s[22:23], s[6:7], s[22:23]
	v_mbcnt_lo_u32_b32 v2, s19, 0
	s_load_b32 s22, s[22:23], 0x0
	s_add_co_i32 s17, s17, -1
	global_wb scope:SCOPE_DEV
	s_wait_storecnt 0x0
	global_inv scope:SCOPE_DEV
	s_wait_kmcnt 0x0
	s_mul_i32 s17, s22, s17
	s_mov_b32 s22, exec_lo
	v_cmpx_eq_u32_e32 0, v2
	s_cbranch_execz .LBB91_12
; %bb.11:
	s_bcnt1_i32_b32 s19, s19
	s_delay_alu instid0(SALU_CYCLE_1) | instskip(NEXT) | instid1(SALU_CYCLE_1)
	s_and_b32 s19, s19, 1
	v_dual_mov_b32 v2, s14 :: v_dual_mov_b32 v3, s19
	global_atomic_xor_b32 v2, v3, s[4:5] scale_offset scope:SCOPE_DEV
.LBB91_12:
	s_wait_xcnt 0x0
	s_or_b32 exec_lo, exec_lo, s22
	v_mov_b32_e32 v16, s17
.LBB91_13:
	s_or_b32 exec_lo, exec_lo, s18
	s_mov_b32 s19, 0
	s_mul_i32 s18, s15, 3
	s_mov_b32 s17, s19
	s_lshl_b64 s[18:19], s[18:19], 8
	s_wait_kmcnt 0x0
	s_sub_nc_u64 s[22:23], s[8:9], s[16:17]
	s_sub_nc_u64 s[10:11], s[10:11], s[16:17]
	s_add_nc_u64 s[22:23], s[22:23], s[18:19]
	s_delay_alu instid0(SALU_CYCLE_1) | instskip(SKIP_3) | instid1(VALU_DEP_1)
	s_add_nc_u64 s[24:25], s[22:23], 0x300
	v_add_nc_u64_e32 v[4:5], s[22:23], v[0:1]
	v_min_i64 v[2:3], s[24:25], s[10:11]
	s_mov_b32 s22, exec_lo
	v_cmpx_lt_i64_e64 v[4:5], v[2:3]
	s_cbranch_execz .LBB91_23
; %bb.14:
	s_add_nc_u64 s[10:11], s[8:9], s[18:19]
	s_not_b64 s[8:9], s[8:9]
	v_add_nc_u64_e32 v[6:7], s[10:11], v[0:1]
	s_add_nc_u64 s[8:9], s[8:9], s[16:17]
	v_add_nc_u64_e32 v[8:9], s[18:19], v[0:1]
	s_delay_alu instid0(VALU_DEP_2) | instskip(NEXT) | instid1(VALU_DEP_1)
	v_sub_nc_u64_e64 v[6:7], v[6:7], s[16:17]
	v_add_nc_u64_e32 v[10:11], 0x100, v[6:7]
	s_delay_alu instid0(VALU_DEP_1) | instskip(NEXT) | instid1(VALU_DEP_1)
	v_max_i64 v[6:7], v[2:3], v[10:11]
	v_add_nc_u64_e32 v[6:7], s[8:9], v[6:7]
	s_clause 0x1
	s_load_b64 s[18:19], s[0:1], 0x50
	s_load_b128 s[8:11], s[0:1], 0x40
	s_wait_xcnt 0x0
	s_mov_b32 s1, -1
	s_mov_b32 s0, exec_lo
	v_sub_nc_u64_e32 v[6:7], v[6:7], v[8:9]
	s_delay_alu instid0(VALU_DEP_1)
	v_cmpx_lt_u64_e32 0xff, v[6:7]
	s_cbranch_execz .LBB91_18
; %bb.15:
	v_lshrrev_b64 v[6:7], 8, v[6:7]
	s_wait_kmcnt 0x0
	v_lshl_add_u64 v[12:13], v[4:5], 2, s[8:9]
	v_add_nc_u64_e32 v[10:11], s[10:11], v[10:11]
	v_mov_b32_e32 v1, 0
	s_mov_b32 s1, s21
	s_mov_b32 s23, s16
	v_add_nc_u64_e32 v[12:13], 0x400, v[12:13]
	v_add_nc_u64_e32 v[6:7], 1, v[6:7]
	s_mov_b32 s17, 0
	s_delay_alu instid0(VALU_DEP_1) | instskip(NEXT) | instid1(VALU_DEP_1)
	v_dual_mov_b32 v9, v7 :: v_dual_bitop2_b32 v8, -2, v6 bitop3:0x40
	v_mov_b64_e32 v[14:15], v[8:9]
.LBB91_16:                              ; =>This Inner Loop Header: Depth=1
	s_clause 0x1
	global_load_b32 v17, v[12:13], off
	global_load_b32 v18, v[12:13], off offset:-1024
	s_clause 0x1
	global_load_i8 v19, v[10:11], off
	global_load_i8 v20, v[10:11], off offset:-256
	v_add_nc_u64_e32 v[14:15], -2, v[14:15]
	s_wait_xcnt 0x0
	v_add_nc_u64_e32 v[10:11], 0x200, v[10:11]
	v_add_nc_u64_e32 v[12:13], 0x800, v[12:13]
	s_delay_alu instid0(VALU_DEP_3)
	v_cmp_eq_u64_e32 vcc_lo, 0, v[14:15]
	s_or_b32 s17, vcc_lo, s17
	s_wait_loadcnt 0x3
	v_subrev_nc_u32_e32 v17, s23, v17
	s_wait_loadcnt 0x2
	v_subrev_nc_u32_e32 v18, s16, v18
	s_clause 0x1
	global_load_i8 v21, v17, s[18:19]
	global_load_i8 v22, v18, s[18:19]
	s_wait_loadcnt 0x3
	s_wait_xcnt 0x1
	v_mul_lo_u32 v17, s1, v19
	s_wait_loadcnt 0x2
	s_wait_xcnt 0x0
	v_mul_lo_u32 v18, s21, v20
	s_wait_loadcnt 0x1
	s_delay_alu instid0(VALU_DEP_2) | instskip(SKIP_1) | instid1(VALU_DEP_2)
	v_mad_u32 v1, v17, v21, v1
	s_wait_loadcnt 0x0
	v_mad_u32 v16, v18, v22, v16
	s_and_not1_b32 exec_lo, exec_lo, s17
	s_cbranch_execnz .LBB91_16
; %bb.17:
	s_or_b32 exec_lo, exec_lo, s17
	v_lshlrev_b64_e32 v[10:11], 8, v[8:9]
	v_cmp_ne_u64_e32 vcc_lo, v[6:7], v[8:9]
	s_delay_alu instid0(VALU_DEP_3) | instskip(NEXT) | instid1(VALU_DEP_3)
	v_add_nc_u32_e32 v16, v16, v1
	v_add_nc_u64_e32 v[4:5], v[4:5], v[10:11]
	s_or_not1_b32 s1, vcc_lo, exec_lo
.LBB91_18:
	s_or_b32 exec_lo, exec_lo, s0
	s_and_saveexec_b32 s0, s1
	s_cbranch_execz .LBB91_22
; %bb.19:
	s_wait_kmcnt 0x0
	s_delay_alu instid0(VALU_DEP_1)
	v_lshl_add_u64 v[6:7], v[4:5], 2, s[8:9]
	s_mov_b32 s1, 0
.LBB91_20:                              ; =>This Inner Loop Header: Depth=1
	global_load_b32 v1, v[6:7], off
	v_add_nc_u64_e32 v[8:9], s[10:11], v[4:5]
	v_add_nc_u64_e32 v[4:5], 0x100, v[4:5]
	s_wait_xcnt 0x0
	v_add_nc_u64_e32 v[6:7], 0x400, v[6:7]
	global_load_i8 v8, v[8:9], off
	v_cmp_ge_i64_e32 vcc_lo, v[4:5], v[2:3]
	s_or_b32 s1, vcc_lo, s1
	s_wait_loadcnt 0x1
	v_subrev_nc_u32_e32 v1, s16, v1
	global_load_i8 v1, v1, s[18:19]
	s_wait_loadcnt 0x1
	s_wait_xcnt 0x1
	v_mul_lo_u32 v8, s21, v8
	s_wait_loadcnt 0x0
	s_delay_alu instid0(VALU_DEP_1)
	v_mad_u32 v16, v8, v1, v16
	s_wait_xcnt 0x0
	s_and_not1_b32 exec_lo, exec_lo, s1
	s_cbranch_execnz .LBB91_20
; %bb.21:
	s_or_b32 exec_lo, exec_lo, s1
.LBB91_22:
	s_delay_alu instid0(SALU_CYCLE_1)
	s_or_b32 exec_lo, exec_lo, s0
.LBB91_23:
	s_delay_alu instid0(SALU_CYCLE_1)
	s_or_b32 exec_lo, exec_lo, s22
	v_lshlrev_b32_e32 v1, 2, v0
	s_mov_b32 s0, exec_lo
	ds_store_b32 v1, v16
	s_wait_storecnt 0x0
	s_wait_loadcnt_dscnt 0x0
	s_barrier_signal -1
	s_barrier_wait -1
	v_cmpx_gt_u32_e32 0x80, v0
	s_cbranch_execz .LBB91_25
; %bb.24:
	ds_load_2addr_stride64_b32 v[2:3], v1 offset1:2
	s_wait_dscnt 0x0
	v_add_nc_u32_e32 v2, v3, v2
	ds_store_b32 v1, v2
.LBB91_25:
	s_or_b32 exec_lo, exec_lo, s0
	s_delay_alu instid0(SALU_CYCLE_1)
	s_mov_b32 s0, exec_lo
	s_wait_dscnt 0x0
	s_barrier_signal -1
	s_barrier_wait -1
	v_cmpx_gt_u32_e32 64, v0
	s_cbranch_execz .LBB91_27
; %bb.26:
	ds_load_2addr_stride64_b32 v[2:3], v1 offset1:1
	s_wait_dscnt 0x0
	v_add_nc_u32_e32 v2, v3, v2
	ds_store_b32 v1, v2
.LBB91_27:
	s_or_b32 exec_lo, exec_lo, s0
	s_delay_alu instid0(SALU_CYCLE_1)
	s_mov_b32 s0, exec_lo
	s_wait_dscnt 0x0
	s_barrier_signal -1
	s_barrier_wait -1
	v_cmpx_gt_u32_e32 32, v0
	s_cbranch_execz .LBB91_29
; %bb.28:
	ds_load_2addr_b32 v[2:3], v1 offset1:32
	s_wait_dscnt 0x0
	v_add_nc_u32_e32 v2, v3, v2
	ds_store_b32 v1, v2
.LBB91_29:
	s_or_b32 exec_lo, exec_lo, s0
	s_delay_alu instid0(SALU_CYCLE_1)
	s_mov_b32 s0, exec_lo
	s_wait_dscnt 0x0
	s_barrier_signal -1
	s_barrier_wait -1
	v_cmpx_gt_u32_e32 16, v0
	s_cbranch_execz .LBB91_31
; %bb.30:
	ds_load_2addr_b32 v[2:3], v1 offset1:16
	s_wait_dscnt 0x0
	v_add_nc_u32_e32 v2, v3, v2
	ds_store_b32 v1, v2
.LBB91_31:
	;; [unrolled: 14-line block ×5, first 2 shown]
	s_or_b32 exec_lo, exec_lo, s0
	v_cmp_eq_u32_e32 vcc_lo, 0, v0
	s_wait_dscnt 0x0
	s_barrier_signal -1
	s_barrier_wait -1
	s_and_saveexec_b32 s0, vcc_lo
	s_cbranch_execz .LBB91_39
; %bb.38:
	v_mov_b32_e32 v2, 0
	ds_load_b64 v[0:1], v2
	s_wait_dscnt 0x0
	v_add_nc_u32_e32 v0, v1, v0
	ds_store_b32 v2, v0
.LBB91_39:
	s_or_b32 exec_lo, exec_lo, s0
	s_wait_dscnt 0x0
	s_barrier_signal -1
	s_barrier_wait -1
	s_and_saveexec_b32 s0, vcc_lo
	s_cbranch_execz .LBB91_48
; %bb.40:
	s_cmp_eq_u32 s15, 0
	s_cbranch_scc1 .LBB91_46
; %bb.41:
	s_ashr_i32 s15, s14, 31
	v_mov_b32_e32 v0, 0
	s_lshl_b64 s[0:1], s[14:15], 2
	s_delay_alu instid0(SALU_CYCLE_1)
	s_add_nc_u64 s[0:1], s[4:5], s[0:1]
	s_branch .LBB91_43
.LBB91_42:                              ;   in Loop: Header=BB91_43 Depth=1
	s_wait_xcnt 0x0
	s_or_b32 exec_lo, exec_lo, s4
	s_wait_loadcnt 0x0
	v_readfirstlane_b32 s4, v1
	s_cmp_eq_u32 s4, s20
	s_cbranch_scc0 .LBB91_45
.LBB91_43:                              ; =>This Inner Loop Header: Depth=1
	v_mbcnt_lo_u32_b32 v1, exec_lo, 0
	s_delay_alu instid0(VALU_DEP_1)
	v_cmp_eq_u32_e32 vcc_lo, 0, v1
                                        ; implicit-def: $vgpr1
	s_and_saveexec_b32 s4, vcc_lo
	s_cbranch_execz .LBB91_42
; %bb.44:                               ;   in Loop: Header=BB91_43 Depth=1
	global_load_b32 v1, v0, s[0:1] scope:SCOPE_DEV
	s_branch .LBB91_42
.LBB91_45:
	v_mov_b32_e32 v0, 0
	global_load_u16 v1, v0, s[12:13]
	s_wait_loadcnt 0x0
	v_xor_b32_e32 v1, 1, v1
	s_wait_kmcnt 0x0
	global_store_b16 v0, v1, s[12:13]
.LBB91_46:
	s_mov_b32 s0, exec_lo
	s_wait_xcnt 0x0
	v_mbcnt_lo_u32_b32 v0, s0, 0
	s_delay_alu instid0(VALU_DEP_1) | instskip(SKIP_1) | instid1(SALU_CYCLE_1)
	v_cmp_eq_u32_e32 vcc_lo, 0, v0
	s_and_b32 s1, exec_lo, vcc_lo
	s_mov_b32 exec_lo, s1
	s_cbranch_execz .LBB91_48
; %bb.47:
	v_mov_b32_e32 v0, 0
	s_bcnt1_i32_b32 s0, s0
	ds_load_b32 v1, v0
	s_wait_dscnt 0x0
	v_mul_lo_u32 v1, v1, s0
	s_lshl_b64 s[0:1], s[2:3], 2
	s_delay_alu instid0(SALU_CYCLE_1)
	s_add_nc_u64 s[0:1], s[6:7], s[0:1]
	global_atomic_add_u32 v0, v1, s[0:1] scope:SCOPE_DEV
.LBB91_48:
	s_endpgm
	.section	.rodata,"a",@progbits
	.p2align	6, 0x0
	.amdhsa_kernel _ZN9rocsparseL27csrmvn_lrb_long_rows_kernelIliaaiiEEvbT_PjPT0_S4_jNS_24const_host_device_scalarIT4_EEPKS1_PKS3_PKT1_PKT2_S7_PT3_21rocsparse_index_base_b
		.amdhsa_group_segment_fixed_size 1024
		.amdhsa_private_segment_fixed_size 0
		.amdhsa_kernarg_size 112
		.amdhsa_user_sgpr_count 2
		.amdhsa_user_sgpr_dispatch_ptr 0
		.amdhsa_user_sgpr_queue_ptr 0
		.amdhsa_user_sgpr_kernarg_segment_ptr 1
		.amdhsa_user_sgpr_dispatch_id 0
		.amdhsa_user_sgpr_kernarg_preload_length 0
		.amdhsa_user_sgpr_kernarg_preload_offset 0
		.amdhsa_user_sgpr_private_segment_size 0
		.amdhsa_wavefront_size32 1
		.amdhsa_uses_dynamic_stack 0
		.amdhsa_enable_private_segment 0
		.amdhsa_system_sgpr_workgroup_id_x 1
		.amdhsa_system_sgpr_workgroup_id_y 0
		.amdhsa_system_sgpr_workgroup_id_z 0
		.amdhsa_system_sgpr_workgroup_info 0
		.amdhsa_system_vgpr_workitem_id 0
		.amdhsa_next_free_vgpr 23
		.amdhsa_next_free_sgpr 26
		.amdhsa_named_barrier_count 0
		.amdhsa_reserve_vcc 1
		.amdhsa_float_round_mode_32 0
		.amdhsa_float_round_mode_16_64 0
		.amdhsa_float_denorm_mode_32 3
		.amdhsa_float_denorm_mode_16_64 3
		.amdhsa_fp16_overflow 0
		.amdhsa_memory_ordered 1
		.amdhsa_forward_progress 1
		.amdhsa_inst_pref_size 16
		.amdhsa_round_robin_scheduling 0
		.amdhsa_exception_fp_ieee_invalid_op 0
		.amdhsa_exception_fp_denorm_src 0
		.amdhsa_exception_fp_ieee_div_zero 0
		.amdhsa_exception_fp_ieee_overflow 0
		.amdhsa_exception_fp_ieee_underflow 0
		.amdhsa_exception_fp_ieee_inexact 0
		.amdhsa_exception_int_div_zero 0
	.end_amdhsa_kernel
	.section	.text._ZN9rocsparseL27csrmvn_lrb_long_rows_kernelIliaaiiEEvbT_PjPT0_S4_jNS_24const_host_device_scalarIT4_EEPKS1_PKS3_PKT1_PKT2_S7_PT3_21rocsparse_index_base_b,"axG",@progbits,_ZN9rocsparseL27csrmvn_lrb_long_rows_kernelIliaaiiEEvbT_PjPT0_S4_jNS_24const_host_device_scalarIT4_EEPKS1_PKS3_PKT1_PKT2_S7_PT3_21rocsparse_index_base_b,comdat
.Lfunc_end91:
	.size	_ZN9rocsparseL27csrmvn_lrb_long_rows_kernelIliaaiiEEvbT_PjPT0_S4_jNS_24const_host_device_scalarIT4_EEPKS1_PKS3_PKT1_PKT2_S7_PT3_21rocsparse_index_base_b, .Lfunc_end91-_ZN9rocsparseL27csrmvn_lrb_long_rows_kernelIliaaiiEEvbT_PjPT0_S4_jNS_24const_host_device_scalarIT4_EEPKS1_PKS3_PKT1_PKT2_S7_PT3_21rocsparse_index_base_b
                                        ; -- End function
	.set _ZN9rocsparseL27csrmvn_lrb_long_rows_kernelIliaaiiEEvbT_PjPT0_S4_jNS_24const_host_device_scalarIT4_EEPKS1_PKS3_PKT1_PKT2_S7_PT3_21rocsparse_index_base_b.num_vgpr, 23
	.set _ZN9rocsparseL27csrmvn_lrb_long_rows_kernelIliaaiiEEvbT_PjPT0_S4_jNS_24const_host_device_scalarIT4_EEPKS1_PKS3_PKT1_PKT2_S7_PT3_21rocsparse_index_base_b.num_agpr, 0
	.set _ZN9rocsparseL27csrmvn_lrb_long_rows_kernelIliaaiiEEvbT_PjPT0_S4_jNS_24const_host_device_scalarIT4_EEPKS1_PKS3_PKT1_PKT2_S7_PT3_21rocsparse_index_base_b.numbered_sgpr, 26
	.set _ZN9rocsparseL27csrmvn_lrb_long_rows_kernelIliaaiiEEvbT_PjPT0_S4_jNS_24const_host_device_scalarIT4_EEPKS1_PKS3_PKT1_PKT2_S7_PT3_21rocsparse_index_base_b.num_named_barrier, 0
	.set _ZN9rocsparseL27csrmvn_lrb_long_rows_kernelIliaaiiEEvbT_PjPT0_S4_jNS_24const_host_device_scalarIT4_EEPKS1_PKS3_PKT1_PKT2_S7_PT3_21rocsparse_index_base_b.private_seg_size, 0
	.set _ZN9rocsparseL27csrmvn_lrb_long_rows_kernelIliaaiiEEvbT_PjPT0_S4_jNS_24const_host_device_scalarIT4_EEPKS1_PKS3_PKT1_PKT2_S7_PT3_21rocsparse_index_base_b.uses_vcc, 1
	.set _ZN9rocsparseL27csrmvn_lrb_long_rows_kernelIliaaiiEEvbT_PjPT0_S4_jNS_24const_host_device_scalarIT4_EEPKS1_PKS3_PKT1_PKT2_S7_PT3_21rocsparse_index_base_b.uses_flat_scratch, 0
	.set _ZN9rocsparseL27csrmvn_lrb_long_rows_kernelIliaaiiEEvbT_PjPT0_S4_jNS_24const_host_device_scalarIT4_EEPKS1_PKS3_PKT1_PKT2_S7_PT3_21rocsparse_index_base_b.has_dyn_sized_stack, 0
	.set _ZN9rocsparseL27csrmvn_lrb_long_rows_kernelIliaaiiEEvbT_PjPT0_S4_jNS_24const_host_device_scalarIT4_EEPKS1_PKS3_PKT1_PKT2_S7_PT3_21rocsparse_index_base_b.has_recursion, 0
	.set _ZN9rocsparseL27csrmvn_lrb_long_rows_kernelIliaaiiEEvbT_PjPT0_S4_jNS_24const_host_device_scalarIT4_EEPKS1_PKS3_PKT1_PKT2_S7_PT3_21rocsparse_index_base_b.has_indirect_call, 0
	.section	.AMDGPU.csdata,"",@progbits
; Kernel info:
; codeLenInByte = 2028
; TotalNumSgprs: 28
; NumVgprs: 23
; ScratchSize: 0
; MemoryBound: 0
; FloatMode: 240
; IeeeMode: 1
; LDSByteSize: 1024 bytes/workgroup (compile time only)
; SGPRBlocks: 0
; VGPRBlocks: 1
; NumSGPRsForWavesPerEU: 28
; NumVGPRsForWavesPerEU: 23
; NamedBarCnt: 0
; Occupancy: 16
; WaveLimiterHint : 1
; COMPUTE_PGM_RSRC2:SCRATCH_EN: 0
; COMPUTE_PGM_RSRC2:USER_SGPR: 2
; COMPUTE_PGM_RSRC2:TRAP_HANDLER: 0
; COMPUTE_PGM_RSRC2:TGID_X_EN: 1
; COMPUTE_PGM_RSRC2:TGID_Y_EN: 0
; COMPUTE_PGM_RSRC2:TGID_Z_EN: 0
; COMPUTE_PGM_RSRC2:TIDIG_COMP_CNT: 0
	.section	.text._ZN9rocsparseL28csrmvn_lrb_short_rows_kernelIllaaiiEEvbT_PT0_S3_jNS_24const_host_device_scalarIT4_EEPKS1_PKS2_PKT1_PKT2_S6_PT3_21rocsparse_index_base_b,"axG",@progbits,_ZN9rocsparseL28csrmvn_lrb_short_rows_kernelIllaaiiEEvbT_PT0_S3_jNS_24const_host_device_scalarIT4_EEPKS1_PKS2_PKT1_PKT2_S6_PT3_21rocsparse_index_base_b,comdat
	.globl	_ZN9rocsparseL28csrmvn_lrb_short_rows_kernelIllaaiiEEvbT_PT0_S3_jNS_24const_host_device_scalarIT4_EEPKS1_PKS2_PKT1_PKT2_S6_PT3_21rocsparse_index_base_b ; -- Begin function _ZN9rocsparseL28csrmvn_lrb_short_rows_kernelIllaaiiEEvbT_PT0_S3_jNS_24const_host_device_scalarIT4_EEPKS1_PKS2_PKT1_PKT2_S6_PT3_21rocsparse_index_base_b
	.p2align	8
	.type	_ZN9rocsparseL28csrmvn_lrb_short_rows_kernelIllaaiiEEvbT_PT0_S3_jNS_24const_host_device_scalarIT4_EEPKS1_PKS2_PKT1_PKT2_S6_PT3_21rocsparse_index_base_b,@function
_ZN9rocsparseL28csrmvn_lrb_short_rows_kernelIllaaiiEEvbT_PT0_S3_jNS_24const_host_device_scalarIT4_EEPKS1_PKS2_PKT1_PKT2_S6_PT3_21rocsparse_index_base_b: ; @_ZN9rocsparseL28csrmvn_lrb_short_rows_kernelIllaaiiEEvbT_PT0_S3_jNS_24const_host_device_scalarIT4_EEPKS1_PKS2_PKT1_PKT2_S6_PT3_21rocsparse_index_base_b
; %bb.0:
	s_clause 0x1
	s_load_b64 s[2:3], s[0:1], 0x60
	s_load_b64 s[6:7], s[0:1], 0x28
	s_mov_b32 s8, -1
                                        ; implicit-def: $sgpr21
	s_wait_kmcnt 0x0
	s_bitcmp1_b32 s3, 0
	s_cselect_b32 s3, -1, 0
	s_delay_alu instid0(SALU_CYCLE_1) | instskip(NEXT) | instid1(SALU_CYCLE_1)
	s_xor_b32 s3, s3, -1
	s_and_b32 vcc_lo, exec_lo, s3
	s_cbranch_vccnz .LBB92_4
; %bb.1:
	s_load_b64 s[4:5], s[0:1], 0x50
	s_and_not1_b32 vcc_lo, exec_lo, s8
	s_cbranch_vccz .LBB92_5
.LBB92_2:
	s_and_b32 vcc_lo, exec_lo, s3
	s_cbranch_vccz .LBB92_6
.LBB92_3:
	s_wait_kmcnt 0x0
	s_load_b32 s20, s[4:5], 0x0
	s_cbranch_execz .LBB92_7
	s_branch .LBB92_8
.LBB92_4:
	s_load_b32 s21, s[6:7], 0x0
	s_load_b64 s[4:5], s[0:1], 0x50
	s_cbranch_execnz .LBB92_2
.LBB92_5:
	s_wait_kmcnt 0x0
	s_mov_b32 s21, s6
	s_and_b32 vcc_lo, exec_lo, s3
	s_cbranch_vccnz .LBB92_3
.LBB92_6:
                                        ; implicit-def: $sgpr20
.LBB92_7:
	s_wait_kmcnt 0x0
	s_mov_b32 s20, s4
.LBB92_8:
	s_wait_kmcnt 0x0
	s_cmp_lg_u32 s21, 0
	s_mov_b32 s5, 0
	s_cselect_b32 s3, -1, 0
	s_cmp_lg_u32 s20, 1
	s_cselect_b32 s4, -1, 0
	s_delay_alu instid0(SALU_CYCLE_1) | instskip(NEXT) | instid1(SALU_CYCLE_1)
	s_or_b32 s3, s3, s4
	s_and_not1_b32 vcc_lo, exec_lo, s3
	s_cbranch_vccnz .LBB92_22
; %bb.9:
	s_clause 0x1
	s_load_b32 s22, s[0:1], 0x20
	s_load_b128 s[12:15], s[0:1], 0x10
	s_getreg_b32 s6, hwreg(HW_REG_IB_STS2, 6, 4)
	s_wait_kmcnt 0x0
	s_add_co_i32 s4, s22, 1
	s_delay_alu instid0(SALU_CYCLE_1) | instskip(NEXT) | instid1(SALU_CYCLE_1)
	s_lshl_b64 s[4:5], s[4:5], 3
	s_add_nc_u64 s[4:5], s[14:15], s[4:5]
	s_clause 0x1
	s_load_b64 s[16:17], s[14:15], s22 offset:0x0 scale_offset
	s_load_b32 s3, s[4:5], 0x0
	s_wait_xcnt 0x0
	s_bfe_u32 s4, ttmp6, 0x4000c
	s_and_b32 s5, ttmp6, 15
	s_add_co_i32 s4, s4, 1
	s_delay_alu instid0(SALU_CYCLE_1) | instskip(NEXT) | instid1(SALU_CYCLE_1)
	s_mul_i32 s4, ttmp9, s4
	s_add_co_i32 s5, s5, s4
	s_wait_kmcnt 0x0
	s_sub_co_i32 s3, s3, s16
	s_cmp_eq_u32 s6, 0
	s_cselect_b32 s4, ttmp9, s5
	s_delay_alu instid0(SALU_CYCLE_1) | instskip(NEXT) | instid1(SALU_CYCLE_1)
	s_lshl_b32 s14, s4, 8
	s_add_co_i32 s4, s14, 0x100
	s_delay_alu instid0(SALU_CYCLE_1)
	s_min_u32 s15, s3, s4
	s_cmp_gt_u32 s22, 23
	s_cbranch_scc1 .LBB92_16
; %bb.10:
	s_load_b256 s[4:11], s[0:1], 0x30
	v_bfe_u32 v6, v0, 0, s22
	v_mov_b32_e32 v7, 0
	v_lshl_add_u32 v1, v0, 2, 0
	s_lshl_b64 s[18:19], s[16:17], 3
	s_mov_b32 s3, 0
	s_lshl_b32 s23, 0x100, s22
	s_add_nc_u64 s[18:19], s[12:13], s[18:19]
	s_mov_b32 s24, s3
	s_branch .LBB92_13
.LBB92_11:                              ;   in Loop: Header=BB92_13 Depth=1
	s_or_b32 exec_lo, exec_lo, s26
	ds_store_b32 v1, v4
.LBB92_12:                              ;   in Loop: Header=BB92_13 Depth=1
	s_or_b32 exec_lo, exec_lo, s25
	v_add_nc_u32_e32 v1, 0x400, v1
	s_addk_co_i32 s24, 0x100
	s_delay_alu instid0(SALU_CYCLE_1)
	s_cmp_ge_u32 s24, s23
	s_cbranch_scc1 .LBB92_16
.LBB92_13:                              ; =>This Inner Loop Header: Depth=1
	v_add_nc_u32_e32 v2, s24, v0
	s_mov_b32 s25, exec_lo
	s_delay_alu instid0(VALU_DEP_1) | instskip(NEXT) | instid1(VALU_DEP_1)
	v_lshrrev_b32_e32 v2, s22, v2
	v_add_nc_u32_e32 v2, s14, v2
	s_delay_alu instid0(VALU_DEP_1)
	v_cmpx_gt_u32_e64 s15, v2
	s_cbranch_execz .LBB92_12
; %bb.14:                               ;   in Loop: Header=BB92_13 Depth=1
	global_load_b64 v[2:3], v2, s[18:19] scale_offset
	s_wait_loadcnt 0x0
	s_wait_kmcnt 0x0
	s_wait_xcnt 0x0
	v_lshl_add_u64 v[2:3], v[2:3], 3, s[4:5]
	global_load_b128 v[2:5], v[2:3], off
	s_wait_loadcnt 0x0
	v_sub_nc_u64_e32 v[4:5], v[4:5], v[2:3]
	s_delay_alu instid0(VALU_DEP_1)
	v_cmp_gt_i64_e32 vcc_lo, v[4:5], v[6:7]
	v_mov_b32_e32 v4, 0
	s_wait_xcnt 0x0
	s_and_saveexec_b32 s26, vcc_lo
	s_cbranch_execz .LBB92_11
; %bb.15:                               ;   in Loop: Header=BB92_13 Depth=1
	v_sub_nc_u64_e64 v[2:3], v[2:3], s[2:3]
	s_delay_alu instid0(VALU_DEP_1) | instskip(NEXT) | instid1(VALU_DEP_1)
	v_add_nc_u64_e32 v[2:3], v[2:3], v[6:7]
	v_lshl_add_u64 v[4:5], v[2:3], 3, s[6:7]
	v_add_nc_u64_e32 v[2:3], s[8:9], v[2:3]
	global_load_b64 v[4:5], v[4:5], off
	global_load_i8 v8, v[2:3], off
	s_wait_loadcnt 0x1
	s_wait_xcnt 0x1
	v_sub_nc_u64_e64 v[4:5], v[4:5], s[2:3]
	s_wait_xcnt 0x0
	s_delay_alu instid0(VALU_DEP_1)
	v_add_nc_u64_e32 v[2:3], s[10:11], v[4:5]
	global_load_i8 v2, v[2:3], off
	s_wait_loadcnt 0x1
	s_wait_xcnt 0x0
	v_mul_lo_u32 v3, s21, v8
	s_wait_loadcnt 0x0
	s_delay_alu instid0(VALU_DEP_1)
	v_mul_lo_u32 v4, v3, v2
	s_branch .LBB92_11
.LBB92_16:
	s_sub_co_i32 s2, s15, s14
	s_wait_dscnt 0x0
	v_cmp_gt_u32_e32 vcc_lo, s2, v0
	s_barrier_signal -1
	s_barrier_wait -1
	s_and_saveexec_b32 s2, vcc_lo
	s_cbranch_execz .LBB92_22
; %bb.17:
	s_lshl_b64 s[2:3], s[16:17], 3
	s_mov_b32 s15, 0
	s_add_nc_u64 s[2:3], s[12:13], s[2:3]
	s_wait_kmcnt 0x0
	s_lshl_b64 s[4:5], s[14:15], 3
	s_load_b64 s[0:1], s[0:1], 0x58
	s_add_nc_u64 s[2:3], s[2:3], s[4:5]
	v_mov_b32_e32 v4, 0
	global_load_b64 v[2:3], v0, s[2:3] scale_offset
	s_wait_xcnt 0x0
	v_lshlrev_b32_e32 v0, s22, v0
	s_mov_b32 s2, 1
	s_delay_alu instid0(VALU_DEP_1)
	v_lshl_add_u32 v0, v0, 2, 0
.LBB92_18:                              ; =>This Inner Loop Header: Depth=1
	ds_load_b32 v1, v0
	v_add_nc_u32_e32 v0, 4, v0
	s_lshr_b32 s3, s2, s22
	s_add_co_i32 s2, s2, 1
	s_cmp_lg_u32 s3, 0
	s_wait_dscnt 0x0
	v_add_nc_u32_e32 v4, v1, v4
	s_cbranch_scc0 .LBB92_18
; %bb.19:
	s_wait_loadcnt 0x0
	s_wait_kmcnt 0x0
	v_lshl_add_u64 v[0:1], v[2:3], 2, s[0:1]
	s_cmp_lg_u32 s20, 0
	s_cbranch_scc0 .LBB92_21
; %bb.20:
	global_load_b32 v2, v[0:1], off
	s_wait_loadcnt 0x0
	v_mad_u32 v4, v2, s20, v4
.LBB92_21:
	global_store_b32 v[0:1], v4, off
.LBB92_22:
	s_endpgm
	.section	.rodata,"a",@progbits
	.p2align	6, 0x0
	.amdhsa_kernel _ZN9rocsparseL28csrmvn_lrb_short_rows_kernelIllaaiiEEvbT_PT0_S3_jNS_24const_host_device_scalarIT4_EEPKS1_PKS2_PKT1_PKT2_S6_PT3_21rocsparse_index_base_b
		.amdhsa_group_segment_fixed_size 0
		.amdhsa_private_segment_fixed_size 0
		.amdhsa_kernarg_size 104
		.amdhsa_user_sgpr_count 2
		.amdhsa_user_sgpr_dispatch_ptr 0
		.amdhsa_user_sgpr_queue_ptr 0
		.amdhsa_user_sgpr_kernarg_segment_ptr 1
		.amdhsa_user_sgpr_dispatch_id 0
		.amdhsa_user_sgpr_kernarg_preload_length 0
		.amdhsa_user_sgpr_kernarg_preload_offset 0
		.amdhsa_user_sgpr_private_segment_size 0
		.amdhsa_wavefront_size32 1
		.amdhsa_uses_dynamic_stack 0
		.amdhsa_enable_private_segment 0
		.amdhsa_system_sgpr_workgroup_id_x 1
		.amdhsa_system_sgpr_workgroup_id_y 0
		.amdhsa_system_sgpr_workgroup_id_z 0
		.amdhsa_system_sgpr_workgroup_info 0
		.amdhsa_system_vgpr_workitem_id 0
		.amdhsa_next_free_vgpr 9
		.amdhsa_next_free_sgpr 27
		.amdhsa_named_barrier_count 0
		.amdhsa_reserve_vcc 1
		.amdhsa_float_round_mode_32 0
		.amdhsa_float_round_mode_16_64 0
		.amdhsa_float_denorm_mode_32 3
		.amdhsa_float_denorm_mode_16_64 3
		.amdhsa_fp16_overflow 0
		.amdhsa_memory_ordered 1
		.amdhsa_forward_progress 1
		.amdhsa_inst_pref_size 7
		.amdhsa_round_robin_scheduling 0
		.amdhsa_exception_fp_ieee_invalid_op 0
		.amdhsa_exception_fp_denorm_src 0
		.amdhsa_exception_fp_ieee_div_zero 0
		.amdhsa_exception_fp_ieee_overflow 0
		.amdhsa_exception_fp_ieee_underflow 0
		.amdhsa_exception_fp_ieee_inexact 0
		.amdhsa_exception_int_div_zero 0
	.end_amdhsa_kernel
	.section	.text._ZN9rocsparseL28csrmvn_lrb_short_rows_kernelIllaaiiEEvbT_PT0_S3_jNS_24const_host_device_scalarIT4_EEPKS1_PKS2_PKT1_PKT2_S6_PT3_21rocsparse_index_base_b,"axG",@progbits,_ZN9rocsparseL28csrmvn_lrb_short_rows_kernelIllaaiiEEvbT_PT0_S3_jNS_24const_host_device_scalarIT4_EEPKS1_PKS2_PKT1_PKT2_S6_PT3_21rocsparse_index_base_b,comdat
.Lfunc_end92:
	.size	_ZN9rocsparseL28csrmvn_lrb_short_rows_kernelIllaaiiEEvbT_PT0_S3_jNS_24const_host_device_scalarIT4_EEPKS1_PKS2_PKT1_PKT2_S6_PT3_21rocsparse_index_base_b, .Lfunc_end92-_ZN9rocsparseL28csrmvn_lrb_short_rows_kernelIllaaiiEEvbT_PT0_S3_jNS_24const_host_device_scalarIT4_EEPKS1_PKS2_PKT1_PKT2_S6_PT3_21rocsparse_index_base_b
                                        ; -- End function
	.set _ZN9rocsparseL28csrmvn_lrb_short_rows_kernelIllaaiiEEvbT_PT0_S3_jNS_24const_host_device_scalarIT4_EEPKS1_PKS2_PKT1_PKT2_S6_PT3_21rocsparse_index_base_b.num_vgpr, 9
	.set _ZN9rocsparseL28csrmvn_lrb_short_rows_kernelIllaaiiEEvbT_PT0_S3_jNS_24const_host_device_scalarIT4_EEPKS1_PKS2_PKT1_PKT2_S6_PT3_21rocsparse_index_base_b.num_agpr, 0
	.set _ZN9rocsparseL28csrmvn_lrb_short_rows_kernelIllaaiiEEvbT_PT0_S3_jNS_24const_host_device_scalarIT4_EEPKS1_PKS2_PKT1_PKT2_S6_PT3_21rocsparse_index_base_b.numbered_sgpr, 27
	.set _ZN9rocsparseL28csrmvn_lrb_short_rows_kernelIllaaiiEEvbT_PT0_S3_jNS_24const_host_device_scalarIT4_EEPKS1_PKS2_PKT1_PKT2_S6_PT3_21rocsparse_index_base_b.num_named_barrier, 0
	.set _ZN9rocsparseL28csrmvn_lrb_short_rows_kernelIllaaiiEEvbT_PT0_S3_jNS_24const_host_device_scalarIT4_EEPKS1_PKS2_PKT1_PKT2_S6_PT3_21rocsparse_index_base_b.private_seg_size, 0
	.set _ZN9rocsparseL28csrmvn_lrb_short_rows_kernelIllaaiiEEvbT_PT0_S3_jNS_24const_host_device_scalarIT4_EEPKS1_PKS2_PKT1_PKT2_S6_PT3_21rocsparse_index_base_b.uses_vcc, 1
	.set _ZN9rocsparseL28csrmvn_lrb_short_rows_kernelIllaaiiEEvbT_PT0_S3_jNS_24const_host_device_scalarIT4_EEPKS1_PKS2_PKT1_PKT2_S6_PT3_21rocsparse_index_base_b.uses_flat_scratch, 0
	.set _ZN9rocsparseL28csrmvn_lrb_short_rows_kernelIllaaiiEEvbT_PT0_S3_jNS_24const_host_device_scalarIT4_EEPKS1_PKS2_PKT1_PKT2_S6_PT3_21rocsparse_index_base_b.has_dyn_sized_stack, 0
	.set _ZN9rocsparseL28csrmvn_lrb_short_rows_kernelIllaaiiEEvbT_PT0_S3_jNS_24const_host_device_scalarIT4_EEPKS1_PKS2_PKT1_PKT2_S6_PT3_21rocsparse_index_base_b.has_recursion, 0
	.set _ZN9rocsparseL28csrmvn_lrb_short_rows_kernelIllaaiiEEvbT_PT0_S3_jNS_24const_host_device_scalarIT4_EEPKS1_PKS2_PKT1_PKT2_S6_PT3_21rocsparse_index_base_b.has_indirect_call, 0
	.section	.AMDGPU.csdata,"",@progbits
; Kernel info:
; codeLenInByte = 860
; TotalNumSgprs: 29
; NumVgprs: 9
; ScratchSize: 0
; MemoryBound: 0
; FloatMode: 240
; IeeeMode: 1
; LDSByteSize: 0 bytes/workgroup (compile time only)
; SGPRBlocks: 0
; VGPRBlocks: 0
; NumSGPRsForWavesPerEU: 29
; NumVGPRsForWavesPerEU: 9
; NamedBarCnt: 0
; Occupancy: 16
; WaveLimiterHint : 1
; COMPUTE_PGM_RSRC2:SCRATCH_EN: 0
; COMPUTE_PGM_RSRC2:USER_SGPR: 2
; COMPUTE_PGM_RSRC2:TRAP_HANDLER: 0
; COMPUTE_PGM_RSRC2:TGID_X_EN: 1
; COMPUTE_PGM_RSRC2:TGID_Y_EN: 0
; COMPUTE_PGM_RSRC2:TGID_Z_EN: 0
; COMPUTE_PGM_RSRC2:TIDIG_COMP_CNT: 0
	.section	.text._ZN9rocsparseL30csrmvn_lrb_short_rows_2_kernelIllaaiiEEvbT_PT0_S3_jNS_24const_host_device_scalarIT4_EEPKS1_PKS2_PKT1_PKT2_S6_PT3_21rocsparse_index_base_b,"axG",@progbits,_ZN9rocsparseL30csrmvn_lrb_short_rows_2_kernelIllaaiiEEvbT_PT0_S3_jNS_24const_host_device_scalarIT4_EEPKS1_PKS2_PKT1_PKT2_S6_PT3_21rocsparse_index_base_b,comdat
	.globl	_ZN9rocsparseL30csrmvn_lrb_short_rows_2_kernelIllaaiiEEvbT_PT0_S3_jNS_24const_host_device_scalarIT4_EEPKS1_PKS2_PKT1_PKT2_S6_PT3_21rocsparse_index_base_b ; -- Begin function _ZN9rocsparseL30csrmvn_lrb_short_rows_2_kernelIllaaiiEEvbT_PT0_S3_jNS_24const_host_device_scalarIT4_EEPKS1_PKS2_PKT1_PKT2_S6_PT3_21rocsparse_index_base_b
	.p2align	8
	.type	_ZN9rocsparseL30csrmvn_lrb_short_rows_2_kernelIllaaiiEEvbT_PT0_S3_jNS_24const_host_device_scalarIT4_EEPKS1_PKS2_PKT1_PKT2_S6_PT3_21rocsparse_index_base_b,@function
_ZN9rocsparseL30csrmvn_lrb_short_rows_2_kernelIllaaiiEEvbT_PT0_S3_jNS_24const_host_device_scalarIT4_EEPKS1_PKS2_PKT1_PKT2_S6_PT3_21rocsparse_index_base_b: ; @_ZN9rocsparseL30csrmvn_lrb_short_rows_2_kernelIllaaiiEEvbT_PT0_S3_jNS_24const_host_device_scalarIT4_EEPKS1_PKS2_PKT1_PKT2_S6_PT3_21rocsparse_index_base_b
; %bb.0:
	s_clause 0x1
	s_load_b64 s[2:3], s[0:1], 0x60
	s_load_b64 s[6:7], s[0:1], 0x28
	s_mov_b32 s8, -1
                                        ; implicit-def: $sgpr13
	s_wait_kmcnt 0x0
	s_bitcmp1_b32 s3, 0
	s_cselect_b32 s3, -1, 0
	s_delay_alu instid0(SALU_CYCLE_1) | instskip(NEXT) | instid1(SALU_CYCLE_1)
	s_xor_b32 s3, s3, -1
	s_and_b32 vcc_lo, exec_lo, s3
	s_cbranch_vccnz .LBB93_4
; %bb.1:
	s_load_b64 s[4:5], s[0:1], 0x50
	s_and_not1_b32 vcc_lo, exec_lo, s8
	s_cbranch_vccz .LBB93_5
.LBB93_2:
	s_and_b32 vcc_lo, exec_lo, s3
	s_cbranch_vccz .LBB93_6
.LBB93_3:
	s_wait_kmcnt 0x0
	s_load_b32 s16, s[4:5], 0x0
	s_cbranch_execz .LBB93_7
	s_branch .LBB93_8
.LBB93_4:
	s_load_b32 s13, s[6:7], 0x0
	s_load_b64 s[4:5], s[0:1], 0x50
	s_cbranch_execnz .LBB93_2
.LBB93_5:
	s_wait_kmcnt 0x0
	s_mov_b32 s13, s6
	s_and_b32 vcc_lo, exec_lo, s3
	s_cbranch_vccnz .LBB93_3
.LBB93_6:
                                        ; implicit-def: $sgpr16
.LBB93_7:
	s_wait_kmcnt 0x0
	s_mov_b32 s16, s4
.LBB93_8:
	s_wait_kmcnt 0x0
	s_cmp_lg_u32 s13, 0
	s_cselect_b32 s3, -1, 0
	s_cmp_lg_u32 s16, 1
	s_cselect_b32 s4, -1, 0
	s_delay_alu instid0(SALU_CYCLE_1) | instskip(NEXT) | instid1(SALU_CYCLE_1)
	s_or_b32 s3, s3, s4
	s_and_not1_b32 vcc_lo, exec_lo, s3
	s_mov_b32 s3, 0
	s_cbranch_vccnz .LBB93_34
; %bb.9:
	s_clause 0x1
	s_load_b32 s17, s[0:1], 0x20
	s_load_b128 s[20:23], s[0:1], 0x10
	s_mov_b32 s5, s3
	s_bfe_u32 s18, ttmp6, 0x4000c
	s_and_b32 s19, ttmp6, 15
	s_add_co_i32 s18, s18, 1
	v_mov_b32_e32 v7, 0
	s_mul_i32 s18, ttmp9, s18
	s_delay_alu instid0(SALU_CYCLE_1)
	s_add_co_i32 s19, s19, s18
	s_wait_kmcnt 0x0
	s_add_co_i32 s4, s17, 1
	s_lshr_b32 s18, 0x400, s17
	s_lshl_b64 s[4:5], s[4:5], 3
	v_lshrrev_b32_e32 v1, s17, v0
	s_add_nc_u64 s[4:5], s[22:23], s[4:5]
	s_clause 0x1
	s_load_b64 s[14:15], s[22:23], s17 offset:0x0 scale_offset
	s_load_b32 s12, s[4:5], 0x0
	s_wait_xcnt 0x0
	s_getreg_b32 s22, hwreg(HW_REG_IB_STS2, 6, 4)
	s_load_b256 s[4:11], s[0:1], 0x30
	v_bfe_u32 v6, v0, 0, s17
	s_wait_kmcnt 0x0
	s_sub_co_i32 s23, s12, s14
	s_cmp_eq_u32 s22, 0
	s_cselect_b32 s12, ttmp9, s19
	s_lshl_b64 s[14:15], s[14:15], 3
	s_mul_i32 s12, s18, s12
	s_add_nc_u64 s[14:15], s[20:21], s[14:15]
	v_add_nc_u32_e32 v1, s12, v1
	s_add_co_i32 s19, s12, s18
	s_mov_b32 s20, exec_lo
	s_min_u32 s19, s23, s19
	s_delay_alu instid0(VALU_DEP_1) | instid1(SALU_CYCLE_1)
	v_cmpx_gt_u32_e64 s19, v1
	s_cbranch_execz .LBB93_13
; %bb.10:
	global_load_b64 v[2:3], v1, s[14:15] scale_offset
	s_wait_xcnt 0x0
	v_mov_b32_e32 v1, v7
	s_mov_b32 s21, exec_lo
	s_wait_loadcnt 0x0
	v_lshl_add_u64 v[2:3], v[2:3], 3, s[4:5]
	global_load_b128 v[2:5], v[2:3], off
	s_wait_loadcnt 0x0
	v_sub_nc_u64_e32 v[4:5], v[4:5], v[2:3]
	s_delay_alu instid0(VALU_DEP_1)
	v_cmpx_gt_i64_e64 v[4:5], v[6:7]
	s_cbranch_execz .LBB93_12
; %bb.11:
	v_sub_nc_u64_e64 v[2:3], v[2:3], s[2:3]
	s_delay_alu instid0(VALU_DEP_1) | instskip(NEXT) | instid1(VALU_DEP_1)
	v_add_nc_u64_e32 v[2:3], v[2:3], v[6:7]
	v_lshl_add_u64 v[4:5], v[2:3], 3, s[6:7]
	v_add_nc_u64_e32 v[2:3], s[8:9], v[2:3]
	global_load_b64 v[4:5], v[4:5], off
	global_load_i8 v1, v[2:3], off
	s_wait_loadcnt 0x1
	s_wait_xcnt 0x1
	v_sub_nc_u64_e64 v[4:5], v[4:5], s[2:3]
	s_wait_loadcnt 0x0
	v_mul_lo_u32 v1, s13, v1
	s_delay_alu instid0(VALU_DEP_2)
	v_add_nc_u64_e32 v[2:3], s[10:11], v[4:5]
	global_load_i8 v2, v[2:3], off
	s_wait_loadcnt 0x0
	v_mul_lo_u32 v1, v1, v2
.LBB93_12:
	s_or_b32 exec_lo, exec_lo, s21
	v_lshlrev_b32_e32 v2, 2, v0
	ds_store_b32 v2, v1
.LBB93_13:
	s_or_b32 exec_lo, exec_lo, s20
	s_load_b64 s[0:1], s[0:1], 0x58
	v_or_b32_e32 v1, 0x100, v0
	s_mov_b32 s20, exec_lo
	s_delay_alu instid0(VALU_DEP_1) | instskip(NEXT) | instid1(VALU_DEP_1)
	v_lshrrev_b32_e32 v1, s17, v1
	v_add_nc_u32_e32 v1, s12, v1
	s_delay_alu instid0(VALU_DEP_1)
	v_cmpx_gt_u32_e64 s19, v1
	s_cbranch_execz .LBB93_17
; %bb.14:
	global_load_b64 v[2:3], v1, s[14:15] scale_offset
	s_wait_xcnt 0x0
	v_mov_b32_e32 v1, 0
	s_mov_b32 s21, exec_lo
	s_wait_loadcnt 0x0
	v_lshl_add_u64 v[2:3], v[2:3], 3, s[4:5]
	global_load_b128 v[2:5], v[2:3], off
	s_wait_loadcnt 0x0
	v_sub_nc_u64_e32 v[4:5], v[4:5], v[2:3]
	s_delay_alu instid0(VALU_DEP_1)
	v_cmpx_gt_i64_e64 v[4:5], v[6:7]
	s_cbranch_execz .LBB93_16
; %bb.15:
	v_sub_nc_u64_e64 v[2:3], v[2:3], s[2:3]
	s_delay_alu instid0(VALU_DEP_1) | instskip(NEXT) | instid1(VALU_DEP_1)
	v_add_nc_u64_e32 v[2:3], v[2:3], v[6:7]
	v_lshl_add_u64 v[4:5], v[2:3], 3, s[6:7]
	v_add_nc_u64_e32 v[2:3], s[8:9], v[2:3]
	global_load_b64 v[4:5], v[4:5], off
	global_load_i8 v1, v[2:3], off
	s_wait_loadcnt 0x1
	s_wait_xcnt 0x1
	v_sub_nc_u64_e64 v[4:5], v[4:5], s[2:3]
	s_wait_loadcnt 0x0
	v_mul_lo_u32 v1, s13, v1
	s_delay_alu instid0(VALU_DEP_2)
	v_add_nc_u64_e32 v[2:3], s[10:11], v[4:5]
	global_load_i8 v2, v[2:3], off
	s_wait_loadcnt 0x0
	v_mul_lo_u32 v1, v1, v2
.LBB93_16:
	s_or_b32 exec_lo, exec_lo, s21
	v_lshlrev_b32_e32 v2, 2, v0
	ds_store_b32 v2, v1 offset:1024
.LBB93_17:
	s_or_b32 exec_lo, exec_lo, s20
	v_or_b32_e32 v1, 0x200, v0
	s_mov_b32 s20, exec_lo
	s_delay_alu instid0(VALU_DEP_1) | instskip(NEXT) | instid1(VALU_DEP_1)
	v_lshrrev_b32_e32 v1, s17, v1
	v_add_nc_u32_e32 v1, s12, v1
	s_delay_alu instid0(VALU_DEP_1)
	v_cmpx_gt_u32_e64 s19, v1
	s_cbranch_execz .LBB93_21
; %bb.18:
	global_load_b64 v[2:3], v1, s[14:15] scale_offset
	s_wait_xcnt 0x0
	v_mov_b32_e32 v1, 0
	s_mov_b32 s21, exec_lo
	s_wait_loadcnt 0x0
	v_lshl_add_u64 v[2:3], v[2:3], 3, s[4:5]
	global_load_b128 v[2:5], v[2:3], off
	s_wait_loadcnt 0x0
	v_sub_nc_u64_e32 v[4:5], v[4:5], v[2:3]
	s_delay_alu instid0(VALU_DEP_1)
	v_cmpx_gt_i64_e64 v[4:5], v[6:7]
	s_cbranch_execz .LBB93_20
; %bb.19:
	v_sub_nc_u64_e64 v[2:3], v[2:3], s[2:3]
	s_delay_alu instid0(VALU_DEP_1) | instskip(NEXT) | instid1(VALU_DEP_1)
	v_add_nc_u64_e32 v[2:3], v[2:3], v[6:7]
	v_lshl_add_u64 v[4:5], v[2:3], 3, s[6:7]
	v_add_nc_u64_e32 v[2:3], s[8:9], v[2:3]
	global_load_b64 v[4:5], v[4:5], off
	global_load_i8 v1, v[2:3], off
	s_wait_loadcnt 0x1
	s_wait_xcnt 0x1
	v_sub_nc_u64_e64 v[4:5], v[4:5], s[2:3]
	s_wait_loadcnt 0x0
	v_mul_lo_u32 v1, s13, v1
	s_delay_alu instid0(VALU_DEP_2)
	v_add_nc_u64_e32 v[2:3], s[10:11], v[4:5]
	global_load_i8 v2, v[2:3], off
	s_wait_loadcnt 0x0
	v_mul_lo_u32 v1, v1, v2
.LBB93_20:
	s_or_b32 exec_lo, exec_lo, s21
	v_lshlrev_b32_e32 v2, 2, v0
	ds_store_b32 v2, v1 offset:2048
.LBB93_21:
	s_or_b32 exec_lo, exec_lo, s20
	v_or_b32_e32 v1, 0x300, v0
	s_mov_b32 s20, exec_lo
	s_delay_alu instid0(VALU_DEP_1) | instskip(NEXT) | instid1(VALU_DEP_1)
	v_lshrrev_b32_e32 v1, s17, v1
	v_add_nc_u32_e32 v1, s12, v1
	s_delay_alu instid0(VALU_DEP_1)
	v_cmpx_gt_u32_e64 s19, v1
	s_cbranch_execz .LBB93_25
; %bb.22:
	global_load_b64 v[2:3], v1, s[14:15] scale_offset
	s_wait_xcnt 0x0
	v_mov_b32_e32 v1, 0
	s_wait_loadcnt 0x0
	v_lshl_add_u64 v[2:3], v[2:3], 3, s[4:5]
	s_mov_b32 s4, exec_lo
	global_load_b128 v[2:5], v[2:3], off
	s_wait_loadcnt 0x0
	v_sub_nc_u64_e32 v[4:5], v[4:5], v[2:3]
	s_delay_alu instid0(VALU_DEP_1)
	v_cmpx_gt_i64_e64 v[4:5], v[6:7]
	s_cbranch_execz .LBB93_24
; %bb.23:
	v_sub_nc_u64_e64 v[2:3], v[2:3], s[2:3]
	s_delay_alu instid0(VALU_DEP_1) | instskip(NEXT) | instid1(VALU_DEP_1)
	v_add_nc_u64_e32 v[2:3], v[2:3], v[6:7]
	v_lshl_add_u64 v[4:5], v[2:3], 3, s[6:7]
	v_add_nc_u64_e32 v[2:3], s[8:9], v[2:3]
	global_load_b64 v[4:5], v[4:5], off
	global_load_i8 v1, v[2:3], off
	s_wait_loadcnt 0x1
	s_wait_xcnt 0x1
	v_sub_nc_u64_e64 v[4:5], v[4:5], s[2:3]
	s_wait_loadcnt 0x0
	v_mul_lo_u32 v1, s13, v1
	s_delay_alu instid0(VALU_DEP_2)
	v_add_nc_u64_e32 v[2:3], s[10:11], v[4:5]
	global_load_i8 v2, v[2:3], off
	s_wait_loadcnt 0x0
	v_mul_lo_u32 v1, v1, v2
.LBB93_24:
	s_or_b32 exec_lo, exec_lo, s4
	v_lshlrev_b32_e32 v2, 2, v0
	ds_store_b32 v2, v1 offset:3072
.LBB93_25:
	s_or_b32 exec_lo, exec_lo, s20
	s_cmp_lt_u32 s17, 11
	s_wait_dscnt 0x0
	s_barrier_signal -1
	s_barrier_wait -1
	s_cbranch_scc0 .LBB93_34
; %bb.26:
	s_mov_b32 s13, 0
	s_sub_co_i32 s4, s19, s12
	s_lshl_b64 s[2:3], s[12:13], 3
	s_cmp_lg_u32 s16, 0
	s_add_nc_u64 s[2:3], s[14:15], s[2:3]
	s_cselect_b32 s5, -1, 0
	s_branch .LBB93_29
.LBB93_27:                              ;   in Loop: Header=BB93_29 Depth=1
	global_store_b32 v[2:3], v1, off
.LBB93_28:                              ;   in Loop: Header=BB93_29 Depth=1
	s_wait_xcnt 0x0
	s_or_b32 exec_lo, exec_lo, s6
	s_addk_co_i32 s13, 0x100
	s_delay_alu instid0(SALU_CYCLE_1)
	s_cmp_lt_u32 s13, s18
	s_cbranch_scc0 .LBB93_34
.LBB93_29:                              ; =>This Loop Header: Depth=1
                                        ;     Child Loop BB93_31 Depth 2
	v_add_nc_u32_e32 v1, s13, v0
	s_mov_b32 s6, exec_lo
	s_delay_alu instid0(VALU_DEP_1)
	v_cmpx_gt_u32_e64 s4, v1
	s_cbranch_execz .LBB93_28
; %bb.30:                               ;   in Loop: Header=BB93_29 Depth=1
	global_load_b64 v[2:3], v1, s[2:3] scale_offset
	s_wait_xcnt 0x0
	v_lshlrev_b32_e32 v1, s17, v1
	s_mov_b32 s7, 1
	s_delay_alu instid0(VALU_DEP_1)
	v_dual_mov_b32 v1, 0 :: v_dual_lshlrev_b32 v4, 2, v1
.LBB93_31:                              ;   Parent Loop BB93_29 Depth=1
                                        ; =>  This Inner Loop Header: Depth=2
	ds_load_b32 v5, v4
	v_add_nc_u32_e32 v4, 4, v4
	s_lshr_b32 s8, s7, s17
	s_add_co_i32 s7, s7, 1
	s_cmp_lg_u32 s8, 0
	s_wait_dscnt 0x0
	v_add_nc_u32_e32 v1, v5, v1
	s_cbranch_scc0 .LBB93_31
; %bb.32:                               ;   in Loop: Header=BB93_29 Depth=1
	s_wait_loadcnt 0x0
	s_wait_kmcnt 0x0
	v_lshl_add_u64 v[2:3], v[2:3], 2, s[0:1]
	s_and_b32 vcc_lo, exec_lo, s5
	s_cbranch_vccz .LBB93_27
; %bb.33:                               ;   in Loop: Header=BB93_29 Depth=1
	global_load_b32 v4, v[2:3], off
	s_wait_loadcnt 0x0
	v_mad_u32 v1, v4, s16, v1
	s_branch .LBB93_27
.LBB93_34:
	s_endpgm
	.section	.rodata,"a",@progbits
	.p2align	6, 0x0
	.amdhsa_kernel _ZN9rocsparseL30csrmvn_lrb_short_rows_2_kernelIllaaiiEEvbT_PT0_S3_jNS_24const_host_device_scalarIT4_EEPKS1_PKS2_PKT1_PKT2_S6_PT3_21rocsparse_index_base_b
		.amdhsa_group_segment_fixed_size 4096
		.amdhsa_private_segment_fixed_size 0
		.amdhsa_kernarg_size 104
		.amdhsa_user_sgpr_count 2
		.amdhsa_user_sgpr_dispatch_ptr 0
		.amdhsa_user_sgpr_queue_ptr 0
		.amdhsa_user_sgpr_kernarg_segment_ptr 1
		.amdhsa_user_sgpr_dispatch_id 0
		.amdhsa_user_sgpr_kernarg_preload_length 0
		.amdhsa_user_sgpr_kernarg_preload_offset 0
		.amdhsa_user_sgpr_private_segment_size 0
		.amdhsa_wavefront_size32 1
		.amdhsa_uses_dynamic_stack 0
		.amdhsa_enable_private_segment 0
		.amdhsa_system_sgpr_workgroup_id_x 1
		.amdhsa_system_sgpr_workgroup_id_y 0
		.amdhsa_system_sgpr_workgroup_id_z 0
		.amdhsa_system_sgpr_workgroup_info 0
		.amdhsa_system_vgpr_workitem_id 0
		.amdhsa_next_free_vgpr 8
		.amdhsa_next_free_sgpr 24
		.amdhsa_named_barrier_count 0
		.amdhsa_reserve_vcc 1
		.amdhsa_float_round_mode_32 0
		.amdhsa_float_round_mode_16_64 0
		.amdhsa_float_denorm_mode_32 3
		.amdhsa_float_denorm_mode_16_64 3
		.amdhsa_fp16_overflow 0
		.amdhsa_memory_ordered 1
		.amdhsa_forward_progress 1
		.amdhsa_inst_pref_size 13
		.amdhsa_round_robin_scheduling 0
		.amdhsa_exception_fp_ieee_invalid_op 0
		.amdhsa_exception_fp_denorm_src 0
		.amdhsa_exception_fp_ieee_div_zero 0
		.amdhsa_exception_fp_ieee_overflow 0
		.amdhsa_exception_fp_ieee_underflow 0
		.amdhsa_exception_fp_ieee_inexact 0
		.amdhsa_exception_int_div_zero 0
	.end_amdhsa_kernel
	.section	.text._ZN9rocsparseL30csrmvn_lrb_short_rows_2_kernelIllaaiiEEvbT_PT0_S3_jNS_24const_host_device_scalarIT4_EEPKS1_PKS2_PKT1_PKT2_S6_PT3_21rocsparse_index_base_b,"axG",@progbits,_ZN9rocsparseL30csrmvn_lrb_short_rows_2_kernelIllaaiiEEvbT_PT0_S3_jNS_24const_host_device_scalarIT4_EEPKS1_PKS2_PKT1_PKT2_S6_PT3_21rocsparse_index_base_b,comdat
.Lfunc_end93:
	.size	_ZN9rocsparseL30csrmvn_lrb_short_rows_2_kernelIllaaiiEEvbT_PT0_S3_jNS_24const_host_device_scalarIT4_EEPKS1_PKS2_PKT1_PKT2_S6_PT3_21rocsparse_index_base_b, .Lfunc_end93-_ZN9rocsparseL30csrmvn_lrb_short_rows_2_kernelIllaaiiEEvbT_PT0_S3_jNS_24const_host_device_scalarIT4_EEPKS1_PKS2_PKT1_PKT2_S6_PT3_21rocsparse_index_base_b
                                        ; -- End function
	.set _ZN9rocsparseL30csrmvn_lrb_short_rows_2_kernelIllaaiiEEvbT_PT0_S3_jNS_24const_host_device_scalarIT4_EEPKS1_PKS2_PKT1_PKT2_S6_PT3_21rocsparse_index_base_b.num_vgpr, 8
	.set _ZN9rocsparseL30csrmvn_lrb_short_rows_2_kernelIllaaiiEEvbT_PT0_S3_jNS_24const_host_device_scalarIT4_EEPKS1_PKS2_PKT1_PKT2_S6_PT3_21rocsparse_index_base_b.num_agpr, 0
	.set _ZN9rocsparseL30csrmvn_lrb_short_rows_2_kernelIllaaiiEEvbT_PT0_S3_jNS_24const_host_device_scalarIT4_EEPKS1_PKS2_PKT1_PKT2_S6_PT3_21rocsparse_index_base_b.numbered_sgpr, 24
	.set _ZN9rocsparseL30csrmvn_lrb_short_rows_2_kernelIllaaiiEEvbT_PT0_S3_jNS_24const_host_device_scalarIT4_EEPKS1_PKS2_PKT1_PKT2_S6_PT3_21rocsparse_index_base_b.num_named_barrier, 0
	.set _ZN9rocsparseL30csrmvn_lrb_short_rows_2_kernelIllaaiiEEvbT_PT0_S3_jNS_24const_host_device_scalarIT4_EEPKS1_PKS2_PKT1_PKT2_S6_PT3_21rocsparse_index_base_b.private_seg_size, 0
	.set _ZN9rocsparseL30csrmvn_lrb_short_rows_2_kernelIllaaiiEEvbT_PT0_S3_jNS_24const_host_device_scalarIT4_EEPKS1_PKS2_PKT1_PKT2_S6_PT3_21rocsparse_index_base_b.uses_vcc, 1
	.set _ZN9rocsparseL30csrmvn_lrb_short_rows_2_kernelIllaaiiEEvbT_PT0_S3_jNS_24const_host_device_scalarIT4_EEPKS1_PKS2_PKT1_PKT2_S6_PT3_21rocsparse_index_base_b.uses_flat_scratch, 0
	.set _ZN9rocsparseL30csrmvn_lrb_short_rows_2_kernelIllaaiiEEvbT_PT0_S3_jNS_24const_host_device_scalarIT4_EEPKS1_PKS2_PKT1_PKT2_S6_PT3_21rocsparse_index_base_b.has_dyn_sized_stack, 0
	.set _ZN9rocsparseL30csrmvn_lrb_short_rows_2_kernelIllaaiiEEvbT_PT0_S3_jNS_24const_host_device_scalarIT4_EEPKS1_PKS2_PKT1_PKT2_S6_PT3_21rocsparse_index_base_b.has_recursion, 0
	.set _ZN9rocsparseL30csrmvn_lrb_short_rows_2_kernelIllaaiiEEvbT_PT0_S3_jNS_24const_host_device_scalarIT4_EEPKS1_PKS2_PKT1_PKT2_S6_PT3_21rocsparse_index_base_b.has_indirect_call, 0
	.section	.AMDGPU.csdata,"",@progbits
; Kernel info:
; codeLenInByte = 1548
; TotalNumSgprs: 26
; NumVgprs: 8
; ScratchSize: 0
; MemoryBound: 0
; FloatMode: 240
; IeeeMode: 1
; LDSByteSize: 4096 bytes/workgroup (compile time only)
; SGPRBlocks: 0
; VGPRBlocks: 0
; NumSGPRsForWavesPerEU: 26
; NumVGPRsForWavesPerEU: 8
; NamedBarCnt: 0
; Occupancy: 16
; WaveLimiterHint : 1
; COMPUTE_PGM_RSRC2:SCRATCH_EN: 0
; COMPUTE_PGM_RSRC2:USER_SGPR: 2
; COMPUTE_PGM_RSRC2:TRAP_HANDLER: 0
; COMPUTE_PGM_RSRC2:TGID_X_EN: 1
; COMPUTE_PGM_RSRC2:TGID_Y_EN: 0
; COMPUTE_PGM_RSRC2:TGID_Z_EN: 0
; COMPUTE_PGM_RSRC2:TIDIG_COMP_CNT: 0
	.section	.text._ZN9rocsparseL41csrmvn_lrb_medium_rows_warp_reduce_kernelILj256ELj32EllaaiiEEvbT1_lPT2_S3_jNS_24const_host_device_scalarIT6_EEPKS1_PKS2_PKT3_PKT4_S6_PT5_21rocsparse_index_base_b,"axG",@progbits,_ZN9rocsparseL41csrmvn_lrb_medium_rows_warp_reduce_kernelILj256ELj32EllaaiiEEvbT1_lPT2_S3_jNS_24const_host_device_scalarIT6_EEPKS1_PKS2_PKT3_PKT4_S6_PT5_21rocsparse_index_base_b,comdat
	.globl	_ZN9rocsparseL41csrmvn_lrb_medium_rows_warp_reduce_kernelILj256ELj32EllaaiiEEvbT1_lPT2_S3_jNS_24const_host_device_scalarIT6_EEPKS1_PKS2_PKT3_PKT4_S6_PT5_21rocsparse_index_base_b ; -- Begin function _ZN9rocsparseL41csrmvn_lrb_medium_rows_warp_reduce_kernelILj256ELj32EllaaiiEEvbT1_lPT2_S3_jNS_24const_host_device_scalarIT6_EEPKS1_PKS2_PKT3_PKT4_S6_PT5_21rocsparse_index_base_b
	.p2align	8
	.type	_ZN9rocsparseL41csrmvn_lrb_medium_rows_warp_reduce_kernelILj256ELj32EllaaiiEEvbT1_lPT2_S3_jNS_24const_host_device_scalarIT6_EEPKS1_PKS2_PKT3_PKT4_S6_PT5_21rocsparse_index_base_b,@function
_ZN9rocsparseL41csrmvn_lrb_medium_rows_warp_reduce_kernelILj256ELj32EllaaiiEEvbT1_lPT2_S3_jNS_24const_host_device_scalarIT6_EEPKS1_PKS2_PKT3_PKT4_S6_PT5_21rocsparse_index_base_b: ; @_ZN9rocsparseL41csrmvn_lrb_medium_rows_warp_reduce_kernelILj256ELj32EllaaiiEEvbT1_lPT2_S3_jNS_24const_host_device_scalarIT6_EEPKS1_PKS2_PKT3_PKT4_S6_PT5_21rocsparse_index_base_b
; %bb.0:
	s_clause 0x1
	s_load_b64 s[2:3], s[0:1], 0x68
	s_load_b64 s[6:7], s[0:1], 0x30
	s_mov_b32 s8, -1
                                        ; implicit-def: $sgpr11
	s_wait_kmcnt 0x0
	s_bitcmp1_b32 s3, 0
	s_cselect_b32 s3, -1, 0
	s_delay_alu instid0(SALU_CYCLE_1) | instskip(NEXT) | instid1(SALU_CYCLE_1)
	s_xor_b32 s3, s3, -1
	s_and_b32 vcc_lo, exec_lo, s3
	s_cbranch_vccnz .LBB94_4
; %bb.1:
	s_load_b64 s[4:5], s[0:1], 0x58
	s_and_not1_b32 vcc_lo, exec_lo, s8
	s_cbranch_vccz .LBB94_5
.LBB94_2:
	s_and_b32 vcc_lo, exec_lo, s3
	s_cbranch_vccz .LBB94_6
.LBB94_3:
	s_wait_kmcnt 0x0
	s_load_b32 s10, s[4:5], 0x0
	s_cbranch_execz .LBB94_7
	s_branch .LBB94_8
.LBB94_4:
	s_load_b32 s11, s[6:7], 0x0
	s_load_b64 s[4:5], s[0:1], 0x58
	s_cbranch_execnz .LBB94_2
.LBB94_5:
	s_wait_kmcnt 0x0
	s_mov_b32 s11, s6
	s_and_b32 vcc_lo, exec_lo, s3
	s_cbranch_vccnz .LBB94_3
.LBB94_6:
                                        ; implicit-def: $sgpr10
.LBB94_7:
	s_wait_kmcnt 0x0
	s_mov_b32 s10, s4
.LBB94_8:
	s_wait_kmcnt 0x0
	s_cmp_lg_u32 s11, 0
	s_cselect_b32 s3, -1, 0
	s_cmp_lg_u32 s10, 1
	s_cselect_b32 s4, -1, 0
	s_delay_alu instid0(SALU_CYCLE_1) | instskip(NEXT) | instid1(SALU_CYCLE_1)
	s_or_b32 s3, s3, s4
	s_and_not1_b32 vcc_lo, exec_lo, s3
	s_cbranch_vccnz .LBB94_18
; %bb.9:
	s_bfe_u32 s3, ttmp6, 0x4000c
	s_load_b64 s[4:5], s[0:1], 0x10
	s_add_co_i32 s3, s3, 1
	s_and_b32 s6, ttmp6, 15
	s_mul_i32 s3, ttmp9, s3
	s_getreg_b32 s7, hwreg(HW_REG_IB_STS2, 6, 4)
	v_lshrrev_b32_e32 v1, 5, v0
	s_add_co_i32 s6, s6, s3
	s_cmp_eq_u32 s7, 0
	s_cselect_b32 s3, ttmp9, s6
	s_delay_alu instid0(VALU_DEP_1) | instid1(SALU_CYCLE_1)
	v_lshl_or_b32 v2, s3, 3, v1
	s_mov_b32 s3, exec_lo
	s_delay_alu instid0(VALU_DEP_1) | instskip(SKIP_1) | instid1(VALU_DEP_1)
	v_ashrrev_i32_e32 v3, 31, v2
	s_wait_kmcnt 0x0
	v_cmpx_gt_i64_e64 s[4:5], v[2:3]
	s_cbranch_execz .LBB94_18
; %bb.10:
	s_clause 0x1
	s_load_b128 s[4:7], s[0:1], 0x18
	s_load_b32 s3, s[0:1], 0x28
	v_dual_mov_b32 v1, 0 :: v_dual_bitop2_b32 v0, 31, v0 bitop3:0x40
	s_mov_b32 s12, exec_lo
	s_wait_kmcnt 0x0
	s_load_b64 s[6:7], s[6:7], s3 offset:0x0 scale_offset
	s_wait_xcnt 0x0
	s_mov_b32 s3, 0
	s_delay_alu instid0(SALU_CYCLE_1) | instskip(SKIP_2) | instid1(SALU_CYCLE_1)
	v_sub_nc_u64_e64 v[10:11], v[0:1], s[2:3]
	s_wait_kmcnt 0x0
	s_lshl_b64 s[6:7], s[6:7], 3
	s_add_nc_u64 s[4:5], s[4:5], s[6:7]
	s_delay_alu instid0(SALU_CYCLE_1)
	v_lshl_add_u64 v[2:3], v[2:3], 3, s[4:5]
	s_load_b64 s[4:5], s[0:1], 0x38
	global_load_b64 v[2:3], v[2:3], off
	s_wait_loadcnt 0x0
	s_wait_kmcnt 0x0
	v_lshl_add_u64 v[4:5], v[2:3], 3, s[4:5]
	global_load_b128 v[6:9], v[4:5], off
	s_wait_loadcnt 0x0
	v_sub_nc_u64_e64 v[4:5], v[8:9], s[2:3]
	v_add_nc_u64_e32 v[6:7], v[6:7], v[10:11]
	s_delay_alu instid0(VALU_DEP_1)
	v_cmpx_lt_i64_e64 v[6:7], v[4:5]
	s_cbranch_execz .LBB94_14
; %bb.11:
	s_clause 0x1
	s_load_b128 s[4:7], s[0:1], 0x40
	s_load_b64 s[8:9], s[0:1], 0x50
	v_mov_b32_e32 v1, 0
	s_wait_kmcnt 0x0
	v_lshl_add_u64 v[8:9], v[6:7], 3, s[4:5]
	s_mov_b32 s4, s3
.LBB94_12:                              ; =>This Inner Loop Header: Depth=1
	global_load_b64 v[10:11], v[8:9], off
	v_add_nc_u64_e32 v[12:13], s[6:7], v[6:7]
	v_add_nc_u64_e32 v[6:7], 32, v[6:7]
	s_wait_xcnt 0x0
	v_add_nc_u64_e32 v[8:9], 0x100, v[8:9]
	global_load_i8 v12, v[12:13], off
	v_cmp_ge_i64_e32 vcc_lo, v[6:7], v[4:5]
	s_or_b32 s4, vcc_lo, s4
	s_wait_loadcnt 0x1
	v_sub_nc_u64_e64 v[10:11], v[10:11], s[2:3]
	s_delay_alu instid0(VALU_DEP_1)
	v_add_nc_u64_e32 v[10:11], s[8:9], v[10:11]
	global_load_i8 v10, v[10:11], off
	s_wait_loadcnt 0x1
	s_wait_xcnt 0x0
	v_mul_lo_u32 v11, s11, v12
	s_wait_loadcnt 0x0
	s_delay_alu instid0(VALU_DEP_1)
	v_mad_u32 v1, v11, v10, v1
	s_and_not1_b32 exec_lo, exec_lo, s4
	s_cbranch_execnz .LBB94_12
; %bb.13:
	s_or_b32 exec_lo, exec_lo, s4
.LBB94_14:
	s_delay_alu instid0(SALU_CYCLE_1) | instskip(SKIP_2) | instid1(VALU_DEP_1)
	s_or_b32 exec_lo, exec_lo, s12
	v_mbcnt_lo_u32_b32 v4, -1, 0
	s_load_b64 s[0:1], s[0:1], 0x60
	v_xor_b32_e32 v6, 8, v4
	v_xor_b32_e32 v5, 16, v4
	s_delay_alu instid0(VALU_DEP_1) | instskip(SKIP_1) | instid1(VALU_DEP_4)
	v_cmp_gt_i32_e32 vcc_lo, 32, v5
	v_cndmask_b32_e32 v5, v4, v5, vcc_lo
	v_cmp_gt_i32_e32 vcc_lo, 32, v6
	v_cndmask_b32_e32 v6, v4, v6, vcc_lo
	s_delay_alu instid0(VALU_DEP_1)
	v_dual_lshlrev_b32 v6, 2, v6 :: v_dual_lshlrev_b32 v5, 2, v5
	ds_bpermute_b32 v5, v5, v1
	s_wait_dscnt 0x0
	v_add_nc_u32_e32 v1, v5, v1
	ds_bpermute_b32 v5, v6, v1
	v_xor_b32_e32 v6, 4, v4
	s_delay_alu instid0(VALU_DEP_1) | instskip(SKIP_2) | instid1(VALU_DEP_1)
	v_cmp_gt_i32_e32 vcc_lo, 32, v6
	s_wait_dscnt 0x0
	v_dual_cndmask_b32 v6, v4, v6 :: v_dual_add_nc_u32 v1, v5, v1
	v_lshlrev_b32_e32 v6, 2, v6
	ds_bpermute_b32 v5, v6, v1
	s_wait_dscnt 0x0
	v_dual_add_nc_u32 v1, v5, v1 :: v_dual_bitop2_b32 v6, 2, v4 bitop3:0x14
	s_delay_alu instid0(VALU_DEP_1) | instskip(SKIP_1) | instid1(VALU_DEP_1)
	v_cmp_gt_i32_e32 vcc_lo, 32, v6
	v_cndmask_b32_e32 v6, v4, v6, vcc_lo
	v_lshlrev_b32_e32 v6, 2, v6
	ds_bpermute_b32 v5, v6, v1
	v_xor_b32_e32 v6, 1, v4
	s_delay_alu instid0(VALU_DEP_1) | instskip(SKIP_3) | instid1(VALU_DEP_2)
	v_cmp_gt_i32_e32 vcc_lo, 32, v6
	v_cndmask_b32_e32 v4, v4, v6, vcc_lo
	v_cmp_eq_u32_e32 vcc_lo, 31, v0
	s_wait_dscnt 0x0
	v_dual_lshlrev_b32 v4, 2, v4 :: v_dual_add_nc_u32 v1, v5, v1
	ds_bpermute_b32 v4, v4, v1
	s_and_b32 exec_lo, exec_lo, vcc_lo
	s_cbranch_execz .LBB94_18
; %bb.15:
	s_wait_dscnt 0x0
	v_add_nc_u32_e32 v4, v4, v1
	s_wait_kmcnt 0x0
	v_lshl_add_u64 v[0:1], v[2:3], 2, s[0:1]
	s_cmp_eq_u32 s10, 0
	s_cbranch_scc1 .LBB94_17
; %bb.16:
	global_load_b32 v2, v[0:1], off
	s_wait_loadcnt 0x0
	v_mad_u32 v4, v2, s10, v4
.LBB94_17:
	global_store_b32 v[0:1], v4, off
.LBB94_18:
	s_endpgm
	.section	.rodata,"a",@progbits
	.p2align	6, 0x0
	.amdhsa_kernel _ZN9rocsparseL41csrmvn_lrb_medium_rows_warp_reduce_kernelILj256ELj32EllaaiiEEvbT1_lPT2_S3_jNS_24const_host_device_scalarIT6_EEPKS1_PKS2_PKT3_PKT4_S6_PT5_21rocsparse_index_base_b
		.amdhsa_group_segment_fixed_size 0
		.amdhsa_private_segment_fixed_size 0
		.amdhsa_kernarg_size 112
		.amdhsa_user_sgpr_count 2
		.amdhsa_user_sgpr_dispatch_ptr 0
		.amdhsa_user_sgpr_queue_ptr 0
		.amdhsa_user_sgpr_kernarg_segment_ptr 1
		.amdhsa_user_sgpr_dispatch_id 0
		.amdhsa_user_sgpr_kernarg_preload_length 0
		.amdhsa_user_sgpr_kernarg_preload_offset 0
		.amdhsa_user_sgpr_private_segment_size 0
		.amdhsa_wavefront_size32 1
		.amdhsa_uses_dynamic_stack 0
		.amdhsa_enable_private_segment 0
		.amdhsa_system_sgpr_workgroup_id_x 1
		.amdhsa_system_sgpr_workgroup_id_y 0
		.amdhsa_system_sgpr_workgroup_id_z 0
		.amdhsa_system_sgpr_workgroup_info 0
		.amdhsa_system_vgpr_workitem_id 0
		.amdhsa_next_free_vgpr 14
		.amdhsa_next_free_sgpr 13
		.amdhsa_named_barrier_count 0
		.amdhsa_reserve_vcc 1
		.amdhsa_float_round_mode_32 0
		.amdhsa_float_round_mode_16_64 0
		.amdhsa_float_denorm_mode_32 3
		.amdhsa_float_denorm_mode_16_64 3
		.amdhsa_fp16_overflow 0
		.amdhsa_memory_ordered 1
		.amdhsa_forward_progress 1
		.amdhsa_inst_pref_size 7
		.amdhsa_round_robin_scheduling 0
		.amdhsa_exception_fp_ieee_invalid_op 0
		.amdhsa_exception_fp_denorm_src 0
		.amdhsa_exception_fp_ieee_div_zero 0
		.amdhsa_exception_fp_ieee_overflow 0
		.amdhsa_exception_fp_ieee_underflow 0
		.amdhsa_exception_fp_ieee_inexact 0
		.amdhsa_exception_int_div_zero 0
	.end_amdhsa_kernel
	.section	.text._ZN9rocsparseL41csrmvn_lrb_medium_rows_warp_reduce_kernelILj256ELj32EllaaiiEEvbT1_lPT2_S3_jNS_24const_host_device_scalarIT6_EEPKS1_PKS2_PKT3_PKT4_S6_PT5_21rocsparse_index_base_b,"axG",@progbits,_ZN9rocsparseL41csrmvn_lrb_medium_rows_warp_reduce_kernelILj256ELj32EllaaiiEEvbT1_lPT2_S3_jNS_24const_host_device_scalarIT6_EEPKS1_PKS2_PKT3_PKT4_S6_PT5_21rocsparse_index_base_b,comdat
.Lfunc_end94:
	.size	_ZN9rocsparseL41csrmvn_lrb_medium_rows_warp_reduce_kernelILj256ELj32EllaaiiEEvbT1_lPT2_S3_jNS_24const_host_device_scalarIT6_EEPKS1_PKS2_PKT3_PKT4_S6_PT5_21rocsparse_index_base_b, .Lfunc_end94-_ZN9rocsparseL41csrmvn_lrb_medium_rows_warp_reduce_kernelILj256ELj32EllaaiiEEvbT1_lPT2_S3_jNS_24const_host_device_scalarIT6_EEPKS1_PKS2_PKT3_PKT4_S6_PT5_21rocsparse_index_base_b
                                        ; -- End function
	.set _ZN9rocsparseL41csrmvn_lrb_medium_rows_warp_reduce_kernelILj256ELj32EllaaiiEEvbT1_lPT2_S3_jNS_24const_host_device_scalarIT6_EEPKS1_PKS2_PKT3_PKT4_S6_PT5_21rocsparse_index_base_b.num_vgpr, 14
	.set _ZN9rocsparseL41csrmvn_lrb_medium_rows_warp_reduce_kernelILj256ELj32EllaaiiEEvbT1_lPT2_S3_jNS_24const_host_device_scalarIT6_EEPKS1_PKS2_PKT3_PKT4_S6_PT5_21rocsparse_index_base_b.num_agpr, 0
	.set _ZN9rocsparseL41csrmvn_lrb_medium_rows_warp_reduce_kernelILj256ELj32EllaaiiEEvbT1_lPT2_S3_jNS_24const_host_device_scalarIT6_EEPKS1_PKS2_PKT3_PKT4_S6_PT5_21rocsparse_index_base_b.numbered_sgpr, 13
	.set _ZN9rocsparseL41csrmvn_lrb_medium_rows_warp_reduce_kernelILj256ELj32EllaaiiEEvbT1_lPT2_S3_jNS_24const_host_device_scalarIT6_EEPKS1_PKS2_PKT3_PKT4_S6_PT5_21rocsparse_index_base_b.num_named_barrier, 0
	.set _ZN9rocsparseL41csrmvn_lrb_medium_rows_warp_reduce_kernelILj256ELj32EllaaiiEEvbT1_lPT2_S3_jNS_24const_host_device_scalarIT6_EEPKS1_PKS2_PKT3_PKT4_S6_PT5_21rocsparse_index_base_b.private_seg_size, 0
	.set _ZN9rocsparseL41csrmvn_lrb_medium_rows_warp_reduce_kernelILj256ELj32EllaaiiEEvbT1_lPT2_S3_jNS_24const_host_device_scalarIT6_EEPKS1_PKS2_PKT3_PKT4_S6_PT5_21rocsparse_index_base_b.uses_vcc, 1
	.set _ZN9rocsparseL41csrmvn_lrb_medium_rows_warp_reduce_kernelILj256ELj32EllaaiiEEvbT1_lPT2_S3_jNS_24const_host_device_scalarIT6_EEPKS1_PKS2_PKT3_PKT4_S6_PT5_21rocsparse_index_base_b.uses_flat_scratch, 0
	.set _ZN9rocsparseL41csrmvn_lrb_medium_rows_warp_reduce_kernelILj256ELj32EllaaiiEEvbT1_lPT2_S3_jNS_24const_host_device_scalarIT6_EEPKS1_PKS2_PKT3_PKT4_S6_PT5_21rocsparse_index_base_b.has_dyn_sized_stack, 0
	.set _ZN9rocsparseL41csrmvn_lrb_medium_rows_warp_reduce_kernelILj256ELj32EllaaiiEEvbT1_lPT2_S3_jNS_24const_host_device_scalarIT6_EEPKS1_PKS2_PKT3_PKT4_S6_PT5_21rocsparse_index_base_b.has_recursion, 0
	.set _ZN9rocsparseL41csrmvn_lrb_medium_rows_warp_reduce_kernelILj256ELj32EllaaiiEEvbT1_lPT2_S3_jNS_24const_host_device_scalarIT6_EEPKS1_PKS2_PKT3_PKT4_S6_PT5_21rocsparse_index_base_b.has_indirect_call, 0
	.section	.AMDGPU.csdata,"",@progbits
; Kernel info:
; codeLenInByte = 892
; TotalNumSgprs: 15
; NumVgprs: 14
; ScratchSize: 0
; MemoryBound: 0
; FloatMode: 240
; IeeeMode: 1
; LDSByteSize: 0 bytes/workgroup (compile time only)
; SGPRBlocks: 0
; VGPRBlocks: 0
; NumSGPRsForWavesPerEU: 15
; NumVGPRsForWavesPerEU: 14
; NamedBarCnt: 0
; Occupancy: 16
; WaveLimiterHint : 1
; COMPUTE_PGM_RSRC2:SCRATCH_EN: 0
; COMPUTE_PGM_RSRC2:USER_SGPR: 2
; COMPUTE_PGM_RSRC2:TRAP_HANDLER: 0
; COMPUTE_PGM_RSRC2:TGID_X_EN: 1
; COMPUTE_PGM_RSRC2:TGID_Y_EN: 0
; COMPUTE_PGM_RSRC2:TGID_Z_EN: 0
; COMPUTE_PGM_RSRC2:TIDIG_COMP_CNT: 0
	.section	.text._ZN9rocsparseL41csrmvn_lrb_medium_rows_warp_reduce_kernelILj256ELj64EllaaiiEEvbT1_lPT2_S3_jNS_24const_host_device_scalarIT6_EEPKS1_PKS2_PKT3_PKT4_S6_PT5_21rocsparse_index_base_b,"axG",@progbits,_ZN9rocsparseL41csrmvn_lrb_medium_rows_warp_reduce_kernelILj256ELj64EllaaiiEEvbT1_lPT2_S3_jNS_24const_host_device_scalarIT6_EEPKS1_PKS2_PKT3_PKT4_S6_PT5_21rocsparse_index_base_b,comdat
	.globl	_ZN9rocsparseL41csrmvn_lrb_medium_rows_warp_reduce_kernelILj256ELj64EllaaiiEEvbT1_lPT2_S3_jNS_24const_host_device_scalarIT6_EEPKS1_PKS2_PKT3_PKT4_S6_PT5_21rocsparse_index_base_b ; -- Begin function _ZN9rocsparseL41csrmvn_lrb_medium_rows_warp_reduce_kernelILj256ELj64EllaaiiEEvbT1_lPT2_S3_jNS_24const_host_device_scalarIT6_EEPKS1_PKS2_PKT3_PKT4_S6_PT5_21rocsparse_index_base_b
	.p2align	8
	.type	_ZN9rocsparseL41csrmvn_lrb_medium_rows_warp_reduce_kernelILj256ELj64EllaaiiEEvbT1_lPT2_S3_jNS_24const_host_device_scalarIT6_EEPKS1_PKS2_PKT3_PKT4_S6_PT5_21rocsparse_index_base_b,@function
_ZN9rocsparseL41csrmvn_lrb_medium_rows_warp_reduce_kernelILj256ELj64EllaaiiEEvbT1_lPT2_S3_jNS_24const_host_device_scalarIT6_EEPKS1_PKS2_PKT3_PKT4_S6_PT5_21rocsparse_index_base_b: ; @_ZN9rocsparseL41csrmvn_lrb_medium_rows_warp_reduce_kernelILj256ELj64EllaaiiEEvbT1_lPT2_S3_jNS_24const_host_device_scalarIT6_EEPKS1_PKS2_PKT3_PKT4_S6_PT5_21rocsparse_index_base_b
; %bb.0:
	s_clause 0x1
	s_load_b64 s[2:3], s[0:1], 0x68
	s_load_b64 s[6:7], s[0:1], 0x30
	s_mov_b32 s8, -1
                                        ; implicit-def: $sgpr11
	s_wait_kmcnt 0x0
	s_bitcmp1_b32 s3, 0
	s_cselect_b32 s3, -1, 0
	s_delay_alu instid0(SALU_CYCLE_1) | instskip(NEXT) | instid1(SALU_CYCLE_1)
	s_xor_b32 s3, s3, -1
	s_and_b32 vcc_lo, exec_lo, s3
	s_cbranch_vccnz .LBB95_4
; %bb.1:
	s_load_b64 s[4:5], s[0:1], 0x58
	s_and_not1_b32 vcc_lo, exec_lo, s8
	s_cbranch_vccz .LBB95_5
.LBB95_2:
	s_and_b32 vcc_lo, exec_lo, s3
	s_cbranch_vccz .LBB95_6
.LBB95_3:
	s_wait_kmcnt 0x0
	s_load_b32 s10, s[4:5], 0x0
	s_cbranch_execz .LBB95_7
	s_branch .LBB95_8
.LBB95_4:
	s_load_b32 s11, s[6:7], 0x0
	s_load_b64 s[4:5], s[0:1], 0x58
	s_cbranch_execnz .LBB95_2
.LBB95_5:
	s_wait_kmcnt 0x0
	s_mov_b32 s11, s6
	s_and_b32 vcc_lo, exec_lo, s3
	s_cbranch_vccnz .LBB95_3
.LBB95_6:
                                        ; implicit-def: $sgpr10
.LBB95_7:
	s_wait_kmcnt 0x0
	s_mov_b32 s10, s4
.LBB95_8:
	s_wait_kmcnt 0x0
	s_cmp_lg_u32 s11, 0
	s_cselect_b32 s3, -1, 0
	s_cmp_lg_u32 s10, 1
	s_cselect_b32 s4, -1, 0
	s_delay_alu instid0(SALU_CYCLE_1) | instskip(NEXT) | instid1(SALU_CYCLE_1)
	s_or_b32 s3, s3, s4
	s_and_not1_b32 vcc_lo, exec_lo, s3
	s_cbranch_vccnz .LBB95_18
; %bb.9:
	s_bfe_u32 s3, ttmp6, 0x4000c
	s_load_b64 s[4:5], s[0:1], 0x10
	s_add_co_i32 s3, s3, 1
	s_and_b32 s6, ttmp6, 15
	s_mul_i32 s3, ttmp9, s3
	s_getreg_b32 s7, hwreg(HW_REG_IB_STS2, 6, 4)
	v_lshrrev_b32_e32 v1, 6, v0
	s_add_co_i32 s6, s6, s3
	s_cmp_eq_u32 s7, 0
	s_cselect_b32 s3, ttmp9, s6
	s_delay_alu instid0(VALU_DEP_1) | instid1(SALU_CYCLE_1)
	v_lshl_or_b32 v2, s3, 2, v1
	s_mov_b32 s3, exec_lo
	s_delay_alu instid0(VALU_DEP_1) | instskip(SKIP_1) | instid1(VALU_DEP_1)
	v_ashrrev_i32_e32 v3, 31, v2
	s_wait_kmcnt 0x0
	v_cmpx_gt_i64_e64 s[4:5], v[2:3]
	s_cbranch_execz .LBB95_18
; %bb.10:
	s_clause 0x1
	s_load_b128 s[4:7], s[0:1], 0x18
	s_load_b32 s3, s[0:1], 0x28
	v_dual_mov_b32 v1, 0 :: v_dual_bitop2_b32 v0, 63, v0 bitop3:0x40
	s_mov_b32 s12, exec_lo
	s_wait_kmcnt 0x0
	s_load_b64 s[6:7], s[6:7], s3 offset:0x0 scale_offset
	s_wait_xcnt 0x0
	s_mov_b32 s3, 0
	s_delay_alu instid0(SALU_CYCLE_1) | instskip(SKIP_2) | instid1(SALU_CYCLE_1)
	v_sub_nc_u64_e64 v[10:11], v[0:1], s[2:3]
	s_wait_kmcnt 0x0
	s_lshl_b64 s[6:7], s[6:7], 3
	s_add_nc_u64 s[4:5], s[4:5], s[6:7]
	s_delay_alu instid0(SALU_CYCLE_1)
	v_lshl_add_u64 v[2:3], v[2:3], 3, s[4:5]
	s_load_b64 s[4:5], s[0:1], 0x38
	global_load_b64 v[2:3], v[2:3], off
	s_wait_loadcnt 0x0
	s_wait_kmcnt 0x0
	v_lshl_add_u64 v[4:5], v[2:3], 3, s[4:5]
	global_load_b128 v[6:9], v[4:5], off
	s_wait_loadcnt 0x0
	v_sub_nc_u64_e64 v[4:5], v[8:9], s[2:3]
	v_add_nc_u64_e32 v[6:7], v[6:7], v[10:11]
	s_delay_alu instid0(VALU_DEP_1)
	v_cmpx_lt_i64_e64 v[6:7], v[4:5]
	s_cbranch_execz .LBB95_14
; %bb.11:
	s_clause 0x1
	s_load_b128 s[4:7], s[0:1], 0x40
	s_load_b64 s[8:9], s[0:1], 0x50
	v_mov_b32_e32 v1, 0
	s_wait_kmcnt 0x0
	v_lshl_add_u64 v[8:9], v[6:7], 3, s[4:5]
	s_mov_b32 s4, s3
.LBB95_12:                              ; =>This Inner Loop Header: Depth=1
	global_load_b64 v[10:11], v[8:9], off
	v_add_nc_u64_e32 v[12:13], s[6:7], v[6:7]
	v_add_nc_u64_e32 v[6:7], 64, v[6:7]
	s_wait_xcnt 0x0
	v_add_nc_u64_e32 v[8:9], 0x200, v[8:9]
	global_load_i8 v12, v[12:13], off
	v_cmp_ge_i64_e32 vcc_lo, v[6:7], v[4:5]
	s_or_b32 s4, vcc_lo, s4
	s_wait_loadcnt 0x1
	v_sub_nc_u64_e64 v[10:11], v[10:11], s[2:3]
	s_delay_alu instid0(VALU_DEP_1)
	v_add_nc_u64_e32 v[10:11], s[8:9], v[10:11]
	global_load_i8 v10, v[10:11], off
	s_wait_loadcnt 0x1
	s_wait_xcnt 0x0
	v_mul_lo_u32 v11, s11, v12
	s_wait_loadcnt 0x0
	s_delay_alu instid0(VALU_DEP_1)
	v_mad_u32 v1, v11, v10, v1
	s_and_not1_b32 exec_lo, exec_lo, s4
	s_cbranch_execnz .LBB95_12
; %bb.13:
	s_or_b32 exec_lo, exec_lo, s4
.LBB95_14:
	s_delay_alu instid0(SALU_CYCLE_1) | instskip(SKIP_2) | instid1(VALU_DEP_1)
	s_or_b32 exec_lo, exec_lo, s12
	v_mbcnt_lo_u32_b32 v4, -1, 0
	s_load_b64 s[0:1], s[0:1], 0x60
	v_xor_b32_e32 v6, 16, v4
	v_or_b32_e32 v5, 32, v4
	s_delay_alu instid0(VALU_DEP_1) | instskip(SKIP_1) | instid1(VALU_DEP_4)
	v_cmp_gt_i32_e32 vcc_lo, 32, v5
	v_cndmask_b32_e32 v5, v4, v5, vcc_lo
	v_cmp_gt_i32_e32 vcc_lo, 32, v6
	v_cndmask_b32_e32 v6, v4, v6, vcc_lo
	s_delay_alu instid0(VALU_DEP_1)
	v_dual_lshlrev_b32 v6, 2, v6 :: v_dual_lshlrev_b32 v5, 2, v5
	ds_bpermute_b32 v5, v5, v1
	s_wait_dscnt 0x0
	v_add_nc_u32_e32 v1, v5, v1
	ds_bpermute_b32 v5, v6, v1
	v_xor_b32_e32 v6, 8, v4
	s_delay_alu instid0(VALU_DEP_1) | instskip(SKIP_2) | instid1(VALU_DEP_1)
	v_cmp_gt_i32_e32 vcc_lo, 32, v6
	s_wait_dscnt 0x0
	v_dual_cndmask_b32 v6, v4, v6 :: v_dual_add_nc_u32 v1, v5, v1
	v_lshlrev_b32_e32 v6, 2, v6
	ds_bpermute_b32 v5, v6, v1
	s_wait_dscnt 0x0
	v_dual_add_nc_u32 v1, v5, v1 :: v_dual_bitop2_b32 v6, 4, v4 bitop3:0x14
	s_delay_alu instid0(VALU_DEP_1) | instskip(SKIP_1) | instid1(VALU_DEP_1)
	v_cmp_gt_i32_e32 vcc_lo, 32, v6
	v_cndmask_b32_e32 v6, v4, v6, vcc_lo
	v_lshlrev_b32_e32 v6, 2, v6
	ds_bpermute_b32 v5, v6, v1
	v_xor_b32_e32 v6, 2, v4
	s_delay_alu instid0(VALU_DEP_1) | instskip(SKIP_2) | instid1(VALU_DEP_1)
	v_cmp_gt_i32_e32 vcc_lo, 32, v6
	v_cndmask_b32_e32 v6, v4, v6, vcc_lo
	s_wait_dscnt 0x0
	v_dual_lshlrev_b32 v6, 2, v6 :: v_dual_add_nc_u32 v1, v5, v1
	ds_bpermute_b32 v5, v6, v1
	v_xor_b32_e32 v6, 1, v4
	s_delay_alu instid0(VALU_DEP_1) | instskip(SKIP_3) | instid1(VALU_DEP_2)
	v_cmp_gt_i32_e32 vcc_lo, 32, v6
	v_cndmask_b32_e32 v4, v4, v6, vcc_lo
	v_cmp_eq_u32_e32 vcc_lo, 63, v0
	s_wait_dscnt 0x0
	v_dual_lshlrev_b32 v4, 2, v4 :: v_dual_add_nc_u32 v1, v5, v1
	ds_bpermute_b32 v4, v4, v1
	s_and_b32 exec_lo, exec_lo, vcc_lo
	s_cbranch_execz .LBB95_18
; %bb.15:
	s_wait_dscnt 0x0
	v_add_nc_u32_e32 v4, v4, v1
	s_wait_kmcnt 0x0
	v_lshl_add_u64 v[0:1], v[2:3], 2, s[0:1]
	s_cmp_eq_u32 s10, 0
	s_cbranch_scc1 .LBB95_17
; %bb.16:
	global_load_b32 v2, v[0:1], off
	s_wait_loadcnt 0x0
	v_mad_u32 v4, v2, s10, v4
.LBB95_17:
	global_store_b32 v[0:1], v4, off
.LBB95_18:
	s_endpgm
	.section	.rodata,"a",@progbits
	.p2align	6, 0x0
	.amdhsa_kernel _ZN9rocsparseL41csrmvn_lrb_medium_rows_warp_reduce_kernelILj256ELj64EllaaiiEEvbT1_lPT2_S3_jNS_24const_host_device_scalarIT6_EEPKS1_PKS2_PKT3_PKT4_S6_PT5_21rocsparse_index_base_b
		.amdhsa_group_segment_fixed_size 0
		.amdhsa_private_segment_fixed_size 0
		.amdhsa_kernarg_size 112
		.amdhsa_user_sgpr_count 2
		.amdhsa_user_sgpr_dispatch_ptr 0
		.amdhsa_user_sgpr_queue_ptr 0
		.amdhsa_user_sgpr_kernarg_segment_ptr 1
		.amdhsa_user_sgpr_dispatch_id 0
		.amdhsa_user_sgpr_kernarg_preload_length 0
		.amdhsa_user_sgpr_kernarg_preload_offset 0
		.amdhsa_user_sgpr_private_segment_size 0
		.amdhsa_wavefront_size32 1
		.amdhsa_uses_dynamic_stack 0
		.amdhsa_enable_private_segment 0
		.amdhsa_system_sgpr_workgroup_id_x 1
		.amdhsa_system_sgpr_workgroup_id_y 0
		.amdhsa_system_sgpr_workgroup_id_z 0
		.amdhsa_system_sgpr_workgroup_info 0
		.amdhsa_system_vgpr_workitem_id 0
		.amdhsa_next_free_vgpr 14
		.amdhsa_next_free_sgpr 13
		.amdhsa_named_barrier_count 0
		.amdhsa_reserve_vcc 1
		.amdhsa_float_round_mode_32 0
		.amdhsa_float_round_mode_16_64 0
		.amdhsa_float_denorm_mode_32 3
		.amdhsa_float_denorm_mode_16_64 3
		.amdhsa_fp16_overflow 0
		.amdhsa_memory_ordered 1
		.amdhsa_forward_progress 1
		.amdhsa_inst_pref_size 8
		.amdhsa_round_robin_scheduling 0
		.amdhsa_exception_fp_ieee_invalid_op 0
		.amdhsa_exception_fp_denorm_src 0
		.amdhsa_exception_fp_ieee_div_zero 0
		.amdhsa_exception_fp_ieee_overflow 0
		.amdhsa_exception_fp_ieee_underflow 0
		.amdhsa_exception_fp_ieee_inexact 0
		.amdhsa_exception_int_div_zero 0
	.end_amdhsa_kernel
	.section	.text._ZN9rocsparseL41csrmvn_lrb_medium_rows_warp_reduce_kernelILj256ELj64EllaaiiEEvbT1_lPT2_S3_jNS_24const_host_device_scalarIT6_EEPKS1_PKS2_PKT3_PKT4_S6_PT5_21rocsparse_index_base_b,"axG",@progbits,_ZN9rocsparseL41csrmvn_lrb_medium_rows_warp_reduce_kernelILj256ELj64EllaaiiEEvbT1_lPT2_S3_jNS_24const_host_device_scalarIT6_EEPKS1_PKS2_PKT3_PKT4_S6_PT5_21rocsparse_index_base_b,comdat
.Lfunc_end95:
	.size	_ZN9rocsparseL41csrmvn_lrb_medium_rows_warp_reduce_kernelILj256ELj64EllaaiiEEvbT1_lPT2_S3_jNS_24const_host_device_scalarIT6_EEPKS1_PKS2_PKT3_PKT4_S6_PT5_21rocsparse_index_base_b, .Lfunc_end95-_ZN9rocsparseL41csrmvn_lrb_medium_rows_warp_reduce_kernelILj256ELj64EllaaiiEEvbT1_lPT2_S3_jNS_24const_host_device_scalarIT6_EEPKS1_PKS2_PKT3_PKT4_S6_PT5_21rocsparse_index_base_b
                                        ; -- End function
	.set _ZN9rocsparseL41csrmvn_lrb_medium_rows_warp_reduce_kernelILj256ELj64EllaaiiEEvbT1_lPT2_S3_jNS_24const_host_device_scalarIT6_EEPKS1_PKS2_PKT3_PKT4_S6_PT5_21rocsparse_index_base_b.num_vgpr, 14
	.set _ZN9rocsparseL41csrmvn_lrb_medium_rows_warp_reduce_kernelILj256ELj64EllaaiiEEvbT1_lPT2_S3_jNS_24const_host_device_scalarIT6_EEPKS1_PKS2_PKT3_PKT4_S6_PT5_21rocsparse_index_base_b.num_agpr, 0
	.set _ZN9rocsparseL41csrmvn_lrb_medium_rows_warp_reduce_kernelILj256ELj64EllaaiiEEvbT1_lPT2_S3_jNS_24const_host_device_scalarIT6_EEPKS1_PKS2_PKT3_PKT4_S6_PT5_21rocsparse_index_base_b.numbered_sgpr, 13
	.set _ZN9rocsparseL41csrmvn_lrb_medium_rows_warp_reduce_kernelILj256ELj64EllaaiiEEvbT1_lPT2_S3_jNS_24const_host_device_scalarIT6_EEPKS1_PKS2_PKT3_PKT4_S6_PT5_21rocsparse_index_base_b.num_named_barrier, 0
	.set _ZN9rocsparseL41csrmvn_lrb_medium_rows_warp_reduce_kernelILj256ELj64EllaaiiEEvbT1_lPT2_S3_jNS_24const_host_device_scalarIT6_EEPKS1_PKS2_PKT3_PKT4_S6_PT5_21rocsparse_index_base_b.private_seg_size, 0
	.set _ZN9rocsparseL41csrmvn_lrb_medium_rows_warp_reduce_kernelILj256ELj64EllaaiiEEvbT1_lPT2_S3_jNS_24const_host_device_scalarIT6_EEPKS1_PKS2_PKT3_PKT4_S6_PT5_21rocsparse_index_base_b.uses_vcc, 1
	.set _ZN9rocsparseL41csrmvn_lrb_medium_rows_warp_reduce_kernelILj256ELj64EllaaiiEEvbT1_lPT2_S3_jNS_24const_host_device_scalarIT6_EEPKS1_PKS2_PKT3_PKT4_S6_PT5_21rocsparse_index_base_b.uses_flat_scratch, 0
	.set _ZN9rocsparseL41csrmvn_lrb_medium_rows_warp_reduce_kernelILj256ELj64EllaaiiEEvbT1_lPT2_S3_jNS_24const_host_device_scalarIT6_EEPKS1_PKS2_PKT3_PKT4_S6_PT5_21rocsparse_index_base_b.has_dyn_sized_stack, 0
	.set _ZN9rocsparseL41csrmvn_lrb_medium_rows_warp_reduce_kernelILj256ELj64EllaaiiEEvbT1_lPT2_S3_jNS_24const_host_device_scalarIT6_EEPKS1_PKS2_PKT3_PKT4_S6_PT5_21rocsparse_index_base_b.has_recursion, 0
	.set _ZN9rocsparseL41csrmvn_lrb_medium_rows_warp_reduce_kernelILj256ELj64EllaaiiEEvbT1_lPT2_S3_jNS_24const_host_device_scalarIT6_EEPKS1_PKS2_PKT3_PKT4_S6_PT5_21rocsparse_index_base_b.has_indirect_call, 0
	.section	.AMDGPU.csdata,"",@progbits
; Kernel info:
; codeLenInByte = 932
; TotalNumSgprs: 15
; NumVgprs: 14
; ScratchSize: 0
; MemoryBound: 0
; FloatMode: 240
; IeeeMode: 1
; LDSByteSize: 0 bytes/workgroup (compile time only)
; SGPRBlocks: 0
; VGPRBlocks: 0
; NumSGPRsForWavesPerEU: 15
; NumVGPRsForWavesPerEU: 14
; NamedBarCnt: 0
; Occupancy: 16
; WaveLimiterHint : 1
; COMPUTE_PGM_RSRC2:SCRATCH_EN: 0
; COMPUTE_PGM_RSRC2:USER_SGPR: 2
; COMPUTE_PGM_RSRC2:TRAP_HANDLER: 0
; COMPUTE_PGM_RSRC2:TGID_X_EN: 1
; COMPUTE_PGM_RSRC2:TGID_Y_EN: 0
; COMPUTE_PGM_RSRC2:TGID_Z_EN: 0
; COMPUTE_PGM_RSRC2:TIDIG_COMP_CNT: 0
	.section	.text._ZN9rocsparseL29csrmvn_lrb_medium_rows_kernelILj256EllaaiiEEvbT0_PT1_S3_jNS_24const_host_device_scalarIT5_EEPKS1_PKS2_PKT2_PKT3_S6_PT4_21rocsparse_index_base_b,"axG",@progbits,_ZN9rocsparseL29csrmvn_lrb_medium_rows_kernelILj256EllaaiiEEvbT0_PT1_S3_jNS_24const_host_device_scalarIT5_EEPKS1_PKS2_PKT2_PKT3_S6_PT4_21rocsparse_index_base_b,comdat
	.globl	_ZN9rocsparseL29csrmvn_lrb_medium_rows_kernelILj256EllaaiiEEvbT0_PT1_S3_jNS_24const_host_device_scalarIT5_EEPKS1_PKS2_PKT2_PKT3_S6_PT4_21rocsparse_index_base_b ; -- Begin function _ZN9rocsparseL29csrmvn_lrb_medium_rows_kernelILj256EllaaiiEEvbT0_PT1_S3_jNS_24const_host_device_scalarIT5_EEPKS1_PKS2_PKT2_PKT3_S6_PT4_21rocsparse_index_base_b
	.p2align	8
	.type	_ZN9rocsparseL29csrmvn_lrb_medium_rows_kernelILj256EllaaiiEEvbT0_PT1_S3_jNS_24const_host_device_scalarIT5_EEPKS1_PKS2_PKT2_PKT3_S6_PT4_21rocsparse_index_base_b,@function
_ZN9rocsparseL29csrmvn_lrb_medium_rows_kernelILj256EllaaiiEEvbT0_PT1_S3_jNS_24const_host_device_scalarIT5_EEPKS1_PKS2_PKT2_PKT3_S6_PT4_21rocsparse_index_base_b: ; @_ZN9rocsparseL29csrmvn_lrb_medium_rows_kernelILj256EllaaiiEEvbT0_PT1_S3_jNS_24const_host_device_scalarIT5_EEPKS1_PKS2_PKT2_PKT3_S6_PT4_21rocsparse_index_base_b
; %bb.0:
	s_clause 0x1
	s_load_b64 s[8:9], s[0:1], 0x60
	s_load_b64 s[4:5], s[0:1], 0x28
	s_mov_b32 s7, -1
                                        ; implicit-def: $sgpr15
	s_wait_kmcnt 0x0
	s_bitcmp1_b32 s9, 0
	s_cselect_b32 s2, -1, 0
	s_delay_alu instid0(SALU_CYCLE_1) | instskip(NEXT) | instid1(SALU_CYCLE_1)
	s_xor_b32 s6, s2, -1
	s_and_b32 vcc_lo, exec_lo, s6
	s_cbranch_vccnz .LBB96_4
; %bb.1:
	s_load_b64 s[2:3], s[0:1], 0x50
	s_and_not1_b32 vcc_lo, exec_lo, s7
	s_cbranch_vccz .LBB96_5
.LBB96_2:
	s_and_b32 vcc_lo, exec_lo, s6
	s_cbranch_vccz .LBB96_6
.LBB96_3:
	s_wait_kmcnt 0x0
	s_load_b32 s14, s[2:3], 0x0
	s_wait_xcnt 0x0
	s_cbranch_execz .LBB96_7
	s_branch .LBB96_8
.LBB96_4:
	s_load_b32 s15, s[4:5], 0x0
	s_load_b64 s[2:3], s[0:1], 0x50
	s_cbranch_execnz .LBB96_2
.LBB96_5:
	s_wait_kmcnt 0x0
	s_mov_b32 s15, s4
	s_and_b32 vcc_lo, exec_lo, s6
	s_cbranch_vccnz .LBB96_3
.LBB96_6:
	s_wait_kmcnt 0x0
                                        ; implicit-def: $sgpr14
.LBB96_7:
	s_wait_kmcnt 0x0
	s_mov_b32 s14, s2
.LBB96_8:
	s_cmp_lg_u32 s15, 0
	s_mov_b32 s9, 0
	s_cselect_b32 s2, -1, 0
	s_wait_kmcnt 0x0
	s_cmp_lg_u32 s14, 1
	s_cselect_b32 s3, -1, 0
	s_delay_alu instid0(SALU_CYCLE_1) | instskip(NEXT) | instid1(SALU_CYCLE_1)
	s_or_b32 s2, s2, s3
	s_and_not1_b32 vcc_lo, exec_lo, s2
	s_cbranch_vccnz .LBB96_33
; %bb.9:
	s_clause 0x1
	s_load_b128 s[4:7], s[0:1], 0x10
	s_load_b32 s2, s[0:1], 0x20
	s_getreg_b32 s10, hwreg(HW_REG_IB_STS2, 6, 4)
	v_mov_b32_e32 v1, 0
	s_mov_b32 s16, exec_lo
	s_delay_alu instid0(VALU_DEP_1)
	v_sub_nc_u64_e64 v[2:3], v[0:1], s[8:9]
	s_wait_kmcnt 0x0
	s_load_b64 s[2:3], s[6:7], s2 offset:0x0 scale_offset
	s_wait_xcnt 0x0
	s_bfe_u32 s6, ttmp6, 0x4000c
	s_and_b32 s7, ttmp6, 15
	s_add_co_i32 s6, s6, 1
	s_delay_alu instid0(SALU_CYCLE_1) | instskip(NEXT) | instid1(SALU_CYCLE_1)
	s_mul_i32 s6, ttmp9, s6
	s_add_co_i32 s7, s7, s6
	s_cmp_eq_u32 s10, 0
	s_cselect_b32 s6, ttmp9, s7
	s_delay_alu instid0(SALU_CYCLE_1) | instskip(SKIP_2) | instid1(SALU_CYCLE_1)
	s_ashr_i32 s7, s6, 31
	s_wait_kmcnt 0x0
	s_lshl_b64 s[2:3], s[2:3], 3
	s_add_nc_u64 s[2:3], s[4:5], s[2:3]
	s_lshl_b64 s[4:5], s[6:7], 3
	s_delay_alu instid0(SALU_CYCLE_1) | instskip(SKIP_4) | instid1(SALU_CYCLE_1)
	s_add_nc_u64 s[4:5], s[2:3], s[4:5]
	s_load_b64 s[2:3], s[4:5], 0x0
	s_load_b64 s[6:7], s[0:1], 0x30
	s_wait_kmcnt 0x0
	s_lshl_b64 s[4:5], s[2:3], 3
	s_add_nc_u64 s[10:11], s[6:7], s[4:5]
	s_load_b128 s[4:7], s[10:11], 0x0
	s_wait_kmcnt 0x0
	v_add_nc_u64_e32 v[2:3], s[4:5], v[2:3]
	s_sub_nc_u64 s[10:11], s[6:7], s[8:9]
	s_delay_alu instid0(VALU_DEP_1) | instid1(SALU_CYCLE_1)
	v_cmpx_gt_i64_e64 s[10:11], v[2:3]
	s_cbranch_execz .LBB96_13
; %bb.10:
	s_clause 0x1
	s_load_b128 s[4:7], s[0:1], 0x38
	s_load_b64 s[12:13], s[0:1], 0x48
	s_wait_kmcnt 0x0
	v_lshl_add_u64 v[4:5], v[2:3], 3, s[4:5]
	s_mov_b32 s4, 0
.LBB96_11:                              ; =>This Inner Loop Header: Depth=1
	global_load_b64 v[6:7], v[4:5], off
	v_add_nc_u64_e32 v[8:9], s[6:7], v[2:3]
	v_add_nc_u64_e32 v[2:3], 0x100, v[2:3]
	s_wait_xcnt 0x0
	v_add_nc_u64_e32 v[4:5], 0x800, v[4:5]
	global_load_i8 v8, v[8:9], off
	v_cmp_le_i64_e32 vcc_lo, s[10:11], v[2:3]
	s_or_b32 s4, vcc_lo, s4
	s_wait_loadcnt 0x1
	v_sub_nc_u64_e64 v[6:7], v[6:7], s[8:9]
	s_delay_alu instid0(VALU_DEP_1)
	v_add_nc_u64_e32 v[6:7], s[12:13], v[6:7]
	global_load_i8 v6, v[6:7], off
	s_wait_loadcnt 0x1
	s_wait_xcnt 0x0
	v_mul_lo_u32 v7, s15, v8
	s_wait_loadcnt 0x0
	s_delay_alu instid0(VALU_DEP_1)
	v_mad_u32 v1, v7, v6, v1
	s_and_not1_b32 exec_lo, exec_lo, s4
	s_cbranch_execnz .LBB96_11
; %bb.12:
	s_or_b32 exec_lo, exec_lo, s4
.LBB96_13:
	s_delay_alu instid0(SALU_CYCLE_1)
	s_or_b32 exec_lo, exec_lo, s16
	s_load_b64 s[0:1], s[0:1], 0x58
	v_lshlrev_b32_e32 v2, 2, v0
	s_mov_b32 s4, exec_lo
	ds_store_b32 v2, v1
	s_wait_dscnt 0x0
	s_barrier_signal -1
	s_barrier_wait -1
	v_cmpx_gt_u32_e32 0x80, v0
	s_cbranch_execz .LBB96_15
; %bb.14:
	ds_load_2addr_stride64_b32 v[4:5], v2 offset1:2
	s_wait_dscnt 0x0
	v_add_nc_u32_e32 v1, v5, v4
	ds_store_b32 v2, v1
.LBB96_15:
	s_or_b32 exec_lo, exec_lo, s4
	s_delay_alu instid0(SALU_CYCLE_1)
	s_mov_b32 s4, exec_lo
	s_wait_dscnt 0x0
	s_barrier_signal -1
	s_barrier_wait -1
	v_cmpx_gt_u32_e32 64, v0
	s_cbranch_execz .LBB96_17
; %bb.16:
	ds_load_2addr_stride64_b32 v[4:5], v2 offset1:1
	s_wait_dscnt 0x0
	v_add_nc_u32_e32 v1, v5, v4
	ds_store_b32 v2, v1
.LBB96_17:
	s_or_b32 exec_lo, exec_lo, s4
	s_delay_alu instid0(SALU_CYCLE_1)
	s_mov_b32 s4, exec_lo
	s_wait_dscnt 0x0
	s_barrier_signal -1
	s_barrier_wait -1
	v_cmpx_gt_u32_e32 32, v0
	s_cbranch_execz .LBB96_19
; %bb.18:
	ds_load_2addr_b32 v[4:5], v2 offset1:32
	s_wait_dscnt 0x0
	v_add_nc_u32_e32 v1, v5, v4
	ds_store_b32 v2, v1
.LBB96_19:
	s_or_b32 exec_lo, exec_lo, s4
	s_delay_alu instid0(SALU_CYCLE_1)
	s_mov_b32 s4, exec_lo
	s_wait_dscnt 0x0
	s_barrier_signal -1
	s_barrier_wait -1
	v_cmpx_gt_u32_e32 16, v0
	s_cbranch_execz .LBB96_21
; %bb.20:
	ds_load_2addr_b32 v[4:5], v2 offset1:16
	s_wait_dscnt 0x0
	v_add_nc_u32_e32 v1, v5, v4
	ds_store_b32 v2, v1
.LBB96_21:
	;; [unrolled: 14-line block ×5, first 2 shown]
	s_or_b32 exec_lo, exec_lo, s4
	v_cmp_eq_u32_e32 vcc_lo, 0, v0
	s_wait_dscnt 0x0
	s_barrier_signal -1
	s_barrier_wait -1
	s_and_saveexec_b32 s4, vcc_lo
	s_cbranch_execz .LBB96_29
; %bb.28:
	v_mov_b32_e32 v2, 0
	ds_load_b64 v[0:1], v2
	s_wait_dscnt 0x0
	v_add_nc_u32_e32 v0, v1, v0
	ds_store_b32 v2, v0
.LBB96_29:
	s_or_b32 exec_lo, exec_lo, s4
	s_wait_dscnt 0x0
	s_barrier_signal -1
	s_barrier_wait -1
	s_and_saveexec_b32 s4, vcc_lo
	s_cbranch_execz .LBB96_33
; %bb.30:
	v_mov_b32_e32 v0, 0
	s_cmp_eq_u32 s14, 0
	ds_load_b32 v1, v0
	s_cbranch_scc1 .LBB96_32
; %bb.31:
	s_lshl_b64 s[4:5], s[2:3], 2
	s_wait_kmcnt 0x0
	s_add_nc_u64 s[4:5], s[0:1], s[4:5]
	s_load_b32 s4, s[4:5], 0x0
	s_wait_kmcnt 0x0
	s_mul_i32 s4, s4, s14
	s_wait_dscnt 0x0
	v_add_nc_u32_e32 v1, s4, v1
.LBB96_32:
	s_lshl_b64 s[2:3], s[2:3], 2
	s_wait_kmcnt 0x0
	s_add_nc_u64 s[0:1], s[0:1], s[2:3]
	s_wait_dscnt 0x0
	global_store_b32 v0, v1, s[0:1]
.LBB96_33:
	s_endpgm
	.section	.rodata,"a",@progbits
	.p2align	6, 0x0
	.amdhsa_kernel _ZN9rocsparseL29csrmvn_lrb_medium_rows_kernelILj256EllaaiiEEvbT0_PT1_S3_jNS_24const_host_device_scalarIT5_EEPKS1_PKS2_PKT2_PKT3_S6_PT4_21rocsparse_index_base_b
		.amdhsa_group_segment_fixed_size 1024
		.amdhsa_private_segment_fixed_size 0
		.amdhsa_kernarg_size 104
		.amdhsa_user_sgpr_count 2
		.amdhsa_user_sgpr_dispatch_ptr 0
		.amdhsa_user_sgpr_queue_ptr 0
		.amdhsa_user_sgpr_kernarg_segment_ptr 1
		.amdhsa_user_sgpr_dispatch_id 0
		.amdhsa_user_sgpr_kernarg_preload_length 0
		.amdhsa_user_sgpr_kernarg_preload_offset 0
		.amdhsa_user_sgpr_private_segment_size 0
		.amdhsa_wavefront_size32 1
		.amdhsa_uses_dynamic_stack 0
		.amdhsa_enable_private_segment 0
		.amdhsa_system_sgpr_workgroup_id_x 1
		.amdhsa_system_sgpr_workgroup_id_y 0
		.amdhsa_system_sgpr_workgroup_id_z 0
		.amdhsa_system_sgpr_workgroup_info 0
		.amdhsa_system_vgpr_workitem_id 0
		.amdhsa_next_free_vgpr 10
		.amdhsa_next_free_sgpr 17
		.amdhsa_named_barrier_count 0
		.amdhsa_reserve_vcc 1
		.amdhsa_float_round_mode_32 0
		.amdhsa_float_round_mode_16_64 0
		.amdhsa_float_denorm_mode_32 3
		.amdhsa_float_denorm_mode_16_64 3
		.amdhsa_fp16_overflow 0
		.amdhsa_memory_ordered 1
		.amdhsa_forward_progress 1
		.amdhsa_inst_pref_size 9
		.amdhsa_round_robin_scheduling 0
		.amdhsa_exception_fp_ieee_invalid_op 0
		.amdhsa_exception_fp_denorm_src 0
		.amdhsa_exception_fp_ieee_div_zero 0
		.amdhsa_exception_fp_ieee_overflow 0
		.amdhsa_exception_fp_ieee_underflow 0
		.amdhsa_exception_fp_ieee_inexact 0
		.amdhsa_exception_int_div_zero 0
	.end_amdhsa_kernel
	.section	.text._ZN9rocsparseL29csrmvn_lrb_medium_rows_kernelILj256EllaaiiEEvbT0_PT1_S3_jNS_24const_host_device_scalarIT5_EEPKS1_PKS2_PKT2_PKT3_S6_PT4_21rocsparse_index_base_b,"axG",@progbits,_ZN9rocsparseL29csrmvn_lrb_medium_rows_kernelILj256EllaaiiEEvbT0_PT1_S3_jNS_24const_host_device_scalarIT5_EEPKS1_PKS2_PKT2_PKT3_S6_PT4_21rocsparse_index_base_b,comdat
.Lfunc_end96:
	.size	_ZN9rocsparseL29csrmvn_lrb_medium_rows_kernelILj256EllaaiiEEvbT0_PT1_S3_jNS_24const_host_device_scalarIT5_EEPKS1_PKS2_PKT2_PKT3_S6_PT4_21rocsparse_index_base_b, .Lfunc_end96-_ZN9rocsparseL29csrmvn_lrb_medium_rows_kernelILj256EllaaiiEEvbT0_PT1_S3_jNS_24const_host_device_scalarIT5_EEPKS1_PKS2_PKT2_PKT3_S6_PT4_21rocsparse_index_base_b
                                        ; -- End function
	.set _ZN9rocsparseL29csrmvn_lrb_medium_rows_kernelILj256EllaaiiEEvbT0_PT1_S3_jNS_24const_host_device_scalarIT5_EEPKS1_PKS2_PKT2_PKT3_S6_PT4_21rocsparse_index_base_b.num_vgpr, 10
	.set _ZN9rocsparseL29csrmvn_lrb_medium_rows_kernelILj256EllaaiiEEvbT0_PT1_S3_jNS_24const_host_device_scalarIT5_EEPKS1_PKS2_PKT2_PKT3_S6_PT4_21rocsparse_index_base_b.num_agpr, 0
	.set _ZN9rocsparseL29csrmvn_lrb_medium_rows_kernelILj256EllaaiiEEvbT0_PT1_S3_jNS_24const_host_device_scalarIT5_EEPKS1_PKS2_PKT2_PKT3_S6_PT4_21rocsparse_index_base_b.numbered_sgpr, 17
	.set _ZN9rocsparseL29csrmvn_lrb_medium_rows_kernelILj256EllaaiiEEvbT0_PT1_S3_jNS_24const_host_device_scalarIT5_EEPKS1_PKS2_PKT2_PKT3_S6_PT4_21rocsparse_index_base_b.num_named_barrier, 0
	.set _ZN9rocsparseL29csrmvn_lrb_medium_rows_kernelILj256EllaaiiEEvbT0_PT1_S3_jNS_24const_host_device_scalarIT5_EEPKS1_PKS2_PKT2_PKT3_S6_PT4_21rocsparse_index_base_b.private_seg_size, 0
	.set _ZN9rocsparseL29csrmvn_lrb_medium_rows_kernelILj256EllaaiiEEvbT0_PT1_S3_jNS_24const_host_device_scalarIT5_EEPKS1_PKS2_PKT2_PKT3_S6_PT4_21rocsparse_index_base_b.uses_vcc, 1
	.set _ZN9rocsparseL29csrmvn_lrb_medium_rows_kernelILj256EllaaiiEEvbT0_PT1_S3_jNS_24const_host_device_scalarIT5_EEPKS1_PKS2_PKT2_PKT3_S6_PT4_21rocsparse_index_base_b.uses_flat_scratch, 0
	.set _ZN9rocsparseL29csrmvn_lrb_medium_rows_kernelILj256EllaaiiEEvbT0_PT1_S3_jNS_24const_host_device_scalarIT5_EEPKS1_PKS2_PKT2_PKT3_S6_PT4_21rocsparse_index_base_b.has_dyn_sized_stack, 0
	.set _ZN9rocsparseL29csrmvn_lrb_medium_rows_kernelILj256EllaaiiEEvbT0_PT1_S3_jNS_24const_host_device_scalarIT5_EEPKS1_PKS2_PKT2_PKT3_S6_PT4_21rocsparse_index_base_b.has_recursion, 0
	.set _ZN9rocsparseL29csrmvn_lrb_medium_rows_kernelILj256EllaaiiEEvbT0_PT1_S3_jNS_24const_host_device_scalarIT5_EEPKS1_PKS2_PKT2_PKT3_S6_PT4_21rocsparse_index_base_b.has_indirect_call, 0
	.section	.AMDGPU.csdata,"",@progbits
; Kernel info:
; codeLenInByte = 1132
; TotalNumSgprs: 19
; NumVgprs: 10
; ScratchSize: 0
; MemoryBound: 0
; FloatMode: 240
; IeeeMode: 1
; LDSByteSize: 1024 bytes/workgroup (compile time only)
; SGPRBlocks: 0
; VGPRBlocks: 0
; NumSGPRsForWavesPerEU: 19
; NumVGPRsForWavesPerEU: 10
; NamedBarCnt: 0
; Occupancy: 16
; WaveLimiterHint : 1
; COMPUTE_PGM_RSRC2:SCRATCH_EN: 0
; COMPUTE_PGM_RSRC2:USER_SGPR: 2
; COMPUTE_PGM_RSRC2:TRAP_HANDLER: 0
; COMPUTE_PGM_RSRC2:TGID_X_EN: 1
; COMPUTE_PGM_RSRC2:TGID_Y_EN: 0
; COMPUTE_PGM_RSRC2:TGID_Z_EN: 0
; COMPUTE_PGM_RSRC2:TIDIG_COMP_CNT: 0
	.section	.text._ZN9rocsparseL27csrmvn_lrb_long_rows_kernelIllaaiiEEvbT_PjPT0_S4_jNS_24const_host_device_scalarIT4_EEPKS1_PKS3_PKT1_PKT2_S7_PT3_21rocsparse_index_base_b,"axG",@progbits,_ZN9rocsparseL27csrmvn_lrb_long_rows_kernelIllaaiiEEvbT_PjPT0_S4_jNS_24const_host_device_scalarIT4_EEPKS1_PKS3_PKT1_PKT2_S7_PT3_21rocsparse_index_base_b,comdat
	.globl	_ZN9rocsparseL27csrmvn_lrb_long_rows_kernelIllaaiiEEvbT_PjPT0_S4_jNS_24const_host_device_scalarIT4_EEPKS1_PKS3_PKT1_PKT2_S7_PT3_21rocsparse_index_base_b ; -- Begin function _ZN9rocsparseL27csrmvn_lrb_long_rows_kernelIllaaiiEEvbT_PjPT0_S4_jNS_24const_host_device_scalarIT4_EEPKS1_PKS3_PKT1_PKT2_S7_PT3_21rocsparse_index_base_b
	.p2align	8
	.type	_ZN9rocsparseL27csrmvn_lrb_long_rows_kernelIllaaiiEEvbT_PjPT0_S4_jNS_24const_host_device_scalarIT4_EEPKS1_PKS3_PKT1_PKT2_S7_PT3_21rocsparse_index_base_b,@function
_ZN9rocsparseL27csrmvn_lrb_long_rows_kernelIllaaiiEEvbT_PjPT0_S4_jNS_24const_host_device_scalarIT4_EEPKS1_PKS3_PKT1_PKT2_S7_PT3_21rocsparse_index_base_b: ; @_ZN9rocsparseL27csrmvn_lrb_long_rows_kernelIllaaiiEEvbT_PjPT0_S4_jNS_24const_host_device_scalarIT4_EEPKS1_PKS3_PKT1_PKT2_S7_PT3_21rocsparse_index_base_b
; %bb.0:
	s_clause 0x1
	s_load_b64 s[18:19], s[0:1], 0x68
	s_load_b64 s[4:5], s[0:1], 0x30
	s_mov_b32 s7, -1
                                        ; implicit-def: $sgpr23
	s_wait_kmcnt 0x0
	s_bitcmp1_b32 s19, 0
	s_cselect_b32 s2, -1, 0
	s_delay_alu instid0(SALU_CYCLE_1) | instskip(NEXT) | instid1(SALU_CYCLE_1)
	s_xor_b32 s6, s2, -1
	s_and_b32 vcc_lo, exec_lo, s6
	s_cbranch_vccnz .LBB97_4
; %bb.1:
	s_load_b64 s[2:3], s[0:1], 0x58
	s_and_not1_b32 vcc_lo, exec_lo, s7
	s_cbranch_vccz .LBB97_5
.LBB97_2:
	s_and_b32 vcc_lo, exec_lo, s6
	s_cbranch_vccz .LBB97_6
.LBB97_3:
	s_wait_kmcnt 0x0
	s_load_b32 s19, s[2:3], 0x0
	s_wait_xcnt 0x0
	s_cbranch_execz .LBB97_7
	s_branch .LBB97_8
.LBB97_4:
	s_load_b32 s23, s[4:5], 0x0
	s_load_b64 s[2:3], s[0:1], 0x58
	s_cbranch_execnz .LBB97_2
.LBB97_5:
	s_wait_kmcnt 0x0
	s_mov_b32 s23, s4
	s_and_b32 vcc_lo, exec_lo, s6
	s_cbranch_vccnz .LBB97_3
.LBB97_6:
	s_wait_kmcnt 0x0
                                        ; implicit-def: $sgpr19
.LBB97_7:
	s_wait_kmcnt 0x0
	s_mov_b32 s19, s2
.LBB97_8:
	s_cmp_lg_u32 s23, 0
	s_cselect_b32 s2, -1, 0
	s_wait_kmcnt 0x0
	s_cmp_lg_u32 s19, 1
	s_cselect_b32 s3, -1, 0
	s_delay_alu instid0(SALU_CYCLE_1)
	s_or_b32 s2, s2, s3
	s_mov_b32 s3, 0
	s_and_not1_b32 vcc_lo, exec_lo, s2
	s_cbranch_vccnz .LBB97_42
; %bb.9:
	s_clause 0x1
	s_load_b96 s[8:10], s[0:1], 0x20
	s_load_b128 s[4:7], s[0:1], 0x10
	s_bfe_u32 s13, ttmp6, 0x4000c
	s_and_b32 s12, ttmp6, 15
	s_add_co_i32 s13, s13, 1
	s_getreg_b32 s14, hwreg(HW_REG_IB_STS2, 6, 4)
	s_mul_i32 s13, ttmp9, s13
	v_mov_b32_e32 v8, 0
	s_add_co_i32 s12, s12, s13
	s_wait_kmcnt 0x0
	s_lshl_b32 s2, -1, s10
	s_load_b64 s[8:9], s[8:9], s10 offset:0x0 scale_offset
	s_not_b32 s2, s2
	s_delay_alu instid0(SALU_CYCLE_1) | instskip(NEXT) | instid1(SALU_CYCLE_1)
	s_mul_hi_u32 s2, s2, 0x2aaaaaab
	s_lshr_b32 s2, s2, 7
	s_delay_alu instid0(SALU_CYCLE_1) | instskip(SKIP_2) | instid1(SALU_CYCLE_3)
	s_add_co_i32 s24, s2, 1
	s_not_b32 s2, s2
	s_cvt_f32_u32 s11, s24
	v_rcp_iflag_f32_e32 v1, s11
	v_nop
	s_delay_alu instid0(TRANS32_DEP_1) | instskip(SKIP_1) | instid1(SALU_CYCLE_3)
	v_readfirstlane_b32 s11, v1
	s_mul_f32 s11, s11, 0x4f7ffffe
	s_cvt_u32_f32 s11, s11
	s_delay_alu instid0(SALU_CYCLE_3) | instskip(NEXT) | instid1(SALU_CYCLE_1)
	s_mul_i32 s2, s2, s11
	s_mul_hi_u32 s2, s11, s2
	s_delay_alu instid0(SALU_CYCLE_1) | instskip(SKIP_2) | instid1(SALU_CYCLE_1)
	s_add_co_i32 s11, s11, s2
	s_cmp_eq_u32 s14, 0
	s_cselect_b32 s16, ttmp9, s12
	s_mul_hi_u32 s2, s16, s11
	s_wait_xcnt 0x0
	s_mul_i32 s10, s2, s24
	s_add_co_i32 s11, s2, 1
	s_sub_co_i32 s10, s16, s10
	s_delay_alu instid0(SALU_CYCLE_1)
	s_sub_co_i32 s12, s10, s24
	s_cmp_ge_u32 s10, s24
	s_cselect_b32 s2, s11, s2
	s_cselect_b32 s10, s12, s10
	s_add_co_i32 s11, s2, 1
	s_cmp_ge_u32 s10, s24
	s_cselect_b32 s2, s11, s2
	s_wait_kmcnt 0x0
	s_lshl_b64 s[8:9], s[8:9], 3
	s_ashr_i32 s17, s16, 31
	s_add_nc_u64 s[8:9], s[6:7], s[8:9]
	s_load_b64 s[6:7], s[8:9], s2 offset:0x0 scale_offset
	s_clause 0x1
	s_load_b64 s[10:11], s[0:1], 0x38
	s_load_b64 s[12:13], s[0:1], 0x60
	s_lshl_b64 s[14:15], s[16:17], 2
	s_wait_xcnt 0x0
	s_mul_i32 s2, s2, s24
	s_add_nc_u64 s[14:15], s[4:5], s[14:15]
	s_sub_co_i32 s2, s16, s2
	s_delay_alu instid0(SALU_CYCLE_1) | instskip(SKIP_1) | instid1(VALU_DEP_1)
	v_or_b32_e32 v1, s2, v0
	s_sub_nc_u64 s[16:17], s[16:17], s[2:3]
	v_cmp_eq_u32_e32 vcc_lo, 0, v1
	v_mov_b32_e32 v1, 0
	s_wait_kmcnt 0x0
	s_lshl_b64 s[8:9], s[6:7], 3
	s_delay_alu instid0(SALU_CYCLE_1)
	s_add_nc_u64 s[20:21], s[10:11], s[8:9]
	s_load_b128 s[8:11], s[20:21], 0x0
	s_load_b32 s22, s[14:15], 0x0
	s_wait_xcnt 0x0
	s_and_saveexec_b32 s20, vcc_lo
	s_cbranch_execz .LBB97_13
; %bb.10:
	s_lshl_b64 s[24:25], s[6:7], 2
	s_mov_b32 s21, exec_lo
	s_add_nc_u64 s[24:25], s[12:13], s[24:25]
	v_mbcnt_lo_u32_b32 v2, s21, 0
	s_load_b32 s24, s[24:25], 0x0
	s_add_co_i32 s19, s19, -1
	global_wb scope:SCOPE_DEV
	s_wait_storecnt 0x0
	global_inv scope:SCOPE_DEV
	s_wait_kmcnt 0x0
	s_mul_i32 s19, s24, s19
	s_mov_b32 s24, exec_lo
	v_cmpx_eq_u32_e32 0, v2
	s_cbranch_execz .LBB97_12
; %bb.11:
	s_bcnt1_i32_b32 s21, s21
	s_lshl_b64 s[26:27], s[16:17], 2
	s_and_b32 s21, s21, 1
	s_delay_alu instid0(SALU_CYCLE_1)
	v_dual_mov_b32 v2, 0 :: v_dual_mov_b32 v3, s21
	s_add_nc_u64 s[26:27], s[4:5], s[26:27]
	global_atomic_xor_b32 v2, v3, s[26:27] scope:SCOPE_DEV
.LBB97_12:
	s_wait_xcnt 0x0
	s_or_b32 exec_lo, exec_lo, s24
	v_mov_b32_e32 v8, s19
.LBB97_13:
	s_or_b32 exec_lo, exec_lo, s20
	s_mov_b32 s19, 0
	s_mul_u64 s[20:21], s[2:3], 0x300
	s_wait_kmcnt 0x0
	s_sub_nc_u64 s[8:9], s[8:9], s[18:19]
	s_sub_nc_u64 s[10:11], s[10:11], s[18:19]
	s_add_nc_u64 s[8:9], s[8:9], s[20:21]
	s_mov_b32 s3, exec_lo
	s_add_nc_u64 s[20:21], s[8:9], 0x300
	v_add_nc_u64_e32 v[4:5], s[8:9], v[0:1]
	v_min_i64 v[2:3], s[20:21], s[10:11]
	s_delay_alu instid0(VALU_DEP_1)
	v_cmpx_lt_i64_e64 v[4:5], v[2:3]
	s_cbranch_execz .LBB97_17
; %bb.14:
	s_clause 0x1
	s_load_b128 s[8:11], s[0:1], 0x40
	s_load_b64 s[20:21], s[0:1], 0x50
	s_wait_xcnt 0x0
	s_mov_b32 s0, s19
	s_wait_kmcnt 0x0
	v_lshl_add_u64 v[6:7], v[4:5], 3, s[8:9]
.LBB97_15:                              ; =>This Inner Loop Header: Depth=1
	global_load_b64 v[10:11], v[6:7], off
	v_add_nc_u64_e32 v[12:13], s[10:11], v[4:5]
	v_add_nc_u64_e32 v[4:5], 0x100, v[4:5]
	s_wait_xcnt 0x0
	v_add_nc_u64_e32 v[6:7], 0x800, v[6:7]
	global_load_i8 v1, v[12:13], off
	v_cmp_ge_i64_e32 vcc_lo, v[4:5], v[2:3]
	s_or_b32 s0, vcc_lo, s0
	s_wait_loadcnt 0x1
	v_sub_nc_u64_e64 v[10:11], v[10:11], s[18:19]
	s_delay_alu instid0(VALU_DEP_1)
	v_add_nc_u64_e32 v[10:11], s[20:21], v[10:11]
	s_wait_loadcnt 0x0
	v_mul_lo_u32 v1, s23, v1
	global_load_i8 v9, v[10:11], off
	s_wait_loadcnt 0x0
	v_mad_u32 v8, v1, v9, v8
	s_wait_xcnt 0x0
	s_and_not1_b32 exec_lo, exec_lo, s0
	s_cbranch_execnz .LBB97_15
; %bb.16:
	s_or_b32 exec_lo, exec_lo, s0
.LBB97_17:
	s_delay_alu instid0(SALU_CYCLE_1)
	s_or_b32 exec_lo, exec_lo, s3
	v_lshlrev_b32_e32 v1, 2, v0
	s_mov_b32 s0, exec_lo
	ds_store_b32 v1, v8
	s_wait_storecnt 0x0
	s_wait_loadcnt_dscnt 0x0
	s_barrier_signal -1
	s_barrier_wait -1
	v_cmpx_gt_u32_e32 0x80, v0
	s_cbranch_execz .LBB97_19
; %bb.18:
	ds_load_2addr_stride64_b32 v[2:3], v1 offset1:2
	s_wait_dscnt 0x0
	v_add_nc_u32_e32 v2, v3, v2
	ds_store_b32 v1, v2
.LBB97_19:
	s_or_b32 exec_lo, exec_lo, s0
	s_delay_alu instid0(SALU_CYCLE_1)
	s_mov_b32 s0, exec_lo
	s_wait_dscnt 0x0
	s_barrier_signal -1
	s_barrier_wait -1
	v_cmpx_gt_u32_e32 64, v0
	s_cbranch_execz .LBB97_21
; %bb.20:
	ds_load_2addr_stride64_b32 v[2:3], v1 offset1:1
	s_wait_dscnt 0x0
	v_add_nc_u32_e32 v2, v3, v2
	ds_store_b32 v1, v2
.LBB97_21:
	s_or_b32 exec_lo, exec_lo, s0
	s_delay_alu instid0(SALU_CYCLE_1)
	s_mov_b32 s0, exec_lo
	s_wait_dscnt 0x0
	s_barrier_signal -1
	s_barrier_wait -1
	v_cmpx_gt_u32_e32 32, v0
	s_cbranch_execz .LBB97_23
; %bb.22:
	ds_load_2addr_b32 v[2:3], v1 offset1:32
	s_wait_dscnt 0x0
	v_add_nc_u32_e32 v2, v3, v2
	ds_store_b32 v1, v2
.LBB97_23:
	s_or_b32 exec_lo, exec_lo, s0
	s_delay_alu instid0(SALU_CYCLE_1)
	s_mov_b32 s0, exec_lo
	s_wait_dscnt 0x0
	s_barrier_signal -1
	s_barrier_wait -1
	v_cmpx_gt_u32_e32 16, v0
	s_cbranch_execz .LBB97_25
; %bb.24:
	ds_load_2addr_b32 v[2:3], v1 offset1:16
	s_wait_dscnt 0x0
	v_add_nc_u32_e32 v2, v3, v2
	ds_store_b32 v1, v2
.LBB97_25:
	;; [unrolled: 14-line block ×5, first 2 shown]
	s_or_b32 exec_lo, exec_lo, s0
	v_cmp_eq_u32_e32 vcc_lo, 0, v0
	s_wait_dscnt 0x0
	s_barrier_signal -1
	s_barrier_wait -1
	s_and_saveexec_b32 s0, vcc_lo
	s_cbranch_execz .LBB97_33
; %bb.32:
	v_mov_b32_e32 v2, 0
	ds_load_b64 v[0:1], v2
	s_wait_dscnt 0x0
	v_add_nc_u32_e32 v0, v1, v0
	ds_store_b32 v2, v0
.LBB97_33:
	s_or_b32 exec_lo, exec_lo, s0
	s_wait_dscnt 0x0
	s_barrier_signal -1
	s_barrier_wait -1
	s_and_saveexec_b32 s0, vcc_lo
	s_cbranch_execz .LBB97_42
; %bb.34:
	s_cmp_eq_u32 s2, 0
	s_cbranch_scc1 .LBB97_40
; %bb.35:
	v_mov_b32_e32 v0, 0
	s_lshl_b64 s[0:1], s[16:17], 2
	s_delay_alu instid0(SALU_CYCLE_1)
	s_add_nc_u64 s[0:1], s[4:5], s[0:1]
	s_branch .LBB97_37
.LBB97_36:                              ;   in Loop: Header=BB97_37 Depth=1
	s_wait_xcnt 0x0
	s_or_b32 exec_lo, exec_lo, s2
	s_wait_loadcnt 0x0
	v_readfirstlane_b32 s2, v1
	s_cmp_eq_u32 s2, s22
	s_cbranch_scc0 .LBB97_39
.LBB97_37:                              ; =>This Inner Loop Header: Depth=1
	v_mbcnt_lo_u32_b32 v1, exec_lo, 0
	s_delay_alu instid0(VALU_DEP_1)
	v_cmp_eq_u32_e32 vcc_lo, 0, v1
                                        ; implicit-def: $vgpr1
	s_and_saveexec_b32 s2, vcc_lo
	s_cbranch_execz .LBB97_36
; %bb.38:                               ;   in Loop: Header=BB97_37 Depth=1
	global_load_b32 v1, v0, s[0:1] scope:SCOPE_DEV
	s_branch .LBB97_36
.LBB97_39:
	v_mov_b32_e32 v0, 0
	global_load_u16 v1, v0, s[14:15]
	s_wait_loadcnt 0x0
	v_xor_b32_e32 v1, 1, v1
	global_store_b16 v0, v1, s[14:15]
.LBB97_40:
	s_mov_b32 s0, exec_lo
	s_wait_xcnt 0x0
	v_mbcnt_lo_u32_b32 v0, s0, 0
	s_delay_alu instid0(VALU_DEP_1) | instskip(SKIP_1) | instid1(SALU_CYCLE_1)
	v_cmp_eq_u32_e32 vcc_lo, 0, v0
	s_and_b32 s1, exec_lo, vcc_lo
	s_mov_b32 exec_lo, s1
	s_cbranch_execz .LBB97_42
; %bb.41:
	v_mov_b32_e32 v0, 0
	s_bcnt1_i32_b32 s0, s0
	ds_load_b32 v1, v0
	s_wait_dscnt 0x0
	v_mul_lo_u32 v1, v1, s0
	s_lshl_b64 s[0:1], s[6:7], 2
	s_delay_alu instid0(SALU_CYCLE_1)
	s_add_nc_u64 s[0:1], s[12:13], s[0:1]
	global_atomic_add_u32 v0, v1, s[0:1] scope:SCOPE_DEV
.LBB97_42:
	s_endpgm
	.section	.rodata,"a",@progbits
	.p2align	6, 0x0
	.amdhsa_kernel _ZN9rocsparseL27csrmvn_lrb_long_rows_kernelIllaaiiEEvbT_PjPT0_S4_jNS_24const_host_device_scalarIT4_EEPKS1_PKS3_PKT1_PKT2_S7_PT3_21rocsparse_index_base_b
		.amdhsa_group_segment_fixed_size 1024
		.amdhsa_private_segment_fixed_size 0
		.amdhsa_kernarg_size 112
		.amdhsa_user_sgpr_count 2
		.amdhsa_user_sgpr_dispatch_ptr 0
		.amdhsa_user_sgpr_queue_ptr 0
		.amdhsa_user_sgpr_kernarg_segment_ptr 1
		.amdhsa_user_sgpr_dispatch_id 0
		.amdhsa_user_sgpr_kernarg_preload_length 0
		.amdhsa_user_sgpr_kernarg_preload_offset 0
		.amdhsa_user_sgpr_private_segment_size 0
		.amdhsa_wavefront_size32 1
		.amdhsa_uses_dynamic_stack 0
		.amdhsa_enable_private_segment 0
		.amdhsa_system_sgpr_workgroup_id_x 1
		.amdhsa_system_sgpr_workgroup_id_y 0
		.amdhsa_system_sgpr_workgroup_id_z 0
		.amdhsa_system_sgpr_workgroup_info 0
		.amdhsa_system_vgpr_workitem_id 0
		.amdhsa_next_free_vgpr 14
		.amdhsa_next_free_sgpr 28
		.amdhsa_named_barrier_count 0
		.amdhsa_reserve_vcc 1
		.amdhsa_float_round_mode_32 0
		.amdhsa_float_round_mode_16_64 0
		.amdhsa_float_denorm_mode_32 3
		.amdhsa_float_denorm_mode_16_64 3
		.amdhsa_fp16_overflow 0
		.amdhsa_memory_ordered 1
		.amdhsa_forward_progress 1
		.amdhsa_inst_pref_size 13
		.amdhsa_round_robin_scheduling 0
		.amdhsa_exception_fp_ieee_invalid_op 0
		.amdhsa_exception_fp_denorm_src 0
		.amdhsa_exception_fp_ieee_div_zero 0
		.amdhsa_exception_fp_ieee_overflow 0
		.amdhsa_exception_fp_ieee_underflow 0
		.amdhsa_exception_fp_ieee_inexact 0
		.amdhsa_exception_int_div_zero 0
	.end_amdhsa_kernel
	.section	.text._ZN9rocsparseL27csrmvn_lrb_long_rows_kernelIllaaiiEEvbT_PjPT0_S4_jNS_24const_host_device_scalarIT4_EEPKS1_PKS3_PKT1_PKT2_S7_PT3_21rocsparse_index_base_b,"axG",@progbits,_ZN9rocsparseL27csrmvn_lrb_long_rows_kernelIllaaiiEEvbT_PjPT0_S4_jNS_24const_host_device_scalarIT4_EEPKS1_PKS3_PKT1_PKT2_S7_PT3_21rocsparse_index_base_b,comdat
.Lfunc_end97:
	.size	_ZN9rocsparseL27csrmvn_lrb_long_rows_kernelIllaaiiEEvbT_PjPT0_S4_jNS_24const_host_device_scalarIT4_EEPKS1_PKS3_PKT1_PKT2_S7_PT3_21rocsparse_index_base_b, .Lfunc_end97-_ZN9rocsparseL27csrmvn_lrb_long_rows_kernelIllaaiiEEvbT_PjPT0_S4_jNS_24const_host_device_scalarIT4_EEPKS1_PKS3_PKT1_PKT2_S7_PT3_21rocsparse_index_base_b
                                        ; -- End function
	.set _ZN9rocsparseL27csrmvn_lrb_long_rows_kernelIllaaiiEEvbT_PjPT0_S4_jNS_24const_host_device_scalarIT4_EEPKS1_PKS3_PKT1_PKT2_S7_PT3_21rocsparse_index_base_b.num_vgpr, 14
	.set _ZN9rocsparseL27csrmvn_lrb_long_rows_kernelIllaaiiEEvbT_PjPT0_S4_jNS_24const_host_device_scalarIT4_EEPKS1_PKS3_PKT1_PKT2_S7_PT3_21rocsparse_index_base_b.num_agpr, 0
	.set _ZN9rocsparseL27csrmvn_lrb_long_rows_kernelIllaaiiEEvbT_PjPT0_S4_jNS_24const_host_device_scalarIT4_EEPKS1_PKS3_PKT1_PKT2_S7_PT3_21rocsparse_index_base_b.numbered_sgpr, 28
	.set _ZN9rocsparseL27csrmvn_lrb_long_rows_kernelIllaaiiEEvbT_PjPT0_S4_jNS_24const_host_device_scalarIT4_EEPKS1_PKS3_PKT1_PKT2_S7_PT3_21rocsparse_index_base_b.num_named_barrier, 0
	.set _ZN9rocsparseL27csrmvn_lrb_long_rows_kernelIllaaiiEEvbT_PjPT0_S4_jNS_24const_host_device_scalarIT4_EEPKS1_PKS3_PKT1_PKT2_S7_PT3_21rocsparse_index_base_b.private_seg_size, 0
	.set _ZN9rocsparseL27csrmvn_lrb_long_rows_kernelIllaaiiEEvbT_PjPT0_S4_jNS_24const_host_device_scalarIT4_EEPKS1_PKS3_PKT1_PKT2_S7_PT3_21rocsparse_index_base_b.uses_vcc, 1
	.set _ZN9rocsparseL27csrmvn_lrb_long_rows_kernelIllaaiiEEvbT_PjPT0_S4_jNS_24const_host_device_scalarIT4_EEPKS1_PKS3_PKT1_PKT2_S7_PT3_21rocsparse_index_base_b.uses_flat_scratch, 0
	.set _ZN9rocsparseL27csrmvn_lrb_long_rows_kernelIllaaiiEEvbT_PjPT0_S4_jNS_24const_host_device_scalarIT4_EEPKS1_PKS3_PKT1_PKT2_S7_PT3_21rocsparse_index_base_b.has_dyn_sized_stack, 0
	.set _ZN9rocsparseL27csrmvn_lrb_long_rows_kernelIllaaiiEEvbT_PjPT0_S4_jNS_24const_host_device_scalarIT4_EEPKS1_PKS3_PKT1_PKT2_S7_PT3_21rocsparse_index_base_b.has_recursion, 0
	.set _ZN9rocsparseL27csrmvn_lrb_long_rows_kernelIllaaiiEEvbT_PjPT0_S4_jNS_24const_host_device_scalarIT4_EEPKS1_PKS3_PKT1_PKT2_S7_PT3_21rocsparse_index_base_b.has_indirect_call, 0
	.section	.AMDGPU.csdata,"",@progbits
; Kernel info:
; codeLenInByte = 1612
; TotalNumSgprs: 30
; NumVgprs: 14
; ScratchSize: 0
; MemoryBound: 0
; FloatMode: 240
; IeeeMode: 1
; LDSByteSize: 1024 bytes/workgroup (compile time only)
; SGPRBlocks: 0
; VGPRBlocks: 0
; NumSGPRsForWavesPerEU: 30
; NumVGPRsForWavesPerEU: 14
; NamedBarCnt: 0
; Occupancy: 16
; WaveLimiterHint : 1
; COMPUTE_PGM_RSRC2:SCRATCH_EN: 0
; COMPUTE_PGM_RSRC2:USER_SGPR: 2
; COMPUTE_PGM_RSRC2:TRAP_HANDLER: 0
; COMPUTE_PGM_RSRC2:TGID_X_EN: 1
; COMPUTE_PGM_RSRC2:TGID_Y_EN: 0
; COMPUTE_PGM_RSRC2:TGID_Z_EN: 0
; COMPUTE_PGM_RSRC2:TIDIG_COMP_CNT: 0
	.section	.text._ZN9rocsparseL28csrmvn_lrb_short_rows_kernelIiiaaffEEvbT_PT0_S3_jNS_24const_host_device_scalarIT4_EEPKS1_PKS2_PKT1_PKT2_S6_PT3_21rocsparse_index_base_b,"axG",@progbits,_ZN9rocsparseL28csrmvn_lrb_short_rows_kernelIiiaaffEEvbT_PT0_S3_jNS_24const_host_device_scalarIT4_EEPKS1_PKS2_PKT1_PKT2_S6_PT3_21rocsparse_index_base_b,comdat
	.globl	_ZN9rocsparseL28csrmvn_lrb_short_rows_kernelIiiaaffEEvbT_PT0_S3_jNS_24const_host_device_scalarIT4_EEPKS1_PKS2_PKT1_PKT2_S6_PT3_21rocsparse_index_base_b ; -- Begin function _ZN9rocsparseL28csrmvn_lrb_short_rows_kernelIiiaaffEEvbT_PT0_S3_jNS_24const_host_device_scalarIT4_EEPKS1_PKS2_PKT1_PKT2_S6_PT3_21rocsparse_index_base_b
	.p2align	8
	.type	_ZN9rocsparseL28csrmvn_lrb_short_rows_kernelIiiaaffEEvbT_PT0_S3_jNS_24const_host_device_scalarIT4_EEPKS1_PKS2_PKT1_PKT2_S6_PT3_21rocsparse_index_base_b,@function
_ZN9rocsparseL28csrmvn_lrb_short_rows_kernelIiiaaffEEvbT_PT0_S3_jNS_24const_host_device_scalarIT4_EEPKS1_PKS2_PKT1_PKT2_S6_PT3_21rocsparse_index_base_b: ; @_ZN9rocsparseL28csrmvn_lrb_short_rows_kernelIiiaaffEEvbT_PT0_S3_jNS_24const_host_device_scalarIT4_EEPKS1_PKS2_PKT1_PKT2_S6_PT3_21rocsparse_index_base_b
; %bb.0:
	s_clause 0x2
	s_load_b64 s[16:17], s[0:1], 0x58
	s_load_b64 s[18:19], s[0:1], 0x20
	;; [unrolled: 1-line block ×3, first 2 shown]
	s_wait_kmcnt 0x0
	s_bitcmp1_b32 s17, 0
	s_cselect_b32 s4, -1, 0
	s_delay_alu instid0(SALU_CYCLE_1)
	s_and_b32 vcc_lo, exec_lo, s4
	s_xor_b32 s4, s4, -1
	s_cbranch_vccnz .LBB98_2
; %bb.1:
	s_load_b32 s18, s[18:19], 0x0
.LBB98_2:
	s_and_not1_b32 vcc_lo, exec_lo, s4
	s_cbranch_vccnz .LBB98_4
; %bb.3:
	s_load_b32 s2, s[2:3], 0x0
.LBB98_4:
	s_wait_kmcnt 0x0
	s_cmp_neq_f32 s18, 0
	s_cselect_b32 s3, -1, 0
	s_cmp_neq_f32 s2, 1.0
	s_cselect_b32 s4, -1, 0
	s_delay_alu instid0(SALU_CYCLE_1) | instskip(NEXT) | instid1(SALU_CYCLE_1)
	s_or_b32 s3, s3, s4
	s_and_not1_b32 vcc_lo, exec_lo, s3
	s_cbranch_vccnz .LBB98_18
; %bb.5:
	s_clause 0x1
	s_load_b32 s3, s[0:1], 0x18
	s_load_b128 s[12:15], s[0:1], 0x8
	s_and_b32 s6, ttmp6, 15
	s_getreg_b32 s7, hwreg(HW_REG_IB_STS2, 6, 4)
	s_wait_kmcnt 0x0
	s_add_co_i32 s4, s3, 1
	s_clause 0x1
	s_load_b32 s17, s[14:15], s3 offset:0x0 scale_offset
	s_load_b32 s5, s[14:15], s4 offset:0x0 scale_offset
	s_wait_xcnt 0x0
	s_bfe_u32 s4, ttmp6, 0x4000c
	s_delay_alu instid0(SALU_CYCLE_1) | instskip(NEXT) | instid1(SALU_CYCLE_1)
	s_add_co_i32 s4, s4, 1
	s_mul_i32 s4, ttmp9, s4
	s_delay_alu instid0(SALU_CYCLE_1) | instskip(SKIP_4) | instid1(SALU_CYCLE_1)
	s_add_co_i32 s6, s6, s4
	s_wait_kmcnt 0x0
	s_sub_co_i32 s5, s5, s17
	s_cmp_eq_u32 s7, 0
	s_cselect_b32 s4, ttmp9, s6
	s_lshl_b32 s14, s4, 8
	s_delay_alu instid0(SALU_CYCLE_1) | instskip(NEXT) | instid1(SALU_CYCLE_1)
	s_add_co_i32 s4, s14, 0x100
	s_min_u32 s15, s5, s4
	s_cmp_gt_u32 s3, 23
	s_cbranch_scc1 .LBB98_12
; %bb.6:
	s_load_b256 s[4:11], s[0:1], 0x28
	v_bfe_u32 v1, v0, 0, s3
	v_lshl_add_u32 v5, v0, 2, 0
	s_lshl_b32 s19, 0x100, s3
	s_mov_b32 s20, 0
	s_delay_alu instid0(VALU_DEP_2)
	v_subrev_nc_u32_e32 v4, s16, v1
	s_branch .LBB98_9
.LBB98_7:                               ;   in Loop: Header=BB98_9 Depth=1
	s_or_b32 exec_lo, exec_lo, s22
	ds_store_b32 v5, v3
.LBB98_8:                               ;   in Loop: Header=BB98_9 Depth=1
	s_or_b32 exec_lo, exec_lo, s21
	v_add_nc_u32_e32 v5, 0x400, v5
	s_addk_co_i32 s20, 0x100
	s_delay_alu instid0(SALU_CYCLE_1)
	s_cmp_ge_u32 s20, s19
	s_cbranch_scc1 .LBB98_12
.LBB98_9:                               ; =>This Inner Loop Header: Depth=1
	v_add_nc_u32_e32 v2, s20, v0
	s_mov_b32 s21, exec_lo
	s_delay_alu instid0(VALU_DEP_1) | instskip(NEXT) | instid1(VALU_DEP_1)
	v_lshrrev_b32_e32 v2, s3, v2
	v_add_nc_u32_e32 v2, s14, v2
	s_delay_alu instid0(VALU_DEP_1)
	v_cmpx_gt_u32_e64 s15, v2
	s_cbranch_execz .LBB98_8
; %bb.10:                               ;   in Loop: Header=BB98_9 Depth=1
	v_add_nc_u32_e32 v2, s17, v2
	global_load_b32 v2, v2, s[12:13] scale_offset
	s_wait_loadcnt 0x0
	v_ashrrev_i32_e32 v3, 31, v2
	s_wait_kmcnt 0x0
	s_wait_xcnt 0x0
	s_delay_alu instid0(VALU_DEP_1) | instskip(SKIP_4) | instid1(VALU_DEP_1)
	v_lshl_add_u64 v[2:3], v[2:3], 2, s[4:5]
	global_load_b64 v[2:3], v[2:3], off
	s_wait_loadcnt 0x0
	s_wait_xcnt 0x0
	v_sub_nc_u32_e32 v3, v3, v2
	v_cmp_lt_u32_e32 vcc_lo, v1, v3
	v_mov_b32_e32 v3, 0
	s_and_saveexec_b32 s22, vcc_lo
	s_cbranch_execz .LBB98_7
; %bb.11:                               ;   in Loop: Header=BB98_9 Depth=1
	v_add_nc_u32_e32 v2, v4, v2
	s_clause 0x1
	global_load_b32 v3, v2, s[6:7] scale_offset
	global_load_i8 v6, v2, s[8:9]
	s_wait_loadcnt 0x1
	s_wait_xcnt 0x0
	v_subrev_nc_u32_e32 v2, s16, v3
	s_wait_loadcnt 0x0
	v_cvt_f32_i32_e32 v3, v6
	global_load_i8 v2, v2, s[10:11]
	v_mul_f32_e32 v3, s18, v3
	s_wait_loadcnt 0x0
	s_wait_xcnt 0x0
	v_cvt_f32_i32_e32 v2, v2
	s_delay_alu instid0(VALU_DEP_1)
	v_mul_f32_e32 v3, v3, v2
	s_branch .LBB98_7
.LBB98_12:
	s_wait_kmcnt 0x0
	s_sub_co_i32 s4, s15, s14
	s_wait_dscnt 0x0
	v_cmp_gt_u32_e32 vcc_lo, s4, v0
	s_barrier_signal -1
	s_barrier_wait -1
	s_and_saveexec_b32 s4, vcc_lo
	s_cbranch_execz .LBB98_18
; %bb.13:
	v_add3_u32 v1, s17, s14, v0
	s_load_b64 s[0:1], s[0:1], 0x50
	v_dual_lshlrev_b32 v0, s3, v0 :: v_dual_mov_b32 v4, 0
	s_mov_b32 s4, 1
	global_load_b32 v2, v1, s[12:13] scale_offset
	v_lshl_add_u32 v0, v0, 2, 0
.LBB98_14:                              ; =>This Inner Loop Header: Depth=1
	s_wait_xcnt 0x0
	ds_load_b32 v1, v0
	v_add_nc_u32_e32 v0, 4, v0
	s_lshr_b32 s5, s4, s3
	s_add_co_i32 s4, s4, 1
	s_cmp_lg_u32 s5, 0
	s_wait_dscnt 0x0
	v_add_f32_e32 v4, v4, v1
	s_cbranch_scc0 .LBB98_14
; %bb.15:
	s_wait_loadcnt 0x0
	v_ashrrev_i32_e32 v3, 31, v2
	s_cmp_neq_f32 s2, 0
	s_wait_kmcnt 0x0
	s_delay_alu instid0(VALU_DEP_1)
	v_lshl_add_u64 v[0:1], v[2:3], 2, s[0:1]
	s_cbranch_scc0 .LBB98_17
; %bb.16:
	global_load_b32 v2, v[0:1], off
	s_wait_loadcnt 0x0
	v_fmac_f32_e32 v4, s2, v2
.LBB98_17:
	global_store_b32 v[0:1], v4, off
.LBB98_18:
	s_endpgm
	.section	.rodata,"a",@progbits
	.p2align	6, 0x0
	.amdhsa_kernel _ZN9rocsparseL28csrmvn_lrb_short_rows_kernelIiiaaffEEvbT_PT0_S3_jNS_24const_host_device_scalarIT4_EEPKS1_PKS2_PKT1_PKT2_S6_PT3_21rocsparse_index_base_b
		.amdhsa_group_segment_fixed_size 0
		.amdhsa_private_segment_fixed_size 0
		.amdhsa_kernarg_size 96
		.amdhsa_user_sgpr_count 2
		.amdhsa_user_sgpr_dispatch_ptr 0
		.amdhsa_user_sgpr_queue_ptr 0
		.amdhsa_user_sgpr_kernarg_segment_ptr 1
		.amdhsa_user_sgpr_dispatch_id 0
		.amdhsa_user_sgpr_kernarg_preload_length 0
		.amdhsa_user_sgpr_kernarg_preload_offset 0
		.amdhsa_user_sgpr_private_segment_size 0
		.amdhsa_wavefront_size32 1
		.amdhsa_uses_dynamic_stack 0
		.amdhsa_enable_private_segment 0
		.amdhsa_system_sgpr_workgroup_id_x 1
		.amdhsa_system_sgpr_workgroup_id_y 0
		.amdhsa_system_sgpr_workgroup_id_z 0
		.amdhsa_system_sgpr_workgroup_info 0
		.amdhsa_system_vgpr_workitem_id 0
		.amdhsa_next_free_vgpr 7
		.amdhsa_next_free_sgpr 23
		.amdhsa_named_barrier_count 0
		.amdhsa_reserve_vcc 1
		.amdhsa_float_round_mode_32 0
		.amdhsa_float_round_mode_16_64 0
		.amdhsa_float_denorm_mode_32 3
		.amdhsa_float_denorm_mode_16_64 3
		.amdhsa_fp16_overflow 0
		.amdhsa_memory_ordered 1
		.amdhsa_forward_progress 1
		.amdhsa_inst_pref_size 6
		.amdhsa_round_robin_scheduling 0
		.amdhsa_exception_fp_ieee_invalid_op 0
		.amdhsa_exception_fp_denorm_src 0
		.amdhsa_exception_fp_ieee_div_zero 0
		.amdhsa_exception_fp_ieee_overflow 0
		.amdhsa_exception_fp_ieee_underflow 0
		.amdhsa_exception_fp_ieee_inexact 0
		.amdhsa_exception_int_div_zero 0
	.end_amdhsa_kernel
	.section	.text._ZN9rocsparseL28csrmvn_lrb_short_rows_kernelIiiaaffEEvbT_PT0_S3_jNS_24const_host_device_scalarIT4_EEPKS1_PKS2_PKT1_PKT2_S6_PT3_21rocsparse_index_base_b,"axG",@progbits,_ZN9rocsparseL28csrmvn_lrb_short_rows_kernelIiiaaffEEvbT_PT0_S3_jNS_24const_host_device_scalarIT4_EEPKS1_PKS2_PKT1_PKT2_S6_PT3_21rocsparse_index_base_b,comdat
.Lfunc_end98:
	.size	_ZN9rocsparseL28csrmvn_lrb_short_rows_kernelIiiaaffEEvbT_PT0_S3_jNS_24const_host_device_scalarIT4_EEPKS1_PKS2_PKT1_PKT2_S6_PT3_21rocsparse_index_base_b, .Lfunc_end98-_ZN9rocsparseL28csrmvn_lrb_short_rows_kernelIiiaaffEEvbT_PT0_S3_jNS_24const_host_device_scalarIT4_EEPKS1_PKS2_PKT1_PKT2_S6_PT3_21rocsparse_index_base_b
                                        ; -- End function
	.set _ZN9rocsparseL28csrmvn_lrb_short_rows_kernelIiiaaffEEvbT_PT0_S3_jNS_24const_host_device_scalarIT4_EEPKS1_PKS2_PKT1_PKT2_S6_PT3_21rocsparse_index_base_b.num_vgpr, 7
	.set _ZN9rocsparseL28csrmvn_lrb_short_rows_kernelIiiaaffEEvbT_PT0_S3_jNS_24const_host_device_scalarIT4_EEPKS1_PKS2_PKT1_PKT2_S6_PT3_21rocsparse_index_base_b.num_agpr, 0
	.set _ZN9rocsparseL28csrmvn_lrb_short_rows_kernelIiiaaffEEvbT_PT0_S3_jNS_24const_host_device_scalarIT4_EEPKS1_PKS2_PKT1_PKT2_S6_PT3_21rocsparse_index_base_b.numbered_sgpr, 23
	.set _ZN9rocsparseL28csrmvn_lrb_short_rows_kernelIiiaaffEEvbT_PT0_S3_jNS_24const_host_device_scalarIT4_EEPKS1_PKS2_PKT1_PKT2_S6_PT3_21rocsparse_index_base_b.num_named_barrier, 0
	.set _ZN9rocsparseL28csrmvn_lrb_short_rows_kernelIiiaaffEEvbT_PT0_S3_jNS_24const_host_device_scalarIT4_EEPKS1_PKS2_PKT1_PKT2_S6_PT3_21rocsparse_index_base_b.private_seg_size, 0
	.set _ZN9rocsparseL28csrmvn_lrb_short_rows_kernelIiiaaffEEvbT_PT0_S3_jNS_24const_host_device_scalarIT4_EEPKS1_PKS2_PKT1_PKT2_S6_PT3_21rocsparse_index_base_b.uses_vcc, 1
	.set _ZN9rocsparseL28csrmvn_lrb_short_rows_kernelIiiaaffEEvbT_PT0_S3_jNS_24const_host_device_scalarIT4_EEPKS1_PKS2_PKT1_PKT2_S6_PT3_21rocsparse_index_base_b.uses_flat_scratch, 0
	.set _ZN9rocsparseL28csrmvn_lrb_short_rows_kernelIiiaaffEEvbT_PT0_S3_jNS_24const_host_device_scalarIT4_EEPKS1_PKS2_PKT1_PKT2_S6_PT3_21rocsparse_index_base_b.has_dyn_sized_stack, 0
	.set _ZN9rocsparseL28csrmvn_lrb_short_rows_kernelIiiaaffEEvbT_PT0_S3_jNS_24const_host_device_scalarIT4_EEPKS1_PKS2_PKT1_PKT2_S6_PT3_21rocsparse_index_base_b.has_recursion, 0
	.set _ZN9rocsparseL28csrmvn_lrb_short_rows_kernelIiiaaffEEvbT_PT0_S3_jNS_24const_host_device_scalarIT4_EEPKS1_PKS2_PKT1_PKT2_S6_PT3_21rocsparse_index_base_b.has_indirect_call, 0
	.section	.AMDGPU.csdata,"",@progbits
; Kernel info:
; codeLenInByte = 740
; TotalNumSgprs: 25
; NumVgprs: 7
; ScratchSize: 0
; MemoryBound: 0
; FloatMode: 240
; IeeeMode: 1
; LDSByteSize: 0 bytes/workgroup (compile time only)
; SGPRBlocks: 0
; VGPRBlocks: 0
; NumSGPRsForWavesPerEU: 25
; NumVGPRsForWavesPerEU: 7
; NamedBarCnt: 0
; Occupancy: 16
; WaveLimiterHint : 1
; COMPUTE_PGM_RSRC2:SCRATCH_EN: 0
; COMPUTE_PGM_RSRC2:USER_SGPR: 2
; COMPUTE_PGM_RSRC2:TRAP_HANDLER: 0
; COMPUTE_PGM_RSRC2:TGID_X_EN: 1
; COMPUTE_PGM_RSRC2:TGID_Y_EN: 0
; COMPUTE_PGM_RSRC2:TGID_Z_EN: 0
; COMPUTE_PGM_RSRC2:TIDIG_COMP_CNT: 0
	.section	.text._ZN9rocsparseL30csrmvn_lrb_short_rows_2_kernelIiiaaffEEvbT_PT0_S3_jNS_24const_host_device_scalarIT4_EEPKS1_PKS2_PKT1_PKT2_S6_PT3_21rocsparse_index_base_b,"axG",@progbits,_ZN9rocsparseL30csrmvn_lrb_short_rows_2_kernelIiiaaffEEvbT_PT0_S3_jNS_24const_host_device_scalarIT4_EEPKS1_PKS2_PKT1_PKT2_S6_PT3_21rocsparse_index_base_b,comdat
	.globl	_ZN9rocsparseL30csrmvn_lrb_short_rows_2_kernelIiiaaffEEvbT_PT0_S3_jNS_24const_host_device_scalarIT4_EEPKS1_PKS2_PKT1_PKT2_S6_PT3_21rocsparse_index_base_b ; -- Begin function _ZN9rocsparseL30csrmvn_lrb_short_rows_2_kernelIiiaaffEEvbT_PT0_S3_jNS_24const_host_device_scalarIT4_EEPKS1_PKS2_PKT1_PKT2_S6_PT3_21rocsparse_index_base_b
	.p2align	8
	.type	_ZN9rocsparseL30csrmvn_lrb_short_rows_2_kernelIiiaaffEEvbT_PT0_S3_jNS_24const_host_device_scalarIT4_EEPKS1_PKS2_PKT1_PKT2_S6_PT3_21rocsparse_index_base_b,@function
_ZN9rocsparseL30csrmvn_lrb_short_rows_2_kernelIiiaaffEEvbT_PT0_S3_jNS_24const_host_device_scalarIT4_EEPKS1_PKS2_PKT1_PKT2_S6_PT3_21rocsparse_index_base_b: ; @_ZN9rocsparseL30csrmvn_lrb_short_rows_2_kernelIiiaaffEEvbT_PT0_S3_jNS_24const_host_device_scalarIT4_EEPKS1_PKS2_PKT1_PKT2_S6_PT3_21rocsparse_index_base_b
; %bb.0:
	s_clause 0x2
	s_load_b64 s[18:19], s[0:1], 0x58
	s_load_b64 s[16:17], s[0:1], 0x20
	s_load_b64 s[2:3], s[0:1], 0x48
	s_wait_kmcnt 0x0
	s_bitcmp1_b32 s19, 0
	s_cselect_b32 s4, -1, 0
	s_delay_alu instid0(SALU_CYCLE_1)
	s_and_b32 vcc_lo, exec_lo, s4
	s_xor_b32 s4, s4, -1
	s_cbranch_vccnz .LBB99_2
; %bb.1:
	s_load_b32 s16, s[16:17], 0x0
.LBB99_2:
	s_and_not1_b32 vcc_lo, exec_lo, s4
	s_cbranch_vccnz .LBB99_4
; %bb.3:
	s_load_b32 s2, s[2:3], 0x0
.LBB99_4:
	s_wait_kmcnt 0x0
	s_cmp_neq_f32 s16, 0
	s_cselect_b32 s3, -1, 0
	s_cmp_neq_f32 s2, 1.0
	s_cselect_b32 s4, -1, 0
	s_delay_alu instid0(SALU_CYCLE_1) | instskip(NEXT) | instid1(SALU_CYCLE_1)
	s_or_b32 s3, s3, s4
	s_and_not1_b32 vcc_lo, exec_lo, s3
	s_cbranch_vccnz .LBB99_30
; %bb.5:
	s_clause 0x1
	s_load_b32 s3, s[0:1], 0x18
	s_load_b128 s[12:15], s[0:1], 0x8
	s_wait_kmcnt 0x0
	s_add_co_i32 s19, s3, 1
	s_clause 0x1
	s_load_b32 s17, s[14:15], s3 offset:0x0 scale_offset
	s_load_b32 s20, s[14:15], s19 offset:0x0 scale_offset
	s_load_b256 s[4:11], s[0:1], 0x28
	s_wait_xcnt 0x0
	s_bfe_u32 s14, ttmp6, 0x4000c
	s_and_b32 s15, ttmp6, 15
	s_add_co_i32 s14, s14, 1
	s_getreg_b32 s19, hwreg(HW_REG_IB_STS2, 6, 4)
	s_mul_i32 s21, ttmp9, s14
	s_lshr_b32 s14, 0x400, s3
	s_add_co_i32 s15, s15, s21
	v_lshrrev_b32_e32 v1, s3, v0
	v_bfe_u32 v4, v0, 0, s3
	s_wait_kmcnt 0x0
	s_sub_co_i32 s20, s20, s17
	s_cmp_eq_u32 s19, 0
	s_cselect_b32 s15, ttmp9, s15
	s_delay_alu instid0(SALU_CYCLE_1) | instskip(NEXT) | instid1(SALU_CYCLE_1)
	s_mul_i32 s15, s14, s15
	v_add_nc_u32_e32 v2, s15, v1
	v_subrev_nc_u32_e32 v1, s18, v4
	s_add_co_i32 s19, s15, s14
	s_delay_alu instid0(SALU_CYCLE_1)
	s_min_u32 s19, s20, s19
	s_mov_b32 s20, exec_lo
	v_cmpx_gt_u32_e64 s19, v2
	s_cbranch_execz .LBB99_9
; %bb.6:
	v_add_nc_u32_e32 v2, s17, v2
	global_load_b32 v2, v2, s[12:13] scale_offset
	s_wait_loadcnt 0x0
	v_ashrrev_i32_e32 v3, 31, v2
	s_delay_alu instid0(VALU_DEP_1) | instskip(SKIP_3) | instid1(VALU_DEP_1)
	v_lshl_add_u64 v[2:3], v[2:3], 2, s[4:5]
	global_load_b64 v[2:3], v[2:3], off
	s_wait_loadcnt 0x0
	v_sub_nc_u32_e32 v3, v3, v2
	v_cmp_lt_u32_e32 vcc_lo, v4, v3
	v_mov_b32_e32 v3, 0
	s_and_saveexec_b32 s21, vcc_lo
	s_cbranch_execz .LBB99_8
; %bb.7:
	v_add_nc_u32_e32 v2, v2, v1
	s_clause 0x1
	global_load_b32 v3, v2, s[6:7] scale_offset
	global_load_i8 v5, v2, s[8:9]
	s_wait_loadcnt 0x1
	s_wait_xcnt 0x0
	v_subrev_nc_u32_e32 v2, s18, v3
	s_wait_loadcnt 0x0
	v_cvt_f32_i32_e32 v3, v5
	global_load_i8 v2, v2, s[10:11]
	v_mul_f32_e32 v3, s16, v3
	s_wait_loadcnt 0x0
	v_cvt_f32_i32_e32 v2, v2
	s_delay_alu instid0(VALU_DEP_1)
	v_mul_f32_e32 v3, v3, v2
.LBB99_8:
	s_or_b32 exec_lo, exec_lo, s21
	v_lshlrev_b32_e32 v2, 2, v0
	ds_store_b32 v2, v3
.LBB99_9:
	s_or_b32 exec_lo, exec_lo, s20
	s_load_b64 s[0:1], s[0:1], 0x50
	v_or_b32_e32 v2, 0x100, v0
	s_mov_b32 s20, exec_lo
	s_delay_alu instid0(VALU_DEP_1) | instskip(NEXT) | instid1(VALU_DEP_1)
	v_lshrrev_b32_e32 v2, s3, v2
	v_add_nc_u32_e32 v2, s15, v2
	s_delay_alu instid0(VALU_DEP_1)
	v_cmpx_gt_u32_e64 s19, v2
	s_cbranch_execz .LBB99_13
; %bb.10:
	v_add_nc_u32_e32 v2, s17, v2
	global_load_b32 v2, v2, s[12:13] scale_offset
	s_wait_loadcnt 0x0
	v_ashrrev_i32_e32 v3, 31, v2
	s_delay_alu instid0(VALU_DEP_1) | instskip(SKIP_3) | instid1(VALU_DEP_1)
	v_lshl_add_u64 v[2:3], v[2:3], 2, s[4:5]
	global_load_b64 v[2:3], v[2:3], off
	s_wait_loadcnt 0x0
	v_sub_nc_u32_e32 v3, v3, v2
	v_cmp_lt_u32_e32 vcc_lo, v4, v3
	v_mov_b32_e32 v3, 0
	s_and_saveexec_b32 s21, vcc_lo
	s_cbranch_execz .LBB99_12
; %bb.11:
	v_add_nc_u32_e32 v2, v2, v1
	s_clause 0x1
	global_load_b32 v3, v2, s[6:7] scale_offset
	global_load_i8 v5, v2, s[8:9]
	s_wait_loadcnt 0x1
	s_wait_xcnt 0x0
	v_subrev_nc_u32_e32 v2, s18, v3
	s_wait_loadcnt 0x0
	v_cvt_f32_i32_e32 v3, v5
	global_load_i8 v2, v2, s[10:11]
	v_mul_f32_e32 v3, s16, v3
	s_wait_loadcnt 0x0
	v_cvt_f32_i32_e32 v2, v2
	s_delay_alu instid0(VALU_DEP_1)
	v_mul_f32_e32 v3, v3, v2
.LBB99_12:
	s_or_b32 exec_lo, exec_lo, s21
	v_lshlrev_b32_e32 v2, 2, v0
	ds_store_b32 v2, v3 offset:1024
.LBB99_13:
	s_or_b32 exec_lo, exec_lo, s20
	v_or_b32_e32 v2, 0x200, v0
	s_mov_b32 s20, exec_lo
	s_delay_alu instid0(VALU_DEP_1) | instskip(NEXT) | instid1(VALU_DEP_1)
	v_lshrrev_b32_e32 v2, s3, v2
	v_add_nc_u32_e32 v2, s15, v2
	s_delay_alu instid0(VALU_DEP_1)
	v_cmpx_gt_u32_e64 s19, v2
	s_cbranch_execz .LBB99_17
; %bb.14:
	v_add_nc_u32_e32 v2, s17, v2
	global_load_b32 v2, v2, s[12:13] scale_offset
	s_wait_loadcnt 0x0
	v_ashrrev_i32_e32 v3, 31, v2
	s_delay_alu instid0(VALU_DEP_1) | instskip(SKIP_3) | instid1(VALU_DEP_1)
	v_lshl_add_u64 v[2:3], v[2:3], 2, s[4:5]
	global_load_b64 v[2:3], v[2:3], off
	s_wait_loadcnt 0x0
	v_sub_nc_u32_e32 v3, v3, v2
	v_cmp_lt_u32_e32 vcc_lo, v4, v3
	v_mov_b32_e32 v3, 0
	s_and_saveexec_b32 s21, vcc_lo
	s_cbranch_execz .LBB99_16
; %bb.15:
	v_add_nc_u32_e32 v2, v2, v1
	s_clause 0x1
	global_load_b32 v3, v2, s[6:7] scale_offset
	global_load_i8 v5, v2, s[8:9]
	s_wait_loadcnt 0x1
	s_wait_xcnt 0x0
	v_subrev_nc_u32_e32 v2, s18, v3
	s_wait_loadcnt 0x0
	v_cvt_f32_i32_e32 v3, v5
	global_load_i8 v2, v2, s[10:11]
	v_mul_f32_e32 v3, s16, v3
	s_wait_loadcnt 0x0
	v_cvt_f32_i32_e32 v2, v2
	s_delay_alu instid0(VALU_DEP_1)
	v_mul_f32_e32 v3, v3, v2
.LBB99_16:
	s_or_b32 exec_lo, exec_lo, s21
	v_lshlrev_b32_e32 v2, 2, v0
	ds_store_b32 v2, v3 offset:2048
.LBB99_17:
	s_or_b32 exec_lo, exec_lo, s20
	;; [unrolled: 44-line block ×3, first 2 shown]
	s_cmp_lt_u32 s3, 11
	s_wait_dscnt 0x0
	s_barrier_signal -1
	s_barrier_wait -1
	s_cbranch_scc0 .LBB99_30
; %bb.22:
	s_sub_co_i32 s4, s19, s15
	s_add_co_i32 s17, s17, s15
	s_cmp_neq_f32 s2, 0
	s_mov_b32 s5, 0
	s_cselect_b32 s6, -1, 0
	s_branch .LBB99_25
.LBB99_23:                              ;   in Loop: Header=BB99_25 Depth=1
	global_store_b32 v[2:3], v1, off
.LBB99_24:                              ;   in Loop: Header=BB99_25 Depth=1
	s_wait_xcnt 0x0
	s_or_b32 exec_lo, exec_lo, s7
	s_addk_co_i32 s5, 0x100
	s_delay_alu instid0(SALU_CYCLE_1)
	s_cmp_lt_u32 s5, s14
	s_cbranch_scc0 .LBB99_30
.LBB99_25:                              ; =>This Loop Header: Depth=1
                                        ;     Child Loop BB99_27 Depth 2
	v_add_nc_u32_e32 v1, s5, v0
	s_mov_b32 s7, exec_lo
	s_delay_alu instid0(VALU_DEP_1)
	v_cmpx_gt_u32_e64 s4, v1
	s_cbranch_execz .LBB99_24
; %bb.26:                               ;   in Loop: Header=BB99_25 Depth=1
	v_dual_add_nc_u32 v2, s17, v1 :: v_dual_lshlrev_b32 v1, s3, v1
	s_mov_b32 s8, 1
	global_load_b32 v2, v2, s[12:13] scale_offset
	v_dual_lshlrev_b32 v3, 2, v1 :: v_dual_mov_b32 v1, 0
.LBB99_27:                              ;   Parent Loop BB99_25 Depth=1
                                        ; =>  This Inner Loop Header: Depth=2
	ds_load_b32 v4, v3
	v_add_nc_u32_e32 v3, 4, v3
	s_lshr_b32 s9, s8, s3
	s_add_co_i32 s8, s8, 1
	s_cmp_lg_u32 s9, 0
	s_wait_dscnt 0x0
	v_add_f32_e32 v1, v1, v4
	s_cbranch_scc0 .LBB99_27
; %bb.28:                               ;   in Loop: Header=BB99_25 Depth=1
	s_wait_loadcnt 0x0
	v_ashrrev_i32_e32 v3, 31, v2
	s_and_b32 vcc_lo, exec_lo, s6
	s_wait_kmcnt 0x0
	s_wait_xcnt 0x0
	s_delay_alu instid0(VALU_DEP_1)
	v_lshl_add_u64 v[2:3], v[2:3], 2, s[0:1]
	s_cbranch_vccz .LBB99_23
; %bb.29:                               ;   in Loop: Header=BB99_25 Depth=1
	global_load_b32 v4, v[2:3], off
	s_wait_loadcnt 0x0
	v_fmac_f32_e32 v1, s2, v4
	s_branch .LBB99_23
.LBB99_30:
	s_endpgm
	.section	.rodata,"a",@progbits
	.p2align	6, 0x0
	.amdhsa_kernel _ZN9rocsparseL30csrmvn_lrb_short_rows_2_kernelIiiaaffEEvbT_PT0_S3_jNS_24const_host_device_scalarIT4_EEPKS1_PKS2_PKT1_PKT2_S6_PT3_21rocsparse_index_base_b
		.amdhsa_group_segment_fixed_size 4096
		.amdhsa_private_segment_fixed_size 0
		.amdhsa_kernarg_size 96
		.amdhsa_user_sgpr_count 2
		.amdhsa_user_sgpr_dispatch_ptr 0
		.amdhsa_user_sgpr_queue_ptr 0
		.amdhsa_user_sgpr_kernarg_segment_ptr 1
		.amdhsa_user_sgpr_dispatch_id 0
		.amdhsa_user_sgpr_kernarg_preload_length 0
		.amdhsa_user_sgpr_kernarg_preload_offset 0
		.amdhsa_user_sgpr_private_segment_size 0
		.amdhsa_wavefront_size32 1
		.amdhsa_uses_dynamic_stack 0
		.amdhsa_enable_private_segment 0
		.amdhsa_system_sgpr_workgroup_id_x 1
		.amdhsa_system_sgpr_workgroup_id_y 0
		.amdhsa_system_sgpr_workgroup_id_z 0
		.amdhsa_system_sgpr_workgroup_info 0
		.amdhsa_system_vgpr_workitem_id 0
		.amdhsa_next_free_vgpr 6
		.amdhsa_next_free_sgpr 22
		.amdhsa_named_barrier_count 0
		.amdhsa_reserve_vcc 1
		.amdhsa_float_round_mode_32 0
		.amdhsa_float_round_mode_16_64 0
		.amdhsa_float_denorm_mode_32 3
		.amdhsa_float_denorm_mode_16_64 3
		.amdhsa_fp16_overflow 0
		.amdhsa_memory_ordered 1
		.amdhsa_forward_progress 1
		.amdhsa_inst_pref_size 11
		.amdhsa_round_robin_scheduling 0
		.amdhsa_exception_fp_ieee_invalid_op 0
		.amdhsa_exception_fp_denorm_src 0
		.amdhsa_exception_fp_ieee_div_zero 0
		.amdhsa_exception_fp_ieee_overflow 0
		.amdhsa_exception_fp_ieee_underflow 0
		.amdhsa_exception_fp_ieee_inexact 0
		.amdhsa_exception_int_div_zero 0
	.end_amdhsa_kernel
	.section	.text._ZN9rocsparseL30csrmvn_lrb_short_rows_2_kernelIiiaaffEEvbT_PT0_S3_jNS_24const_host_device_scalarIT4_EEPKS1_PKS2_PKT1_PKT2_S6_PT3_21rocsparse_index_base_b,"axG",@progbits,_ZN9rocsparseL30csrmvn_lrb_short_rows_2_kernelIiiaaffEEvbT_PT0_S3_jNS_24const_host_device_scalarIT4_EEPKS1_PKS2_PKT1_PKT2_S6_PT3_21rocsparse_index_base_b,comdat
.Lfunc_end99:
	.size	_ZN9rocsparseL30csrmvn_lrb_short_rows_2_kernelIiiaaffEEvbT_PT0_S3_jNS_24const_host_device_scalarIT4_EEPKS1_PKS2_PKT1_PKT2_S6_PT3_21rocsparse_index_base_b, .Lfunc_end99-_ZN9rocsparseL30csrmvn_lrb_short_rows_2_kernelIiiaaffEEvbT_PT0_S3_jNS_24const_host_device_scalarIT4_EEPKS1_PKS2_PKT1_PKT2_S6_PT3_21rocsparse_index_base_b
                                        ; -- End function
	.set _ZN9rocsparseL30csrmvn_lrb_short_rows_2_kernelIiiaaffEEvbT_PT0_S3_jNS_24const_host_device_scalarIT4_EEPKS1_PKS2_PKT1_PKT2_S6_PT3_21rocsparse_index_base_b.num_vgpr, 6
	.set _ZN9rocsparseL30csrmvn_lrb_short_rows_2_kernelIiiaaffEEvbT_PT0_S3_jNS_24const_host_device_scalarIT4_EEPKS1_PKS2_PKT1_PKT2_S6_PT3_21rocsparse_index_base_b.num_agpr, 0
	.set _ZN9rocsparseL30csrmvn_lrb_short_rows_2_kernelIiiaaffEEvbT_PT0_S3_jNS_24const_host_device_scalarIT4_EEPKS1_PKS2_PKT1_PKT2_S6_PT3_21rocsparse_index_base_b.numbered_sgpr, 22
	.set _ZN9rocsparseL30csrmvn_lrb_short_rows_2_kernelIiiaaffEEvbT_PT0_S3_jNS_24const_host_device_scalarIT4_EEPKS1_PKS2_PKT1_PKT2_S6_PT3_21rocsparse_index_base_b.num_named_barrier, 0
	.set _ZN9rocsparseL30csrmvn_lrb_short_rows_2_kernelIiiaaffEEvbT_PT0_S3_jNS_24const_host_device_scalarIT4_EEPKS1_PKS2_PKT1_PKT2_S6_PT3_21rocsparse_index_base_b.private_seg_size, 0
	.set _ZN9rocsparseL30csrmvn_lrb_short_rows_2_kernelIiiaaffEEvbT_PT0_S3_jNS_24const_host_device_scalarIT4_EEPKS1_PKS2_PKT1_PKT2_S6_PT3_21rocsparse_index_base_b.uses_vcc, 1
	.set _ZN9rocsparseL30csrmvn_lrb_short_rows_2_kernelIiiaaffEEvbT_PT0_S3_jNS_24const_host_device_scalarIT4_EEPKS1_PKS2_PKT1_PKT2_S6_PT3_21rocsparse_index_base_b.uses_flat_scratch, 0
	.set _ZN9rocsparseL30csrmvn_lrb_short_rows_2_kernelIiiaaffEEvbT_PT0_S3_jNS_24const_host_device_scalarIT4_EEPKS1_PKS2_PKT1_PKT2_S6_PT3_21rocsparse_index_base_b.has_dyn_sized_stack, 0
	.set _ZN9rocsparseL30csrmvn_lrb_short_rows_2_kernelIiiaaffEEvbT_PT0_S3_jNS_24const_host_device_scalarIT4_EEPKS1_PKS2_PKT1_PKT2_S6_PT3_21rocsparse_index_base_b.has_recursion, 0
	.set _ZN9rocsparseL30csrmvn_lrb_short_rows_2_kernelIiiaaffEEvbT_PT0_S3_jNS_24const_host_device_scalarIT4_EEPKS1_PKS2_PKT1_PKT2_S6_PT3_21rocsparse_index_base_b.has_indirect_call, 0
	.section	.AMDGPU.csdata,"",@progbits
; Kernel info:
; codeLenInByte = 1360
; TotalNumSgprs: 24
; NumVgprs: 6
; ScratchSize: 0
; MemoryBound: 0
; FloatMode: 240
; IeeeMode: 1
; LDSByteSize: 4096 bytes/workgroup (compile time only)
; SGPRBlocks: 0
; VGPRBlocks: 0
; NumSGPRsForWavesPerEU: 24
; NumVGPRsForWavesPerEU: 6
; NamedBarCnt: 0
; Occupancy: 16
; WaveLimiterHint : 1
; COMPUTE_PGM_RSRC2:SCRATCH_EN: 0
; COMPUTE_PGM_RSRC2:USER_SGPR: 2
; COMPUTE_PGM_RSRC2:TRAP_HANDLER: 0
; COMPUTE_PGM_RSRC2:TGID_X_EN: 1
; COMPUTE_PGM_RSRC2:TGID_Y_EN: 0
; COMPUTE_PGM_RSRC2:TGID_Z_EN: 0
; COMPUTE_PGM_RSRC2:TIDIG_COMP_CNT: 0
	.section	.text._ZN9rocsparseL41csrmvn_lrb_medium_rows_warp_reduce_kernelILj256ELj32EiiaaffEEvbT1_lPT2_S3_jNS_24const_host_device_scalarIT6_EEPKS1_PKS2_PKT3_PKT4_S6_PT5_21rocsparse_index_base_b,"axG",@progbits,_ZN9rocsparseL41csrmvn_lrb_medium_rows_warp_reduce_kernelILj256ELj32EiiaaffEEvbT1_lPT2_S3_jNS_24const_host_device_scalarIT6_EEPKS1_PKS2_PKT3_PKT4_S6_PT5_21rocsparse_index_base_b,comdat
	.globl	_ZN9rocsparseL41csrmvn_lrb_medium_rows_warp_reduce_kernelILj256ELj32EiiaaffEEvbT1_lPT2_S3_jNS_24const_host_device_scalarIT6_EEPKS1_PKS2_PKT3_PKT4_S6_PT5_21rocsparse_index_base_b ; -- Begin function _ZN9rocsparseL41csrmvn_lrb_medium_rows_warp_reduce_kernelILj256ELj32EiiaaffEEvbT1_lPT2_S3_jNS_24const_host_device_scalarIT6_EEPKS1_PKS2_PKT3_PKT4_S6_PT5_21rocsparse_index_base_b
	.p2align	8
	.type	_ZN9rocsparseL41csrmvn_lrb_medium_rows_warp_reduce_kernelILj256ELj32EiiaaffEEvbT1_lPT2_S3_jNS_24const_host_device_scalarIT6_EEPKS1_PKS2_PKT3_PKT4_S6_PT5_21rocsparse_index_base_b,@function
_ZN9rocsparseL41csrmvn_lrb_medium_rows_warp_reduce_kernelILj256ELj32EiiaaffEEvbT1_lPT2_S3_jNS_24const_host_device_scalarIT6_EEPKS1_PKS2_PKT3_PKT4_S6_PT5_21rocsparse_index_base_b: ; @_ZN9rocsparseL41csrmvn_lrb_medium_rows_warp_reduce_kernelILj256ELj32EiiaaffEEvbT1_lPT2_S3_jNS_24const_host_device_scalarIT6_EEPKS1_PKS2_PKT3_PKT4_S6_PT5_21rocsparse_index_base_b
; %bb.0:
	s_clause 0x2
	s_load_b64 s[8:9], s[0:1], 0x60
	s_load_b64 s[10:11], s[0:1], 0x28
	;; [unrolled: 1-line block ×3, first 2 shown]
	s_wait_kmcnt 0x0
	s_bitcmp1_b32 s9, 0
	s_cselect_b32 s4, -1, 0
	s_delay_alu instid0(SALU_CYCLE_1)
	s_and_b32 vcc_lo, exec_lo, s4
	s_xor_b32 s4, s4, -1
	s_cbranch_vccnz .LBB100_2
; %bb.1:
	s_load_b32 s10, s[10:11], 0x0
.LBB100_2:
	s_and_not1_b32 vcc_lo, exec_lo, s4
	s_cbranch_vccnz .LBB100_4
; %bb.3:
	s_load_b32 s2, s[2:3], 0x0
.LBB100_4:
	s_wait_kmcnt 0x0
	s_cmp_neq_f32 s10, 0
	s_cselect_b32 s3, -1, 0
	s_cmp_neq_f32 s2, 1.0
	s_cselect_b32 s4, -1, 0
	s_delay_alu instid0(SALU_CYCLE_1) | instskip(NEXT) | instid1(SALU_CYCLE_1)
	s_or_b32 s3, s3, s4
	s_and_not1_b32 vcc_lo, exec_lo, s3
	s_cbranch_vccnz .LBB100_14
; %bb.5:
	s_bfe_u32 s3, ttmp6, 0x4000c
	s_load_b64 s[4:5], s[0:1], 0x8
	s_add_co_i32 s3, s3, 1
	s_and_b32 s6, ttmp6, 15
	s_mul_i32 s3, ttmp9, s3
	s_getreg_b32 s7, hwreg(HW_REG_IB_STS2, 6, 4)
	v_lshrrev_b32_e32 v1, 5, v0
	s_add_co_i32 s6, s6, s3
	s_cmp_eq_u32 s7, 0
	s_cselect_b32 s3, ttmp9, s6
	s_delay_alu instid0(VALU_DEP_1) | instid1(SALU_CYCLE_1)
	v_lshl_or_b32 v2, s3, 3, v1
	s_mov_b32 s3, exec_lo
	s_delay_alu instid0(VALU_DEP_1) | instskip(SKIP_1) | instid1(VALU_DEP_1)
	v_ashrrev_i32_e32 v3, 31, v2
	s_wait_kmcnt 0x0
	v_cmpx_gt_i64_e64 s[4:5], v[2:3]
	s_cbranch_execz .LBB100_14
; %bb.6:
	s_clause 0x1
	s_load_b128 s[4:7], s[0:1], 0x10
	s_load_b32 s3, s[0:1], 0x20
	s_wait_kmcnt 0x0
	s_load_b32 s3, s[6:7], s3 offset:0x0 scale_offset
	s_wait_kmcnt 0x0
	v_add_nc_u32_e32 v1, s3, v2
	s_mov_b32 s3, exec_lo
	global_load_b32 v2, v1, s[4:5] scale_offset
	s_wait_xcnt 0x0
	s_load_b64 s[4:5], s[0:1], 0x30
	s_wait_loadcnt 0x0
	v_ashrrev_i32_e32 v3, 31, v2
	s_wait_kmcnt 0x0
	s_delay_alu instid0(VALU_DEP_1) | instskip(SKIP_2) | instid1(VALU_DEP_1)
	v_lshl_add_u64 v[4:5], v[2:3], 2, s[4:5]
	global_load_b64 v[6:7], v[4:5], off
	v_and_b32_e32 v0, 31, v0
	v_subrev_nc_u32_e32 v1, s8, v0
	s_wait_loadcnt 0x0
	v_subrev_nc_u32_e32 v4, s8, v7
	s_delay_alu instid0(VALU_DEP_2) | instskip(NEXT) | instid1(VALU_DEP_1)
	v_dual_add_nc_u32 v5, v6, v1 :: v_dual_mov_b32 v1, 0
	v_cmpx_lt_i32_e64 v5, v4
	s_cbranch_execz .LBB100_10
; %bb.7:
	s_clause 0x1
	s_load_b128 s[4:7], s[0:1], 0x38
	s_load_b64 s[12:13], s[0:1], 0x48
	v_mov_b32_e32 v1, 0
	s_mov_b32 s9, 0
.LBB100_8:                              ; =>This Inner Loop Header: Depth=1
	s_wait_kmcnt 0x0
	s_clause 0x1
	global_load_b32 v6, v5, s[4:5] scale_offset
	global_load_i8 v7, v5, s[6:7]
	s_wait_loadcnt 0x1
	v_subrev_nc_u32_e32 v6, s8, v6
	s_wait_loadcnt 0x0
	v_cvt_f32_i32_e32 v7, v7
	v_add_nc_u32_e32 v5, 32, v5
	global_load_i8 v6, v6, s[12:13]
	v_mul_f32_e32 v7, s10, v7
	v_cmp_ge_i32_e32 vcc_lo, v5, v4
	s_or_b32 s9, vcc_lo, s9
	s_wait_loadcnt 0x0
	v_cvt_f32_i32_e32 v6, v6
	s_delay_alu instid0(VALU_DEP_1)
	v_fmac_f32_e32 v1, v7, v6
	s_and_not1_b32 exec_lo, exec_lo, s9
	s_cbranch_execnz .LBB100_8
; %bb.9:
	s_or_b32 exec_lo, exec_lo, s9
.LBB100_10:
	s_delay_alu instid0(SALU_CYCLE_1) | instskip(SKIP_2) | instid1(VALU_DEP_1)
	s_or_b32 exec_lo, exec_lo, s3
	v_mbcnt_lo_u32_b32 v4, -1, 0
	s_load_b64 s[0:1], s[0:1], 0x58
	v_xor_b32_e32 v6, 8, v4
	v_xor_b32_e32 v5, 16, v4
	s_delay_alu instid0(VALU_DEP_1) | instskip(SKIP_1) | instid1(VALU_DEP_4)
	v_cmp_gt_i32_e32 vcc_lo, 32, v5
	v_cndmask_b32_e32 v5, v4, v5, vcc_lo
	v_cmp_gt_i32_e32 vcc_lo, 32, v6
	v_cndmask_b32_e32 v6, v4, v6, vcc_lo
	s_delay_alu instid0(VALU_DEP_1)
	v_dual_lshlrev_b32 v6, 2, v6 :: v_dual_lshlrev_b32 v5, 2, v5
	ds_bpermute_b32 v5, v5, v1
	s_wait_dscnt 0x0
	v_add_f32_e32 v1, v1, v5
	ds_bpermute_b32 v5, v6, v1
	v_xor_b32_e32 v6, 4, v4
	s_delay_alu instid0(VALU_DEP_1) | instskip(SKIP_2) | instid1(VALU_DEP_1)
	v_cmp_gt_i32_e32 vcc_lo, 32, v6
	s_wait_dscnt 0x0
	v_dual_cndmask_b32 v6, v4, v6 :: v_dual_add_f32 v1, v1, v5
	v_lshlrev_b32_e32 v6, 2, v6
	ds_bpermute_b32 v5, v6, v1
	s_wait_dscnt 0x0
	v_dual_add_f32 v1, v1, v5 :: v_dual_bitop2_b32 v6, 2, v4 bitop3:0x14
	s_delay_alu instid0(VALU_DEP_1) | instskip(SKIP_1) | instid1(VALU_DEP_1)
	v_cmp_gt_i32_e32 vcc_lo, 32, v6
	v_cndmask_b32_e32 v6, v4, v6, vcc_lo
	v_lshlrev_b32_e32 v6, 2, v6
	ds_bpermute_b32 v5, v6, v1
	v_xor_b32_e32 v6, 1, v4
	s_delay_alu instid0(VALU_DEP_1) | instskip(SKIP_3) | instid1(VALU_DEP_2)
	v_cmp_gt_i32_e32 vcc_lo, 32, v6
	v_cndmask_b32_e32 v4, v4, v6, vcc_lo
	v_cmp_eq_u32_e32 vcc_lo, 31, v0
	s_wait_dscnt 0x0
	v_dual_add_f32 v1, v1, v5 :: v_dual_lshlrev_b32 v4, 2, v4
	ds_bpermute_b32 v4, v4, v1
	s_and_b32 exec_lo, exec_lo, vcc_lo
	s_cbranch_execz .LBB100_14
; %bb.11:
	s_wait_dscnt 0x0
	v_add_f32_e32 v4, v1, v4
	s_wait_kmcnt 0x0
	v_lshl_add_u64 v[0:1], v[2:3], 2, s[0:1]
	s_cmp_eq_f32 s2, 0
	s_cbranch_scc1 .LBB100_13
; %bb.12:
	global_load_b32 v2, v[0:1], off
	s_wait_loadcnt 0x0
	v_fmac_f32_e32 v4, s2, v2
.LBB100_13:
	global_store_b32 v[0:1], v4, off
.LBB100_14:
	s_endpgm
	.section	.rodata,"a",@progbits
	.p2align	6, 0x0
	.amdhsa_kernel _ZN9rocsparseL41csrmvn_lrb_medium_rows_warp_reduce_kernelILj256ELj32EiiaaffEEvbT1_lPT2_S3_jNS_24const_host_device_scalarIT6_EEPKS1_PKS2_PKT3_PKT4_S6_PT5_21rocsparse_index_base_b
		.amdhsa_group_segment_fixed_size 0
		.amdhsa_private_segment_fixed_size 0
		.amdhsa_kernarg_size 104
		.amdhsa_user_sgpr_count 2
		.amdhsa_user_sgpr_dispatch_ptr 0
		.amdhsa_user_sgpr_queue_ptr 0
		.amdhsa_user_sgpr_kernarg_segment_ptr 1
		.amdhsa_user_sgpr_dispatch_id 0
		.amdhsa_user_sgpr_kernarg_preload_length 0
		.amdhsa_user_sgpr_kernarg_preload_offset 0
		.amdhsa_user_sgpr_private_segment_size 0
		.amdhsa_wavefront_size32 1
		.amdhsa_uses_dynamic_stack 0
		.amdhsa_enable_private_segment 0
		.amdhsa_system_sgpr_workgroup_id_x 1
		.amdhsa_system_sgpr_workgroup_id_y 0
		.amdhsa_system_sgpr_workgroup_id_z 0
		.amdhsa_system_sgpr_workgroup_info 0
		.amdhsa_system_vgpr_workitem_id 0
		.amdhsa_next_free_vgpr 8
		.amdhsa_next_free_sgpr 14
		.amdhsa_named_barrier_count 0
		.amdhsa_reserve_vcc 1
		.amdhsa_float_round_mode_32 0
		.amdhsa_float_round_mode_16_64 0
		.amdhsa_float_denorm_mode_32 3
		.amdhsa_float_denorm_mode_16_64 3
		.amdhsa_fp16_overflow 0
		.amdhsa_memory_ordered 1
		.amdhsa_forward_progress 1
		.amdhsa_inst_pref_size 6
		.amdhsa_round_robin_scheduling 0
		.amdhsa_exception_fp_ieee_invalid_op 0
		.amdhsa_exception_fp_denorm_src 0
		.amdhsa_exception_fp_ieee_div_zero 0
		.amdhsa_exception_fp_ieee_overflow 0
		.amdhsa_exception_fp_ieee_underflow 0
		.amdhsa_exception_fp_ieee_inexact 0
		.amdhsa_exception_int_div_zero 0
	.end_amdhsa_kernel
	.section	.text._ZN9rocsparseL41csrmvn_lrb_medium_rows_warp_reduce_kernelILj256ELj32EiiaaffEEvbT1_lPT2_S3_jNS_24const_host_device_scalarIT6_EEPKS1_PKS2_PKT3_PKT4_S6_PT5_21rocsparse_index_base_b,"axG",@progbits,_ZN9rocsparseL41csrmvn_lrb_medium_rows_warp_reduce_kernelILj256ELj32EiiaaffEEvbT1_lPT2_S3_jNS_24const_host_device_scalarIT6_EEPKS1_PKS2_PKT3_PKT4_S6_PT5_21rocsparse_index_base_b,comdat
.Lfunc_end100:
	.size	_ZN9rocsparseL41csrmvn_lrb_medium_rows_warp_reduce_kernelILj256ELj32EiiaaffEEvbT1_lPT2_S3_jNS_24const_host_device_scalarIT6_EEPKS1_PKS2_PKT3_PKT4_S6_PT5_21rocsparse_index_base_b, .Lfunc_end100-_ZN9rocsparseL41csrmvn_lrb_medium_rows_warp_reduce_kernelILj256ELj32EiiaaffEEvbT1_lPT2_S3_jNS_24const_host_device_scalarIT6_EEPKS1_PKS2_PKT3_PKT4_S6_PT5_21rocsparse_index_base_b
                                        ; -- End function
	.set _ZN9rocsparseL41csrmvn_lrb_medium_rows_warp_reduce_kernelILj256ELj32EiiaaffEEvbT1_lPT2_S3_jNS_24const_host_device_scalarIT6_EEPKS1_PKS2_PKT3_PKT4_S6_PT5_21rocsparse_index_base_b.num_vgpr, 8
	.set _ZN9rocsparseL41csrmvn_lrb_medium_rows_warp_reduce_kernelILj256ELj32EiiaaffEEvbT1_lPT2_S3_jNS_24const_host_device_scalarIT6_EEPKS1_PKS2_PKT3_PKT4_S6_PT5_21rocsparse_index_base_b.num_agpr, 0
	.set _ZN9rocsparseL41csrmvn_lrb_medium_rows_warp_reduce_kernelILj256ELj32EiiaaffEEvbT1_lPT2_S3_jNS_24const_host_device_scalarIT6_EEPKS1_PKS2_PKT3_PKT4_S6_PT5_21rocsparse_index_base_b.numbered_sgpr, 14
	.set _ZN9rocsparseL41csrmvn_lrb_medium_rows_warp_reduce_kernelILj256ELj32EiiaaffEEvbT1_lPT2_S3_jNS_24const_host_device_scalarIT6_EEPKS1_PKS2_PKT3_PKT4_S6_PT5_21rocsparse_index_base_b.num_named_barrier, 0
	.set _ZN9rocsparseL41csrmvn_lrb_medium_rows_warp_reduce_kernelILj256ELj32EiiaaffEEvbT1_lPT2_S3_jNS_24const_host_device_scalarIT6_EEPKS1_PKS2_PKT3_PKT4_S6_PT5_21rocsparse_index_base_b.private_seg_size, 0
	.set _ZN9rocsparseL41csrmvn_lrb_medium_rows_warp_reduce_kernelILj256ELj32EiiaaffEEvbT1_lPT2_S3_jNS_24const_host_device_scalarIT6_EEPKS1_PKS2_PKT3_PKT4_S6_PT5_21rocsparse_index_base_b.uses_vcc, 1
	.set _ZN9rocsparseL41csrmvn_lrb_medium_rows_warp_reduce_kernelILj256ELj32EiiaaffEEvbT1_lPT2_S3_jNS_24const_host_device_scalarIT6_EEPKS1_PKS2_PKT3_PKT4_S6_PT5_21rocsparse_index_base_b.uses_flat_scratch, 0
	.set _ZN9rocsparseL41csrmvn_lrb_medium_rows_warp_reduce_kernelILj256ELj32EiiaaffEEvbT1_lPT2_S3_jNS_24const_host_device_scalarIT6_EEPKS1_PKS2_PKT3_PKT4_S6_PT5_21rocsparse_index_base_b.has_dyn_sized_stack, 0
	.set _ZN9rocsparseL41csrmvn_lrb_medium_rows_warp_reduce_kernelILj256ELj32EiiaaffEEvbT1_lPT2_S3_jNS_24const_host_device_scalarIT6_EEPKS1_PKS2_PKT3_PKT4_S6_PT5_21rocsparse_index_base_b.has_recursion, 0
	.set _ZN9rocsparseL41csrmvn_lrb_medium_rows_warp_reduce_kernelILj256ELj32EiiaaffEEvbT1_lPT2_S3_jNS_24const_host_device_scalarIT6_EEPKS1_PKS2_PKT3_PKT4_S6_PT5_21rocsparse_index_base_b.has_indirect_call, 0
	.section	.AMDGPU.csdata,"",@progbits
; Kernel info:
; codeLenInByte = 764
; TotalNumSgprs: 16
; NumVgprs: 8
; ScratchSize: 0
; MemoryBound: 0
; FloatMode: 240
; IeeeMode: 1
; LDSByteSize: 0 bytes/workgroup (compile time only)
; SGPRBlocks: 0
; VGPRBlocks: 0
; NumSGPRsForWavesPerEU: 16
; NumVGPRsForWavesPerEU: 8
; NamedBarCnt: 0
; Occupancy: 16
; WaveLimiterHint : 1
; COMPUTE_PGM_RSRC2:SCRATCH_EN: 0
; COMPUTE_PGM_RSRC2:USER_SGPR: 2
; COMPUTE_PGM_RSRC2:TRAP_HANDLER: 0
; COMPUTE_PGM_RSRC2:TGID_X_EN: 1
; COMPUTE_PGM_RSRC2:TGID_Y_EN: 0
; COMPUTE_PGM_RSRC2:TGID_Z_EN: 0
; COMPUTE_PGM_RSRC2:TIDIG_COMP_CNT: 0
	.section	.text._ZN9rocsparseL41csrmvn_lrb_medium_rows_warp_reduce_kernelILj256ELj64EiiaaffEEvbT1_lPT2_S3_jNS_24const_host_device_scalarIT6_EEPKS1_PKS2_PKT3_PKT4_S6_PT5_21rocsparse_index_base_b,"axG",@progbits,_ZN9rocsparseL41csrmvn_lrb_medium_rows_warp_reduce_kernelILj256ELj64EiiaaffEEvbT1_lPT2_S3_jNS_24const_host_device_scalarIT6_EEPKS1_PKS2_PKT3_PKT4_S6_PT5_21rocsparse_index_base_b,comdat
	.globl	_ZN9rocsparseL41csrmvn_lrb_medium_rows_warp_reduce_kernelILj256ELj64EiiaaffEEvbT1_lPT2_S3_jNS_24const_host_device_scalarIT6_EEPKS1_PKS2_PKT3_PKT4_S6_PT5_21rocsparse_index_base_b ; -- Begin function _ZN9rocsparseL41csrmvn_lrb_medium_rows_warp_reduce_kernelILj256ELj64EiiaaffEEvbT1_lPT2_S3_jNS_24const_host_device_scalarIT6_EEPKS1_PKS2_PKT3_PKT4_S6_PT5_21rocsparse_index_base_b
	.p2align	8
	.type	_ZN9rocsparseL41csrmvn_lrb_medium_rows_warp_reduce_kernelILj256ELj64EiiaaffEEvbT1_lPT2_S3_jNS_24const_host_device_scalarIT6_EEPKS1_PKS2_PKT3_PKT4_S6_PT5_21rocsparse_index_base_b,@function
_ZN9rocsparseL41csrmvn_lrb_medium_rows_warp_reduce_kernelILj256ELj64EiiaaffEEvbT1_lPT2_S3_jNS_24const_host_device_scalarIT6_EEPKS1_PKS2_PKT3_PKT4_S6_PT5_21rocsparse_index_base_b: ; @_ZN9rocsparseL41csrmvn_lrb_medium_rows_warp_reduce_kernelILj256ELj64EiiaaffEEvbT1_lPT2_S3_jNS_24const_host_device_scalarIT6_EEPKS1_PKS2_PKT3_PKT4_S6_PT5_21rocsparse_index_base_b
; %bb.0:
	s_clause 0x2
	s_load_b64 s[8:9], s[0:1], 0x60
	s_load_b64 s[10:11], s[0:1], 0x28
	;; [unrolled: 1-line block ×3, first 2 shown]
	s_wait_kmcnt 0x0
	s_bitcmp1_b32 s9, 0
	s_cselect_b32 s4, -1, 0
	s_delay_alu instid0(SALU_CYCLE_1)
	s_and_b32 vcc_lo, exec_lo, s4
	s_xor_b32 s4, s4, -1
	s_cbranch_vccnz .LBB101_2
; %bb.1:
	s_load_b32 s10, s[10:11], 0x0
.LBB101_2:
	s_and_not1_b32 vcc_lo, exec_lo, s4
	s_cbranch_vccnz .LBB101_4
; %bb.3:
	s_load_b32 s2, s[2:3], 0x0
.LBB101_4:
	s_wait_kmcnt 0x0
	s_cmp_neq_f32 s10, 0
	s_cselect_b32 s3, -1, 0
	s_cmp_neq_f32 s2, 1.0
	s_cselect_b32 s4, -1, 0
	s_delay_alu instid0(SALU_CYCLE_1) | instskip(NEXT) | instid1(SALU_CYCLE_1)
	s_or_b32 s3, s3, s4
	s_and_not1_b32 vcc_lo, exec_lo, s3
	s_cbranch_vccnz .LBB101_14
; %bb.5:
	s_bfe_u32 s3, ttmp6, 0x4000c
	s_load_b64 s[4:5], s[0:1], 0x8
	s_add_co_i32 s3, s3, 1
	s_and_b32 s6, ttmp6, 15
	s_mul_i32 s3, ttmp9, s3
	s_getreg_b32 s7, hwreg(HW_REG_IB_STS2, 6, 4)
	v_lshrrev_b32_e32 v1, 6, v0
	s_add_co_i32 s6, s6, s3
	s_cmp_eq_u32 s7, 0
	s_cselect_b32 s3, ttmp9, s6
	s_delay_alu instid0(VALU_DEP_1) | instid1(SALU_CYCLE_1)
	v_lshl_or_b32 v2, s3, 2, v1
	s_mov_b32 s3, exec_lo
	s_delay_alu instid0(VALU_DEP_1) | instskip(SKIP_1) | instid1(VALU_DEP_1)
	v_ashrrev_i32_e32 v3, 31, v2
	s_wait_kmcnt 0x0
	v_cmpx_gt_i64_e64 s[4:5], v[2:3]
	s_cbranch_execz .LBB101_14
; %bb.6:
	s_clause 0x1
	s_load_b128 s[4:7], s[0:1], 0x10
	s_load_b32 s3, s[0:1], 0x20
	s_wait_kmcnt 0x0
	s_load_b32 s3, s[6:7], s3 offset:0x0 scale_offset
	s_wait_kmcnt 0x0
	v_add_nc_u32_e32 v1, s3, v2
	s_mov_b32 s3, exec_lo
	global_load_b32 v2, v1, s[4:5] scale_offset
	s_wait_xcnt 0x0
	s_load_b64 s[4:5], s[0:1], 0x30
	s_wait_loadcnt 0x0
	v_ashrrev_i32_e32 v3, 31, v2
	s_wait_kmcnt 0x0
	s_delay_alu instid0(VALU_DEP_1) | instskip(SKIP_2) | instid1(VALU_DEP_1)
	v_lshl_add_u64 v[4:5], v[2:3], 2, s[4:5]
	global_load_b64 v[6:7], v[4:5], off
	v_and_b32_e32 v0, 63, v0
	v_subrev_nc_u32_e32 v1, s8, v0
	s_wait_loadcnt 0x0
	v_subrev_nc_u32_e32 v4, s8, v7
	s_delay_alu instid0(VALU_DEP_2) | instskip(NEXT) | instid1(VALU_DEP_1)
	v_dual_add_nc_u32 v5, v6, v1 :: v_dual_mov_b32 v1, 0
	v_cmpx_lt_i32_e64 v5, v4
	s_cbranch_execz .LBB101_10
; %bb.7:
	s_clause 0x1
	s_load_b128 s[4:7], s[0:1], 0x38
	s_load_b64 s[12:13], s[0:1], 0x48
	v_mov_b32_e32 v1, 0
	s_mov_b32 s9, 0
.LBB101_8:                              ; =>This Inner Loop Header: Depth=1
	s_wait_kmcnt 0x0
	s_clause 0x1
	global_load_b32 v6, v5, s[4:5] scale_offset
	global_load_i8 v7, v5, s[6:7]
	s_wait_loadcnt 0x1
	v_subrev_nc_u32_e32 v6, s8, v6
	s_wait_loadcnt 0x0
	v_cvt_f32_i32_e32 v7, v7
	v_add_nc_u32_e32 v5, 64, v5
	global_load_i8 v6, v6, s[12:13]
	v_mul_f32_e32 v7, s10, v7
	v_cmp_ge_i32_e32 vcc_lo, v5, v4
	s_or_b32 s9, vcc_lo, s9
	s_wait_loadcnt 0x0
	v_cvt_f32_i32_e32 v6, v6
	s_delay_alu instid0(VALU_DEP_1)
	v_fmac_f32_e32 v1, v7, v6
	s_and_not1_b32 exec_lo, exec_lo, s9
	s_cbranch_execnz .LBB101_8
; %bb.9:
	s_or_b32 exec_lo, exec_lo, s9
.LBB101_10:
	s_delay_alu instid0(SALU_CYCLE_1) | instskip(SKIP_2) | instid1(VALU_DEP_1)
	s_or_b32 exec_lo, exec_lo, s3
	v_mbcnt_lo_u32_b32 v4, -1, 0
	s_load_b64 s[0:1], s[0:1], 0x58
	v_xor_b32_e32 v6, 16, v4
	v_or_b32_e32 v5, 32, v4
	s_delay_alu instid0(VALU_DEP_1) | instskip(SKIP_1) | instid1(VALU_DEP_4)
	v_cmp_gt_i32_e32 vcc_lo, 32, v5
	v_cndmask_b32_e32 v5, v4, v5, vcc_lo
	v_cmp_gt_i32_e32 vcc_lo, 32, v6
	v_cndmask_b32_e32 v6, v4, v6, vcc_lo
	s_delay_alu instid0(VALU_DEP_1)
	v_dual_lshlrev_b32 v6, 2, v6 :: v_dual_lshlrev_b32 v5, 2, v5
	ds_bpermute_b32 v5, v5, v1
	s_wait_dscnt 0x0
	v_add_f32_e32 v1, v1, v5
	ds_bpermute_b32 v5, v6, v1
	v_xor_b32_e32 v6, 8, v4
	s_delay_alu instid0(VALU_DEP_1) | instskip(SKIP_2) | instid1(VALU_DEP_1)
	v_cmp_gt_i32_e32 vcc_lo, 32, v6
	s_wait_dscnt 0x0
	v_dual_cndmask_b32 v6, v4, v6 :: v_dual_add_f32 v1, v1, v5
	v_lshlrev_b32_e32 v6, 2, v6
	ds_bpermute_b32 v5, v6, v1
	s_wait_dscnt 0x0
	v_dual_add_f32 v1, v1, v5 :: v_dual_bitop2_b32 v6, 4, v4 bitop3:0x14
	s_delay_alu instid0(VALU_DEP_1) | instskip(SKIP_1) | instid1(VALU_DEP_1)
	v_cmp_gt_i32_e32 vcc_lo, 32, v6
	v_cndmask_b32_e32 v6, v4, v6, vcc_lo
	v_lshlrev_b32_e32 v6, 2, v6
	ds_bpermute_b32 v5, v6, v1
	v_xor_b32_e32 v6, 2, v4
	s_delay_alu instid0(VALU_DEP_1) | instskip(SKIP_2) | instid1(VALU_DEP_1)
	v_cmp_gt_i32_e32 vcc_lo, 32, v6
	v_cndmask_b32_e32 v6, v4, v6, vcc_lo
	s_wait_dscnt 0x0
	v_dual_add_f32 v1, v1, v5 :: v_dual_lshlrev_b32 v6, 2, v6
	ds_bpermute_b32 v5, v6, v1
	v_xor_b32_e32 v6, 1, v4
	s_delay_alu instid0(VALU_DEP_1) | instskip(SKIP_3) | instid1(VALU_DEP_2)
	v_cmp_gt_i32_e32 vcc_lo, 32, v6
	v_cndmask_b32_e32 v4, v4, v6, vcc_lo
	v_cmp_eq_u32_e32 vcc_lo, 63, v0
	s_wait_dscnt 0x0
	v_dual_add_f32 v1, v1, v5 :: v_dual_lshlrev_b32 v4, 2, v4
	ds_bpermute_b32 v4, v4, v1
	s_and_b32 exec_lo, exec_lo, vcc_lo
	s_cbranch_execz .LBB101_14
; %bb.11:
	s_wait_dscnt 0x0
	v_add_f32_e32 v4, v1, v4
	s_wait_kmcnt 0x0
	v_lshl_add_u64 v[0:1], v[2:3], 2, s[0:1]
	s_cmp_eq_f32 s2, 0
	s_cbranch_scc1 .LBB101_13
; %bb.12:
	global_load_b32 v2, v[0:1], off
	s_wait_loadcnt 0x0
	v_fmac_f32_e32 v4, s2, v2
.LBB101_13:
	global_store_b32 v[0:1], v4, off
.LBB101_14:
	s_endpgm
	.section	.rodata,"a",@progbits
	.p2align	6, 0x0
	.amdhsa_kernel _ZN9rocsparseL41csrmvn_lrb_medium_rows_warp_reduce_kernelILj256ELj64EiiaaffEEvbT1_lPT2_S3_jNS_24const_host_device_scalarIT6_EEPKS1_PKS2_PKT3_PKT4_S6_PT5_21rocsparse_index_base_b
		.amdhsa_group_segment_fixed_size 0
		.amdhsa_private_segment_fixed_size 0
		.amdhsa_kernarg_size 104
		.amdhsa_user_sgpr_count 2
		.amdhsa_user_sgpr_dispatch_ptr 0
		.amdhsa_user_sgpr_queue_ptr 0
		.amdhsa_user_sgpr_kernarg_segment_ptr 1
		.amdhsa_user_sgpr_dispatch_id 0
		.amdhsa_user_sgpr_kernarg_preload_length 0
		.amdhsa_user_sgpr_kernarg_preload_offset 0
		.amdhsa_user_sgpr_private_segment_size 0
		.amdhsa_wavefront_size32 1
		.amdhsa_uses_dynamic_stack 0
		.amdhsa_enable_private_segment 0
		.amdhsa_system_sgpr_workgroup_id_x 1
		.amdhsa_system_sgpr_workgroup_id_y 0
		.amdhsa_system_sgpr_workgroup_id_z 0
		.amdhsa_system_sgpr_workgroup_info 0
		.amdhsa_system_vgpr_workitem_id 0
		.amdhsa_next_free_vgpr 8
		.amdhsa_next_free_sgpr 14
		.amdhsa_named_barrier_count 0
		.amdhsa_reserve_vcc 1
		.amdhsa_float_round_mode_32 0
		.amdhsa_float_round_mode_16_64 0
		.amdhsa_float_denorm_mode_32 3
		.amdhsa_float_denorm_mode_16_64 3
		.amdhsa_fp16_overflow 0
		.amdhsa_memory_ordered 1
		.amdhsa_forward_progress 1
		.amdhsa_inst_pref_size 7
		.amdhsa_round_robin_scheduling 0
		.amdhsa_exception_fp_ieee_invalid_op 0
		.amdhsa_exception_fp_denorm_src 0
		.amdhsa_exception_fp_ieee_div_zero 0
		.amdhsa_exception_fp_ieee_overflow 0
		.amdhsa_exception_fp_ieee_underflow 0
		.amdhsa_exception_fp_ieee_inexact 0
		.amdhsa_exception_int_div_zero 0
	.end_amdhsa_kernel
	.section	.text._ZN9rocsparseL41csrmvn_lrb_medium_rows_warp_reduce_kernelILj256ELj64EiiaaffEEvbT1_lPT2_S3_jNS_24const_host_device_scalarIT6_EEPKS1_PKS2_PKT3_PKT4_S6_PT5_21rocsparse_index_base_b,"axG",@progbits,_ZN9rocsparseL41csrmvn_lrb_medium_rows_warp_reduce_kernelILj256ELj64EiiaaffEEvbT1_lPT2_S3_jNS_24const_host_device_scalarIT6_EEPKS1_PKS2_PKT3_PKT4_S6_PT5_21rocsparse_index_base_b,comdat
.Lfunc_end101:
	.size	_ZN9rocsparseL41csrmvn_lrb_medium_rows_warp_reduce_kernelILj256ELj64EiiaaffEEvbT1_lPT2_S3_jNS_24const_host_device_scalarIT6_EEPKS1_PKS2_PKT3_PKT4_S6_PT5_21rocsparse_index_base_b, .Lfunc_end101-_ZN9rocsparseL41csrmvn_lrb_medium_rows_warp_reduce_kernelILj256ELj64EiiaaffEEvbT1_lPT2_S3_jNS_24const_host_device_scalarIT6_EEPKS1_PKS2_PKT3_PKT4_S6_PT5_21rocsparse_index_base_b
                                        ; -- End function
	.set _ZN9rocsparseL41csrmvn_lrb_medium_rows_warp_reduce_kernelILj256ELj64EiiaaffEEvbT1_lPT2_S3_jNS_24const_host_device_scalarIT6_EEPKS1_PKS2_PKT3_PKT4_S6_PT5_21rocsparse_index_base_b.num_vgpr, 8
	.set _ZN9rocsparseL41csrmvn_lrb_medium_rows_warp_reduce_kernelILj256ELj64EiiaaffEEvbT1_lPT2_S3_jNS_24const_host_device_scalarIT6_EEPKS1_PKS2_PKT3_PKT4_S6_PT5_21rocsparse_index_base_b.num_agpr, 0
	.set _ZN9rocsparseL41csrmvn_lrb_medium_rows_warp_reduce_kernelILj256ELj64EiiaaffEEvbT1_lPT2_S3_jNS_24const_host_device_scalarIT6_EEPKS1_PKS2_PKT3_PKT4_S6_PT5_21rocsparse_index_base_b.numbered_sgpr, 14
	.set _ZN9rocsparseL41csrmvn_lrb_medium_rows_warp_reduce_kernelILj256ELj64EiiaaffEEvbT1_lPT2_S3_jNS_24const_host_device_scalarIT6_EEPKS1_PKS2_PKT3_PKT4_S6_PT5_21rocsparse_index_base_b.num_named_barrier, 0
	.set _ZN9rocsparseL41csrmvn_lrb_medium_rows_warp_reduce_kernelILj256ELj64EiiaaffEEvbT1_lPT2_S3_jNS_24const_host_device_scalarIT6_EEPKS1_PKS2_PKT3_PKT4_S6_PT5_21rocsparse_index_base_b.private_seg_size, 0
	.set _ZN9rocsparseL41csrmvn_lrb_medium_rows_warp_reduce_kernelILj256ELj64EiiaaffEEvbT1_lPT2_S3_jNS_24const_host_device_scalarIT6_EEPKS1_PKS2_PKT3_PKT4_S6_PT5_21rocsparse_index_base_b.uses_vcc, 1
	.set _ZN9rocsparseL41csrmvn_lrb_medium_rows_warp_reduce_kernelILj256ELj64EiiaaffEEvbT1_lPT2_S3_jNS_24const_host_device_scalarIT6_EEPKS1_PKS2_PKT3_PKT4_S6_PT5_21rocsparse_index_base_b.uses_flat_scratch, 0
	.set _ZN9rocsparseL41csrmvn_lrb_medium_rows_warp_reduce_kernelILj256ELj64EiiaaffEEvbT1_lPT2_S3_jNS_24const_host_device_scalarIT6_EEPKS1_PKS2_PKT3_PKT4_S6_PT5_21rocsparse_index_base_b.has_dyn_sized_stack, 0
	.set _ZN9rocsparseL41csrmvn_lrb_medium_rows_warp_reduce_kernelILj256ELj64EiiaaffEEvbT1_lPT2_S3_jNS_24const_host_device_scalarIT6_EEPKS1_PKS2_PKT3_PKT4_S6_PT5_21rocsparse_index_base_b.has_recursion, 0
	.set _ZN9rocsparseL41csrmvn_lrb_medium_rows_warp_reduce_kernelILj256ELj64EiiaaffEEvbT1_lPT2_S3_jNS_24const_host_device_scalarIT6_EEPKS1_PKS2_PKT3_PKT4_S6_PT5_21rocsparse_index_base_b.has_indirect_call, 0
	.section	.AMDGPU.csdata,"",@progbits
; Kernel info:
; codeLenInByte = 800
; TotalNumSgprs: 16
; NumVgprs: 8
; ScratchSize: 0
; MemoryBound: 0
; FloatMode: 240
; IeeeMode: 1
; LDSByteSize: 0 bytes/workgroup (compile time only)
; SGPRBlocks: 0
; VGPRBlocks: 0
; NumSGPRsForWavesPerEU: 16
; NumVGPRsForWavesPerEU: 8
; NamedBarCnt: 0
; Occupancy: 16
; WaveLimiterHint : 1
; COMPUTE_PGM_RSRC2:SCRATCH_EN: 0
; COMPUTE_PGM_RSRC2:USER_SGPR: 2
; COMPUTE_PGM_RSRC2:TRAP_HANDLER: 0
; COMPUTE_PGM_RSRC2:TGID_X_EN: 1
; COMPUTE_PGM_RSRC2:TGID_Y_EN: 0
; COMPUTE_PGM_RSRC2:TGID_Z_EN: 0
; COMPUTE_PGM_RSRC2:TIDIG_COMP_CNT: 0
	.section	.text._ZN9rocsparseL29csrmvn_lrb_medium_rows_kernelILj256EiiaaffEEvbT0_PT1_S3_jNS_24const_host_device_scalarIT5_EEPKS1_PKS2_PKT2_PKT3_S6_PT4_21rocsparse_index_base_b,"axG",@progbits,_ZN9rocsparseL29csrmvn_lrb_medium_rows_kernelILj256EiiaaffEEvbT0_PT1_S3_jNS_24const_host_device_scalarIT5_EEPKS1_PKS2_PKT2_PKT3_S6_PT4_21rocsparse_index_base_b,comdat
	.globl	_ZN9rocsparseL29csrmvn_lrb_medium_rows_kernelILj256EiiaaffEEvbT0_PT1_S3_jNS_24const_host_device_scalarIT5_EEPKS1_PKS2_PKT2_PKT3_S6_PT4_21rocsparse_index_base_b ; -- Begin function _ZN9rocsparseL29csrmvn_lrb_medium_rows_kernelILj256EiiaaffEEvbT0_PT1_S3_jNS_24const_host_device_scalarIT5_EEPKS1_PKS2_PKT2_PKT3_S6_PT4_21rocsparse_index_base_b
	.p2align	8
	.type	_ZN9rocsparseL29csrmvn_lrb_medium_rows_kernelILj256EiiaaffEEvbT0_PT1_S3_jNS_24const_host_device_scalarIT5_EEPKS1_PKS2_PKT2_PKT3_S6_PT4_21rocsparse_index_base_b,@function
_ZN9rocsparseL29csrmvn_lrb_medium_rows_kernelILj256EiiaaffEEvbT0_PT1_S3_jNS_24const_host_device_scalarIT5_EEPKS1_PKS2_PKT2_PKT3_S6_PT4_21rocsparse_index_base_b: ; @_ZN9rocsparseL29csrmvn_lrb_medium_rows_kernelILj256EiiaaffEEvbT0_PT1_S3_jNS_24const_host_device_scalarIT5_EEPKS1_PKS2_PKT2_PKT3_S6_PT4_21rocsparse_index_base_b
; %bb.0:
	s_clause 0x2
	s_load_b64 s[10:11], s[0:1], 0x58
	s_load_b64 s[12:13], s[0:1], 0x20
	;; [unrolled: 1-line block ×3, first 2 shown]
	s_wait_kmcnt 0x0
	s_bitcmp1_b32 s11, 0
	s_cselect_b32 s4, -1, 0
	s_delay_alu instid0(SALU_CYCLE_1)
	s_and_b32 vcc_lo, exec_lo, s4
	s_xor_b32 s4, s4, -1
	s_cbranch_vccnz .LBB102_2
; %bb.1:
	s_load_b32 s12, s[12:13], 0x0
.LBB102_2:
	s_and_not1_b32 vcc_lo, exec_lo, s4
	s_cbranch_vccnz .LBB102_4
; %bb.3:
	s_load_b32 s2, s[2:3], 0x0
.LBB102_4:
	s_wait_kmcnt 0x0
	s_cmp_neq_f32 s12, 0
	s_cselect_b32 s3, -1, 0
	s_cmp_neq_f32 s2, 1.0
	s_cselect_b32 s4, -1, 0
	s_delay_alu instid0(SALU_CYCLE_1) | instskip(NEXT) | instid1(SALU_CYCLE_1)
	s_or_b32 s3, s3, s4
	s_and_not1_b32 vcc_lo, exec_lo, s3
	s_cbranch_vccnz .LBB102_29
; %bb.5:
	s_clause 0x1
	s_load_b128 s[4:7], s[0:1], 0x8
	s_load_b32 s3, s[0:1], 0x18
	s_getreg_b32 s8, hwreg(HW_REG_IB_STS2, 6, 4)
	v_subrev_nc_u32_e32 v1, s10, v0
	v_mov_b32_e32 v2, 0
	s_wait_kmcnt 0x0
	s_load_b32 s3, s[6:7], s3 offset:0x0 scale_offset
	s_wait_xcnt 0x0
	s_bfe_u32 s6, ttmp6, 0x4000c
	s_and_b32 s7, ttmp6, 15
	s_add_co_i32 s6, s6, 1
	s_delay_alu instid0(SALU_CYCLE_1) | instskip(NEXT) | instid1(SALU_CYCLE_1)
	s_mul_i32 s6, ttmp9, s6
	s_add_co_i32 s7, s7, s6
	s_cmp_eq_u32 s8, 0
	s_cselect_b32 s6, ttmp9, s7
	s_wait_kmcnt 0x0
	s_add_co_i32 s6, s3, s6
	s_mov_b32 s3, exec_lo
	s_ashr_i32 s7, s6, 31
	s_delay_alu instid0(SALU_CYCLE_1) | instskip(NEXT) | instid1(SALU_CYCLE_1)
	s_lshl_b64 s[6:7], s[6:7], 2
	s_add_nc_u64 s[4:5], s[4:5], s[6:7]
	s_load_b32 s6, s[4:5], 0x0
	s_load_b64 s[14:15], s[0:1], 0x28
	s_wait_kmcnt 0x0
	s_ashr_i32 s7, s6, 31
	s_delay_alu instid0(SALU_CYCLE_1) | instskip(NEXT) | instid1(SALU_CYCLE_1)
	s_lshl_b64 s[8:9], s[6:7], 2
	s_add_nc_u64 s[4:5], s[14:15], s[8:9]
	s_load_b64 s[6:7], s[4:5], 0x0
	s_wait_kmcnt 0x0
	v_add_nc_u32_e32 v1, s6, v1
	s_sub_co_i32 s11, s7, s10
	s_delay_alu instid0(VALU_DEP_1) | instid1(SALU_CYCLE_1)
	v_cmpx_gt_i32_e64 s11, v1
	s_cbranch_execz .LBB102_9
; %bb.6:
	s_clause 0x1
	s_load_b128 s[4:7], s[0:1], 0x30
	s_load_b64 s[14:15], s[0:1], 0x40
	v_mov_b32_e32 v2, 0
	s_mov_b32 s13, 0
.LBB102_7:                              ; =>This Inner Loop Header: Depth=1
	s_wait_kmcnt 0x0
	s_clause 0x1
	global_load_b32 v3, v1, s[4:5] scale_offset
	global_load_i8 v4, v1, s[6:7]
	s_wait_loadcnt 0x1
	v_subrev_nc_u32_e32 v3, s10, v3
	s_wait_loadcnt 0x0
	v_cvt_f32_i32_e32 v4, v4
	v_add_nc_u32_e32 v1, 0x100, v1
	global_load_i8 v3, v3, s[14:15]
	v_mul_f32_e32 v4, s12, v4
	v_cmp_le_i32_e32 vcc_lo, s11, v1
	s_or_b32 s13, vcc_lo, s13
	s_wait_loadcnt 0x0
	v_cvt_f32_i32_e32 v3, v3
	s_delay_alu instid0(VALU_DEP_1)
	v_fmac_f32_e32 v2, v4, v3
	s_and_not1_b32 exec_lo, exec_lo, s13
	s_cbranch_execnz .LBB102_7
; %bb.8:
	s_or_b32 exec_lo, exec_lo, s13
.LBB102_9:
	s_delay_alu instid0(SALU_CYCLE_1)
	s_or_b32 exec_lo, exec_lo, s3
	s_load_b64 s[0:1], s[0:1], 0x50
	v_lshlrev_b32_e32 v1, 2, v0
	s_mov_b32 s3, exec_lo
	ds_store_b32 v1, v2
	s_wait_dscnt 0x0
	s_barrier_signal -1
	s_barrier_wait -1
	v_cmpx_gt_u32_e32 0x80, v0
	s_cbranch_execz .LBB102_11
; %bb.10:
	ds_load_2addr_stride64_b32 v[2:3], v1 offset1:2
	s_wait_dscnt 0x0
	v_add_f32_e32 v2, v2, v3
	ds_store_b32 v1, v2
.LBB102_11:
	s_or_b32 exec_lo, exec_lo, s3
	s_delay_alu instid0(SALU_CYCLE_1)
	s_mov_b32 s3, exec_lo
	s_wait_dscnt 0x0
	s_barrier_signal -1
	s_barrier_wait -1
	v_cmpx_gt_u32_e32 64, v0
	s_cbranch_execz .LBB102_13
; %bb.12:
	ds_load_2addr_stride64_b32 v[2:3], v1 offset1:1
	s_wait_dscnt 0x0
	v_add_f32_e32 v2, v2, v3
	ds_store_b32 v1, v2
.LBB102_13:
	s_or_b32 exec_lo, exec_lo, s3
	s_delay_alu instid0(SALU_CYCLE_1)
	s_mov_b32 s3, exec_lo
	s_wait_dscnt 0x0
	s_barrier_signal -1
	s_barrier_wait -1
	v_cmpx_gt_u32_e32 32, v0
	s_cbranch_execz .LBB102_15
; %bb.14:
	ds_load_2addr_b32 v[2:3], v1 offset1:32
	s_wait_dscnt 0x0
	v_add_f32_e32 v2, v2, v3
	ds_store_b32 v1, v2
.LBB102_15:
	s_or_b32 exec_lo, exec_lo, s3
	s_delay_alu instid0(SALU_CYCLE_1)
	s_mov_b32 s3, exec_lo
	s_wait_dscnt 0x0
	s_barrier_signal -1
	s_barrier_wait -1
	v_cmpx_gt_u32_e32 16, v0
	s_cbranch_execz .LBB102_17
; %bb.16:
	ds_load_2addr_b32 v[2:3], v1 offset1:16
	s_wait_dscnt 0x0
	v_add_f32_e32 v2, v2, v3
	ds_store_b32 v1, v2
.LBB102_17:
	;; [unrolled: 14-line block ×5, first 2 shown]
	s_or_b32 exec_lo, exec_lo, s3
	v_cmp_eq_u32_e32 vcc_lo, 0, v0
	s_wait_dscnt 0x0
	s_barrier_signal -1
	s_barrier_wait -1
	s_and_saveexec_b32 s3, vcc_lo
	s_cbranch_execz .LBB102_25
; %bb.24:
	v_mov_b32_e32 v2, 0
	ds_load_b64 v[0:1], v2
	s_wait_dscnt 0x0
	v_add_f32_e32 v0, v0, v1
	ds_store_b32 v2, v0
.LBB102_25:
	s_or_b32 exec_lo, exec_lo, s3
	s_wait_dscnt 0x0
	s_barrier_signal -1
	s_barrier_wait -1
	s_and_saveexec_b32 s3, vcc_lo
	s_cbranch_execz .LBB102_29
; %bb.26:
	v_mov_b32_e32 v0, 0
	s_cmp_eq_f32 s2, 0
	ds_load_b32 v1, v0
	s_cbranch_scc1 .LBB102_28
; %bb.27:
	s_wait_kmcnt 0x0
	s_add_nc_u64 s[4:5], s[0:1], s[8:9]
	s_load_b32 s3, s[4:5], 0x0
	s_wait_dscnt 0x0
	s_wait_kmcnt 0x0
	v_fmac_f32_e64 v1, s2, s3
.LBB102_28:
	s_wait_kmcnt 0x0
	s_add_nc_u64 s[0:1], s[0:1], s[8:9]
	s_wait_dscnt 0x0
	global_store_b32 v0, v1, s[0:1]
.LBB102_29:
	s_endpgm
	.section	.rodata,"a",@progbits
	.p2align	6, 0x0
	.amdhsa_kernel _ZN9rocsparseL29csrmvn_lrb_medium_rows_kernelILj256EiiaaffEEvbT0_PT1_S3_jNS_24const_host_device_scalarIT5_EEPKS1_PKS2_PKT2_PKT3_S6_PT4_21rocsparse_index_base_b
		.amdhsa_group_segment_fixed_size 1024
		.amdhsa_private_segment_fixed_size 0
		.amdhsa_kernarg_size 96
		.amdhsa_user_sgpr_count 2
		.amdhsa_user_sgpr_dispatch_ptr 0
		.amdhsa_user_sgpr_queue_ptr 0
		.amdhsa_user_sgpr_kernarg_segment_ptr 1
		.amdhsa_user_sgpr_dispatch_id 0
		.amdhsa_user_sgpr_kernarg_preload_length 0
		.amdhsa_user_sgpr_kernarg_preload_offset 0
		.amdhsa_user_sgpr_private_segment_size 0
		.amdhsa_wavefront_size32 1
		.amdhsa_uses_dynamic_stack 0
		.amdhsa_enable_private_segment 0
		.amdhsa_system_sgpr_workgroup_id_x 1
		.amdhsa_system_sgpr_workgroup_id_y 0
		.amdhsa_system_sgpr_workgroup_id_z 0
		.amdhsa_system_sgpr_workgroup_info 0
		.amdhsa_system_vgpr_workitem_id 0
		.amdhsa_next_free_vgpr 5
		.amdhsa_next_free_sgpr 16
		.amdhsa_named_barrier_count 0
		.amdhsa_reserve_vcc 1
		.amdhsa_float_round_mode_32 0
		.amdhsa_float_round_mode_16_64 0
		.amdhsa_float_denorm_mode_32 3
		.amdhsa_float_denorm_mode_16_64 3
		.amdhsa_fp16_overflow 0
		.amdhsa_memory_ordered 1
		.amdhsa_forward_progress 1
		.amdhsa_inst_pref_size 8
		.amdhsa_round_robin_scheduling 0
		.amdhsa_exception_fp_ieee_invalid_op 0
		.amdhsa_exception_fp_denorm_src 0
		.amdhsa_exception_fp_ieee_div_zero 0
		.amdhsa_exception_fp_ieee_overflow 0
		.amdhsa_exception_fp_ieee_underflow 0
		.amdhsa_exception_fp_ieee_inexact 0
		.amdhsa_exception_int_div_zero 0
	.end_amdhsa_kernel
	.section	.text._ZN9rocsparseL29csrmvn_lrb_medium_rows_kernelILj256EiiaaffEEvbT0_PT1_S3_jNS_24const_host_device_scalarIT5_EEPKS1_PKS2_PKT2_PKT3_S6_PT4_21rocsparse_index_base_b,"axG",@progbits,_ZN9rocsparseL29csrmvn_lrb_medium_rows_kernelILj256EiiaaffEEvbT0_PT1_S3_jNS_24const_host_device_scalarIT5_EEPKS1_PKS2_PKT2_PKT3_S6_PT4_21rocsparse_index_base_b,comdat
.Lfunc_end102:
	.size	_ZN9rocsparseL29csrmvn_lrb_medium_rows_kernelILj256EiiaaffEEvbT0_PT1_S3_jNS_24const_host_device_scalarIT5_EEPKS1_PKS2_PKT2_PKT3_S6_PT4_21rocsparse_index_base_b, .Lfunc_end102-_ZN9rocsparseL29csrmvn_lrb_medium_rows_kernelILj256EiiaaffEEvbT0_PT1_S3_jNS_24const_host_device_scalarIT5_EEPKS1_PKS2_PKT2_PKT3_S6_PT4_21rocsparse_index_base_b
                                        ; -- End function
	.set _ZN9rocsparseL29csrmvn_lrb_medium_rows_kernelILj256EiiaaffEEvbT0_PT1_S3_jNS_24const_host_device_scalarIT5_EEPKS1_PKS2_PKT2_PKT3_S6_PT4_21rocsparse_index_base_b.num_vgpr, 5
	.set _ZN9rocsparseL29csrmvn_lrb_medium_rows_kernelILj256EiiaaffEEvbT0_PT1_S3_jNS_24const_host_device_scalarIT5_EEPKS1_PKS2_PKT2_PKT3_S6_PT4_21rocsparse_index_base_b.num_agpr, 0
	.set _ZN9rocsparseL29csrmvn_lrb_medium_rows_kernelILj256EiiaaffEEvbT0_PT1_S3_jNS_24const_host_device_scalarIT5_EEPKS1_PKS2_PKT2_PKT3_S6_PT4_21rocsparse_index_base_b.numbered_sgpr, 16
	.set _ZN9rocsparseL29csrmvn_lrb_medium_rows_kernelILj256EiiaaffEEvbT0_PT1_S3_jNS_24const_host_device_scalarIT5_EEPKS1_PKS2_PKT2_PKT3_S6_PT4_21rocsparse_index_base_b.num_named_barrier, 0
	.set _ZN9rocsparseL29csrmvn_lrb_medium_rows_kernelILj256EiiaaffEEvbT0_PT1_S3_jNS_24const_host_device_scalarIT5_EEPKS1_PKS2_PKT2_PKT3_S6_PT4_21rocsparse_index_base_b.private_seg_size, 0
	.set _ZN9rocsparseL29csrmvn_lrb_medium_rows_kernelILj256EiiaaffEEvbT0_PT1_S3_jNS_24const_host_device_scalarIT5_EEPKS1_PKS2_PKT2_PKT3_S6_PT4_21rocsparse_index_base_b.uses_vcc, 1
	.set _ZN9rocsparseL29csrmvn_lrb_medium_rows_kernelILj256EiiaaffEEvbT0_PT1_S3_jNS_24const_host_device_scalarIT5_EEPKS1_PKS2_PKT2_PKT3_S6_PT4_21rocsparse_index_base_b.uses_flat_scratch, 0
	.set _ZN9rocsparseL29csrmvn_lrb_medium_rows_kernelILj256EiiaaffEEvbT0_PT1_S3_jNS_24const_host_device_scalarIT5_EEPKS1_PKS2_PKT2_PKT3_S6_PT4_21rocsparse_index_base_b.has_dyn_sized_stack, 0
	.set _ZN9rocsparseL29csrmvn_lrb_medium_rows_kernelILj256EiiaaffEEvbT0_PT1_S3_jNS_24const_host_device_scalarIT5_EEPKS1_PKS2_PKT2_PKT3_S6_PT4_21rocsparse_index_base_b.has_recursion, 0
	.set _ZN9rocsparseL29csrmvn_lrb_medium_rows_kernelILj256EiiaaffEEvbT0_PT1_S3_jNS_24const_host_device_scalarIT5_EEPKS1_PKS2_PKT2_PKT3_S6_PT4_21rocsparse_index_base_b.has_indirect_call, 0
	.section	.AMDGPU.csdata,"",@progbits
; Kernel info:
; codeLenInByte = 1012
; TotalNumSgprs: 18
; NumVgprs: 5
; ScratchSize: 0
; MemoryBound: 0
; FloatMode: 240
; IeeeMode: 1
; LDSByteSize: 1024 bytes/workgroup (compile time only)
; SGPRBlocks: 0
; VGPRBlocks: 0
; NumSGPRsForWavesPerEU: 18
; NumVGPRsForWavesPerEU: 5
; NamedBarCnt: 0
; Occupancy: 16
; WaveLimiterHint : 1
; COMPUTE_PGM_RSRC2:SCRATCH_EN: 0
; COMPUTE_PGM_RSRC2:USER_SGPR: 2
; COMPUTE_PGM_RSRC2:TRAP_HANDLER: 0
; COMPUTE_PGM_RSRC2:TGID_X_EN: 1
; COMPUTE_PGM_RSRC2:TGID_Y_EN: 0
; COMPUTE_PGM_RSRC2:TGID_Z_EN: 0
; COMPUTE_PGM_RSRC2:TIDIG_COMP_CNT: 0
	.section	.text._ZN9rocsparseL27csrmvn_lrb_long_rows_kernelIiiaaffEEvbT_PjPT0_S4_jNS_24const_host_device_scalarIT4_EEPKS1_PKS3_PKT1_PKT2_S7_PT3_21rocsparse_index_base_b,"axG",@progbits,_ZN9rocsparseL27csrmvn_lrb_long_rows_kernelIiiaaffEEvbT_PjPT0_S4_jNS_24const_host_device_scalarIT4_EEPKS1_PKS3_PKT1_PKT2_S7_PT3_21rocsparse_index_base_b,comdat
	.globl	_ZN9rocsparseL27csrmvn_lrb_long_rows_kernelIiiaaffEEvbT_PjPT0_S4_jNS_24const_host_device_scalarIT4_EEPKS1_PKS3_PKT1_PKT2_S7_PT3_21rocsparse_index_base_b ; -- Begin function _ZN9rocsparseL27csrmvn_lrb_long_rows_kernelIiiaaffEEvbT_PjPT0_S4_jNS_24const_host_device_scalarIT4_EEPKS1_PKS3_PKT1_PKT2_S7_PT3_21rocsparse_index_base_b
	.p2align	8
	.type	_ZN9rocsparseL27csrmvn_lrb_long_rows_kernelIiiaaffEEvbT_PjPT0_S4_jNS_24const_host_device_scalarIT4_EEPKS1_PKS3_PKT1_PKT2_S7_PT3_21rocsparse_index_base_b,@function
_ZN9rocsparseL27csrmvn_lrb_long_rows_kernelIiiaaffEEvbT_PjPT0_S4_jNS_24const_host_device_scalarIT4_EEPKS1_PKS3_PKT1_PKT2_S7_PT3_21rocsparse_index_base_b: ; @_ZN9rocsparseL27csrmvn_lrb_long_rows_kernelIiiaaffEEvbT_PjPT0_S4_jNS_24const_host_device_scalarIT4_EEPKS1_PKS3_PKT1_PKT2_S7_PT3_21rocsparse_index_base_b
; %bb.0:
	s_clause 0x2
	s_load_b64 s[16:17], s[0:1], 0x60
	s_load_b64 s[18:19], s[0:1], 0x28
	;; [unrolled: 1-line block ×3, first 2 shown]
	s_wait_kmcnt 0x0
	s_bitcmp1_b32 s17, 0
	s_cselect_b32 s2, -1, 0
	s_delay_alu instid0(SALU_CYCLE_1)
	s_and_b32 vcc_lo, exec_lo, s2
	s_xor_b32 s2, s2, -1
	s_cbranch_vccnz .LBB103_2
; %bb.1:
	s_load_b32 s18, s[18:19], 0x0
.LBB103_2:
	s_and_not1_b32 vcc_lo, exec_lo, s2
	s_cbranch_vccnz .LBB103_4
; %bb.3:
	s_load_b32 s8, s[8:9], 0x0
.LBB103_4:
	s_wait_kmcnt 0x0
	s_cmp_neq_f32 s18, 0
	s_cselect_b32 s2, -1, 0
	s_cmp_neq_f32 s8, 1.0
	s_cselect_b32 s3, -1, 0
	s_delay_alu instid0(SALU_CYCLE_1) | instskip(NEXT) | instid1(SALU_CYCLE_1)
	s_or_b32 s2, s2, s3
	s_and_not1_b32 vcc_lo, exec_lo, s2
	s_cbranch_vccnz .LBB103_38
; %bb.5:
	s_load_b96 s[4:6], s[0:1], 0x18
	s_bfe_u32 s10, ttmp6, 0x4000c
	s_and_b32 s7, ttmp6, 15
	s_add_co_i32 s10, s10, 1
	s_getreg_b32 s11, hwreg(HW_REG_IB_STS2, 6, 4)
	s_mul_i32 s10, ttmp9, s10
	v_mov_b32_e32 v2, 0
	s_add_co_i32 s7, s7, s10
	s_wait_kmcnt 0x0
	s_lshl_b32 s2, -1, s6
	s_load_b32 s10, s[4:5], s6 offset:0x0 scale_offset
	s_not_b32 s2, s2
	s_delay_alu instid0(SALU_CYCLE_1) | instskip(NEXT) | instid1(SALU_CYCLE_1)
	s_mul_hi_u32 s2, s2, 0x2aaaaaab
	s_lshr_b32 s2, s2, 7
	s_delay_alu instid0(SALU_CYCLE_1) | instskip(SKIP_2) | instid1(SALU_CYCLE_3)
	s_add_co_i32 s9, s2, 1
	s_not_b32 s2, s2
	s_cvt_f32_u32 s3, s9
	v_rcp_iflag_f32_e32 v1, s3
	v_nop
	s_delay_alu instid0(TRANS32_DEP_1) | instskip(SKIP_1) | instid1(SALU_CYCLE_3)
	v_readfirstlane_b32 s3, v1
	s_mul_f32 s3, s3, 0x4f7ffffe
	s_cvt_u32_f32 s3, s3
	s_delay_alu instid0(SALU_CYCLE_3) | instskip(NEXT) | instid1(SALU_CYCLE_1)
	s_mul_i32 s2, s2, s3
	s_mul_hi_u32 s2, s3, s2
	s_delay_alu instid0(SALU_CYCLE_1)
	s_add_co_i32 s3, s3, s2
	s_cmp_eq_u32 s11, 0
	s_cselect_b32 s20, ttmp9, s7
	s_wait_xcnt 0x0
	s_load_b128 s[4:7], s[0:1], 0x8
	s_mul_hi_u32 s2, s20, s3
	s_delay_alu instid0(SALU_CYCLE_1) | instskip(SKIP_2) | instid1(SALU_CYCLE_1)
	s_mul_i32 s3, s2, s9
	s_add_co_i32 s11, s2, 1
	s_sub_co_i32 s3, s20, s3
	s_sub_co_i32 s12, s3, s9
	s_cmp_ge_u32 s3, s9
	s_cselect_b32 s2, s11, s2
	s_cselect_b32 s3, s12, s3
	s_add_co_i32 s11, s2, 1
	s_cmp_ge_u32 s3, s9
	s_cselect_b32 s19, s11, s2
	s_ashr_i32 s21, s20, 31
	s_wait_kmcnt 0x0
	s_add_co_i32 s2, s19, s10
	s_delay_alu instid0(SALU_CYCLE_1) | instskip(NEXT) | instid1(SALU_CYCLE_1)
	s_ashr_i32 s3, s2, 31
	s_lshl_b64 s[2:3], s[2:3], 2
	s_delay_alu instid0(SALU_CYCLE_1)
	s_add_nc_u64 s[6:7], s[6:7], s[2:3]
	s_load_b32 s10, s[6:7], 0x0
	s_clause 0x1
	s_load_b64 s[12:13], s[0:1], 0x30
	s_load_b64 s[2:3], s[0:1], 0x58
	s_wait_kmcnt 0x0
	s_ashr_i32 s11, s10, 31
	s_delay_alu instid0(SALU_CYCLE_1)
	s_lshl_b64 s[6:7], s[10:11], 2
	s_lshl_b64 s[10:11], s[20:21], 2
	s_add_nc_u64 s[14:15], s[12:13], s[6:7]
	s_add_nc_u64 s[12:13], s[4:5], s[10:11]
	s_load_b64 s[10:11], s[14:15], 0x0
	s_load_b32 s17, s[12:13], 0x0
	s_wait_xcnt 0x0
	s_mul_i32 s14, s19, s9
	s_mov_b32 s9, exec_lo
	s_sub_co_i32 s15, s20, s14
	s_delay_alu instid0(SALU_CYCLE_1) | instskip(NEXT) | instid1(VALU_DEP_1)
	v_or_b32_e32 v1, s15, v0
	v_cmpx_eq_u32_e32 0, v1
	s_cbranch_execz .LBB103_9
; %bb.6:
	s_add_nc_u64 s[20:21], s[2:3], s[6:7]
	s_add_f32 s8, s8, -1.0
	s_load_b32 s20, s[20:21], 0x0
	s_mov_b32 s19, exec_lo
	global_wb scope:SCOPE_DEV
	s_wait_storecnt 0x0
	global_inv scope:SCOPE_DEV
	v_mbcnt_lo_u32_b32 v1, s19, 0
	s_wait_kmcnt 0x0
	s_mul_f32 s8, s8, s20
	s_mov_b32 s20, exec_lo
	s_delay_alu instid0(VALU_DEP_1)
	v_cmpx_eq_u32_e32 0, v1
	s_cbranch_execz .LBB103_8
; %bb.7:
	s_bcnt1_i32_b32 s19, s19
	s_delay_alu instid0(SALU_CYCLE_1) | instskip(NEXT) | instid1(SALU_CYCLE_1)
	s_and_b32 s19, s19, 1
	v_dual_mov_b32 v1, s14 :: v_dual_mov_b32 v2, s19
	global_atomic_xor_b32 v1, v2, s[4:5] scale_offset scope:SCOPE_DEV
.LBB103_8:
	s_wait_xcnt 0x0
	s_or_b32 exec_lo, exec_lo, s20
	v_mov_b32_e32 v2, s8
.LBB103_9:
	s_or_b32 exec_lo, exec_lo, s9
	s_mul_i32 s8, s15, 0x300
	s_wait_kmcnt 0x0
	s_sub_co_i32 s9, s11, s16
	s_sub_co_i32 s8, s8, s16
	s_mov_b32 s19, exec_lo
	s_add_co_i32 s8, s8, s10
	s_delay_alu instid0(SALU_CYCLE_1) | instskip(SKIP_1) | instid1(SALU_CYCLE_1)
	v_add_nc_u32_e32 v1, s8, v0
	s_addk_co_i32 s8, 0x300
	s_min_i32 s22, s8, s9
	s_delay_alu instid0(VALU_DEP_1) | instid1(SALU_CYCLE_1)
	v_cmpx_gt_i32_e64 s22, v1
	s_cbranch_execz .LBB103_13
; %bb.10:
	s_clause 0x1
	s_load_b64 s[20:21], s[0:1], 0x48
	s_load_b128 s[8:11], s[0:1], 0x38
	s_wait_xcnt 0x0
	s_mov_b32 s0, 0
.LBB103_11:                             ; =>This Inner Loop Header: Depth=1
	s_wait_kmcnt 0x0
	s_clause 0x1
	global_load_b32 v3, v1, s[8:9] scale_offset
	global_load_i8 v4, v1, s[10:11]
	s_wait_loadcnt 0x1
	v_subrev_nc_u32_e32 v3, s16, v3
	s_wait_loadcnt 0x0
	v_cvt_f32_i32_e32 v4, v4
	s_wait_xcnt 0x0
	v_add_nc_u32_e32 v1, 0x100, v1
	global_load_i8 v3, v3, s[20:21]
	v_mul_f32_e32 v4, s18, v4
	v_cmp_le_i32_e32 vcc_lo, s22, v1
	s_or_b32 s0, vcc_lo, s0
	s_wait_loadcnt 0x0
	v_cvt_f32_i32_e32 v3, v3
	s_delay_alu instid0(VALU_DEP_1)
	v_fmac_f32_e32 v2, v4, v3
	s_and_not1_b32 exec_lo, exec_lo, s0
	s_cbranch_execnz .LBB103_11
; %bb.12:
	s_or_b32 exec_lo, exec_lo, s0
.LBB103_13:
	s_delay_alu instid0(SALU_CYCLE_1)
	s_or_b32 exec_lo, exec_lo, s19
	v_lshlrev_b32_e32 v1, 2, v0
	s_mov_b32 s0, exec_lo
	ds_store_b32 v1, v2
	s_wait_storecnt 0x0
	s_wait_loadcnt_dscnt 0x0
	s_barrier_signal -1
	s_barrier_wait -1
	v_cmpx_gt_u32_e32 0x80, v0
	s_cbranch_execz .LBB103_15
; %bb.14:
	ds_load_2addr_stride64_b32 v[2:3], v1 offset1:2
	s_wait_dscnt 0x0
	v_add_f32_e32 v2, v2, v3
	ds_store_b32 v1, v2
.LBB103_15:
	s_or_b32 exec_lo, exec_lo, s0
	s_delay_alu instid0(SALU_CYCLE_1)
	s_mov_b32 s0, exec_lo
	s_wait_dscnt 0x0
	s_barrier_signal -1
	s_barrier_wait -1
	v_cmpx_gt_u32_e32 64, v0
	s_cbranch_execz .LBB103_17
; %bb.16:
	ds_load_2addr_stride64_b32 v[2:3], v1 offset1:1
	s_wait_dscnt 0x0
	v_add_f32_e32 v2, v2, v3
	ds_store_b32 v1, v2
.LBB103_17:
	s_or_b32 exec_lo, exec_lo, s0
	s_delay_alu instid0(SALU_CYCLE_1)
	s_mov_b32 s0, exec_lo
	s_wait_dscnt 0x0
	s_barrier_signal -1
	s_barrier_wait -1
	v_cmpx_gt_u32_e32 32, v0
	s_cbranch_execz .LBB103_19
; %bb.18:
	ds_load_2addr_b32 v[2:3], v1 offset1:32
	s_wait_dscnt 0x0
	v_add_f32_e32 v2, v2, v3
	ds_store_b32 v1, v2
.LBB103_19:
	s_or_b32 exec_lo, exec_lo, s0
	s_delay_alu instid0(SALU_CYCLE_1)
	s_mov_b32 s0, exec_lo
	s_wait_dscnt 0x0
	s_barrier_signal -1
	s_barrier_wait -1
	v_cmpx_gt_u32_e32 16, v0
	s_cbranch_execz .LBB103_21
; %bb.20:
	ds_load_2addr_b32 v[2:3], v1 offset1:16
	s_wait_dscnt 0x0
	v_add_f32_e32 v2, v2, v3
	ds_store_b32 v1, v2
.LBB103_21:
	;; [unrolled: 14-line block ×5, first 2 shown]
	s_or_b32 exec_lo, exec_lo, s0
	v_cmp_eq_u32_e32 vcc_lo, 0, v0
	s_wait_dscnt 0x0
	s_barrier_signal -1
	s_barrier_wait -1
	s_and_saveexec_b32 s0, vcc_lo
	s_cbranch_execz .LBB103_29
; %bb.28:
	v_mov_b32_e32 v2, 0
	ds_load_b64 v[0:1], v2
	s_wait_dscnt 0x0
	v_add_f32_e32 v0, v0, v1
	ds_store_b32 v2, v0
.LBB103_29:
	s_or_b32 exec_lo, exec_lo, s0
	s_wait_dscnt 0x0
	s_barrier_signal -1
	s_barrier_wait -1
	s_and_saveexec_b32 s0, vcc_lo
	s_cbranch_execz .LBB103_38
; %bb.30:
	s_cmp_eq_u32 s15, 0
	s_cbranch_scc1 .LBB103_36
; %bb.31:
	s_ashr_i32 s15, s14, 31
	v_mov_b32_e32 v0, 0
	s_lshl_b64 s[0:1], s[14:15], 2
	s_delay_alu instid0(SALU_CYCLE_1)
	s_add_nc_u64 s[0:1], s[4:5], s[0:1]
	s_branch .LBB103_33
.LBB103_32:                             ;   in Loop: Header=BB103_33 Depth=1
	s_wait_xcnt 0x0
	s_or_b32 exec_lo, exec_lo, s4
	s_wait_loadcnt 0x0
	v_readfirstlane_b32 s4, v1
	s_cmp_eq_u32 s4, s17
	s_cbranch_scc0 .LBB103_35
.LBB103_33:                             ; =>This Inner Loop Header: Depth=1
	v_mbcnt_lo_u32_b32 v1, exec_lo, 0
	s_delay_alu instid0(VALU_DEP_1)
	v_cmp_eq_u32_e32 vcc_lo, 0, v1
                                        ; implicit-def: $vgpr1
	s_and_saveexec_b32 s4, vcc_lo
	s_cbranch_execz .LBB103_32
; %bb.34:                               ;   in Loop: Header=BB103_33 Depth=1
	global_load_b32 v1, v0, s[0:1] scope:SCOPE_DEV
	s_branch .LBB103_32
.LBB103_35:
	v_mov_b32_e32 v0, 0
	global_load_u16 v1, v0, s[12:13]
	s_wait_loadcnt 0x0
	v_xor_b32_e32 v1, 1, v1
	global_store_b16 v0, v1, s[12:13]
.LBB103_36:
	s_mov_b32 s0, exec_lo
	s_wait_xcnt 0x0
	v_mbcnt_lo_u32_b32 v0, s0, 0
	s_delay_alu instid0(VALU_DEP_1) | instskip(SKIP_1) | instid1(SALU_CYCLE_1)
	v_cmp_eq_u32_e32 vcc_lo, 0, v0
	s_and_b32 s1, exec_lo, vcc_lo
	s_mov_b32 exec_lo, s1
	s_cbranch_execz .LBB103_38
; %bb.37:
	s_bcnt1_i32_b32 s0, s0
	s_delay_alu instid0(SALU_CYCLE_1)
	v_cvt_f32_ubyte0_e32 v2, s0
	v_mov_b32_e32 v0, 0
	s_add_nc_u64 s[0:1], s[2:3], s[6:7]
	ds_load_b32 v1, v0
	s_wait_dscnt 0x0
	v_mul_f32_e32 v1, v1, v2
	global_atomic_add_f32 v0, v1, s[0:1] scope:SCOPE_DEV
.LBB103_38:
	s_endpgm
	.section	.rodata,"a",@progbits
	.p2align	6, 0x0
	.amdhsa_kernel _ZN9rocsparseL27csrmvn_lrb_long_rows_kernelIiiaaffEEvbT_PjPT0_S4_jNS_24const_host_device_scalarIT4_EEPKS1_PKS3_PKT1_PKT2_S7_PT3_21rocsparse_index_base_b
		.amdhsa_group_segment_fixed_size 1024
		.amdhsa_private_segment_fixed_size 0
		.amdhsa_kernarg_size 104
		.amdhsa_user_sgpr_count 2
		.amdhsa_user_sgpr_dispatch_ptr 0
		.amdhsa_user_sgpr_queue_ptr 0
		.amdhsa_user_sgpr_kernarg_segment_ptr 1
		.amdhsa_user_sgpr_dispatch_id 0
		.amdhsa_user_sgpr_kernarg_preload_length 0
		.amdhsa_user_sgpr_kernarg_preload_offset 0
		.amdhsa_user_sgpr_private_segment_size 0
		.amdhsa_wavefront_size32 1
		.amdhsa_uses_dynamic_stack 0
		.amdhsa_enable_private_segment 0
		.amdhsa_system_sgpr_workgroup_id_x 1
		.amdhsa_system_sgpr_workgroup_id_y 0
		.amdhsa_system_sgpr_workgroup_id_z 0
		.amdhsa_system_sgpr_workgroup_info 0
		.amdhsa_system_vgpr_workitem_id 0
		.amdhsa_next_free_vgpr 5
		.amdhsa_next_free_sgpr 23
		.amdhsa_named_barrier_count 0
		.amdhsa_reserve_vcc 1
		.amdhsa_float_round_mode_32 0
		.amdhsa_float_round_mode_16_64 0
		.amdhsa_float_denorm_mode_32 3
		.amdhsa_float_denorm_mode_16_64 3
		.amdhsa_fp16_overflow 0
		.amdhsa_memory_ordered 1
		.amdhsa_forward_progress 1
		.amdhsa_inst_pref_size 12
		.amdhsa_round_robin_scheduling 0
		.amdhsa_exception_fp_ieee_invalid_op 0
		.amdhsa_exception_fp_denorm_src 0
		.amdhsa_exception_fp_ieee_div_zero 0
		.amdhsa_exception_fp_ieee_overflow 0
		.amdhsa_exception_fp_ieee_underflow 0
		.amdhsa_exception_fp_ieee_inexact 0
		.amdhsa_exception_int_div_zero 0
	.end_amdhsa_kernel
	.section	.text._ZN9rocsparseL27csrmvn_lrb_long_rows_kernelIiiaaffEEvbT_PjPT0_S4_jNS_24const_host_device_scalarIT4_EEPKS1_PKS3_PKT1_PKT2_S7_PT3_21rocsparse_index_base_b,"axG",@progbits,_ZN9rocsparseL27csrmvn_lrb_long_rows_kernelIiiaaffEEvbT_PjPT0_S4_jNS_24const_host_device_scalarIT4_EEPKS1_PKS3_PKT1_PKT2_S7_PT3_21rocsparse_index_base_b,comdat
.Lfunc_end103:
	.size	_ZN9rocsparseL27csrmvn_lrb_long_rows_kernelIiiaaffEEvbT_PjPT0_S4_jNS_24const_host_device_scalarIT4_EEPKS1_PKS3_PKT1_PKT2_S7_PT3_21rocsparse_index_base_b, .Lfunc_end103-_ZN9rocsparseL27csrmvn_lrb_long_rows_kernelIiiaaffEEvbT_PjPT0_S4_jNS_24const_host_device_scalarIT4_EEPKS1_PKS3_PKT1_PKT2_S7_PT3_21rocsparse_index_base_b
                                        ; -- End function
	.set _ZN9rocsparseL27csrmvn_lrb_long_rows_kernelIiiaaffEEvbT_PjPT0_S4_jNS_24const_host_device_scalarIT4_EEPKS1_PKS3_PKT1_PKT2_S7_PT3_21rocsparse_index_base_b.num_vgpr, 5
	.set _ZN9rocsparseL27csrmvn_lrb_long_rows_kernelIiiaaffEEvbT_PjPT0_S4_jNS_24const_host_device_scalarIT4_EEPKS1_PKS3_PKT1_PKT2_S7_PT3_21rocsparse_index_base_b.num_agpr, 0
	.set _ZN9rocsparseL27csrmvn_lrb_long_rows_kernelIiiaaffEEvbT_PjPT0_S4_jNS_24const_host_device_scalarIT4_EEPKS1_PKS3_PKT1_PKT2_S7_PT3_21rocsparse_index_base_b.numbered_sgpr, 23
	.set _ZN9rocsparseL27csrmvn_lrb_long_rows_kernelIiiaaffEEvbT_PjPT0_S4_jNS_24const_host_device_scalarIT4_EEPKS1_PKS3_PKT1_PKT2_S7_PT3_21rocsparse_index_base_b.num_named_barrier, 0
	.set _ZN9rocsparseL27csrmvn_lrb_long_rows_kernelIiiaaffEEvbT_PjPT0_S4_jNS_24const_host_device_scalarIT4_EEPKS1_PKS3_PKT1_PKT2_S7_PT3_21rocsparse_index_base_b.private_seg_size, 0
	.set _ZN9rocsparseL27csrmvn_lrb_long_rows_kernelIiiaaffEEvbT_PjPT0_S4_jNS_24const_host_device_scalarIT4_EEPKS1_PKS3_PKT1_PKT2_S7_PT3_21rocsparse_index_base_b.uses_vcc, 1
	.set _ZN9rocsparseL27csrmvn_lrb_long_rows_kernelIiiaaffEEvbT_PjPT0_S4_jNS_24const_host_device_scalarIT4_EEPKS1_PKS3_PKT1_PKT2_S7_PT3_21rocsparse_index_base_b.uses_flat_scratch, 0
	.set _ZN9rocsparseL27csrmvn_lrb_long_rows_kernelIiiaaffEEvbT_PjPT0_S4_jNS_24const_host_device_scalarIT4_EEPKS1_PKS3_PKT1_PKT2_S7_PT3_21rocsparse_index_base_b.has_dyn_sized_stack, 0
	.set _ZN9rocsparseL27csrmvn_lrb_long_rows_kernelIiiaaffEEvbT_PjPT0_S4_jNS_24const_host_device_scalarIT4_EEPKS1_PKS3_PKT1_PKT2_S7_PT3_21rocsparse_index_base_b.has_recursion, 0
	.set _ZN9rocsparseL27csrmvn_lrb_long_rows_kernelIiiaaffEEvbT_PjPT0_S4_jNS_24const_host_device_scalarIT4_EEPKS1_PKS3_PKT1_PKT2_S7_PT3_21rocsparse_index_base_b.has_indirect_call, 0
	.section	.AMDGPU.csdata,"",@progbits
; Kernel info:
; codeLenInByte = 1500
; TotalNumSgprs: 25
; NumVgprs: 5
; ScratchSize: 0
; MemoryBound: 0
; FloatMode: 240
; IeeeMode: 1
; LDSByteSize: 1024 bytes/workgroup (compile time only)
; SGPRBlocks: 0
; VGPRBlocks: 0
; NumSGPRsForWavesPerEU: 25
; NumVGPRsForWavesPerEU: 5
; NamedBarCnt: 0
; Occupancy: 16
; WaveLimiterHint : 1
; COMPUTE_PGM_RSRC2:SCRATCH_EN: 0
; COMPUTE_PGM_RSRC2:USER_SGPR: 2
; COMPUTE_PGM_RSRC2:TRAP_HANDLER: 0
; COMPUTE_PGM_RSRC2:TGID_X_EN: 1
; COMPUTE_PGM_RSRC2:TGID_Y_EN: 0
; COMPUTE_PGM_RSRC2:TGID_Z_EN: 0
; COMPUTE_PGM_RSRC2:TIDIG_COMP_CNT: 0
	.section	.text._ZN9rocsparseL28csrmvn_lrb_short_rows_kernelIliaaffEEvbT_PT0_S3_jNS_24const_host_device_scalarIT4_EEPKS1_PKS2_PKT1_PKT2_S6_PT3_21rocsparse_index_base_b,"axG",@progbits,_ZN9rocsparseL28csrmvn_lrb_short_rows_kernelIliaaffEEvbT_PT0_S3_jNS_24const_host_device_scalarIT4_EEPKS1_PKS2_PKT1_PKT2_S6_PT3_21rocsparse_index_base_b,comdat
	.globl	_ZN9rocsparseL28csrmvn_lrb_short_rows_kernelIliaaffEEvbT_PT0_S3_jNS_24const_host_device_scalarIT4_EEPKS1_PKS2_PKT1_PKT2_S6_PT3_21rocsparse_index_base_b ; -- Begin function _ZN9rocsparseL28csrmvn_lrb_short_rows_kernelIliaaffEEvbT_PT0_S3_jNS_24const_host_device_scalarIT4_EEPKS1_PKS2_PKT1_PKT2_S6_PT3_21rocsparse_index_base_b
	.p2align	8
	.type	_ZN9rocsparseL28csrmvn_lrb_short_rows_kernelIliaaffEEvbT_PT0_S3_jNS_24const_host_device_scalarIT4_EEPKS1_PKS2_PKT1_PKT2_S6_PT3_21rocsparse_index_base_b,@function
_ZN9rocsparseL28csrmvn_lrb_short_rows_kernelIliaaffEEvbT_PT0_S3_jNS_24const_host_device_scalarIT4_EEPKS1_PKS2_PKT1_PKT2_S6_PT3_21rocsparse_index_base_b: ; @_ZN9rocsparseL28csrmvn_lrb_short_rows_kernelIliaaffEEvbT_PT0_S3_jNS_24const_host_device_scalarIT4_EEPKS1_PKS2_PKT1_PKT2_S6_PT3_21rocsparse_index_base_b
; %bb.0:
	s_clause 0x2
	s_load_b64 s[16:17], s[0:1], 0x60
	s_load_b64 s[18:19], s[0:1], 0x28
	;; [unrolled: 1-line block ×3, first 2 shown]
	s_wait_kmcnt 0x0
	s_bitcmp1_b32 s17, 0
	s_cselect_b32 s4, -1, 0
	s_delay_alu instid0(SALU_CYCLE_1)
	s_and_b32 vcc_lo, exec_lo, s4
	s_xor_b32 s4, s4, -1
	s_cbranch_vccnz .LBB104_2
; %bb.1:
	s_load_b32 s18, s[18:19], 0x0
.LBB104_2:
	s_and_not1_b32 vcc_lo, exec_lo, s4
	s_cbranch_vccnz .LBB104_4
; %bb.3:
	s_load_b32 s2, s[2:3], 0x0
.LBB104_4:
	s_wait_kmcnt 0x0
	s_cmp_neq_f32 s18, 0
	s_cselect_b32 s3, -1, 0
	s_cmp_neq_f32 s2, 1.0
	s_cselect_b32 s4, -1, 0
	s_delay_alu instid0(SALU_CYCLE_1) | instskip(NEXT) | instid1(SALU_CYCLE_1)
	s_or_b32 s3, s3, s4
	s_and_not1_b32 vcc_lo, exec_lo, s3
	s_cbranch_vccnz .LBB104_18
; %bb.5:
	s_clause 0x1
	s_load_b32 s3, s[0:1], 0x20
	s_load_b128 s[12:15], s[0:1], 0x10
	s_and_b32 s6, ttmp6, 15
	s_getreg_b32 s7, hwreg(HW_REG_IB_STS2, 6, 4)
	s_wait_kmcnt 0x0
	s_add_co_i32 s4, s3, 1
	s_clause 0x1
	s_load_b32 s19, s[14:15], s3 offset:0x0 scale_offset
	s_load_b32 s5, s[14:15], s4 offset:0x0 scale_offset
	s_wait_xcnt 0x0
	s_bfe_u32 s4, ttmp6, 0x4000c
	s_delay_alu instid0(SALU_CYCLE_1) | instskip(NEXT) | instid1(SALU_CYCLE_1)
	s_add_co_i32 s4, s4, 1
	s_mul_i32 s4, ttmp9, s4
	s_delay_alu instid0(SALU_CYCLE_1) | instskip(SKIP_4) | instid1(SALU_CYCLE_1)
	s_add_co_i32 s6, s6, s4
	s_wait_kmcnt 0x0
	s_sub_co_i32 s5, s5, s19
	s_cmp_eq_u32 s7, 0
	s_cselect_b32 s4, ttmp9, s6
	s_lshl_b32 s14, s4, 8
	s_delay_alu instid0(SALU_CYCLE_1) | instskip(NEXT) | instid1(SALU_CYCLE_1)
	s_add_co_i32 s4, s14, 0x100
	s_min_u32 s15, s5, s4
	s_cmp_gt_u32 s3, 23
	s_cbranch_scc1 .LBB104_12
; %bb.6:
	s_load_b256 s[4:11], s[0:1], 0x30
	v_bfe_u32 v6, v0, 0, s3
	v_mov_b32_e32 v7, 0
	v_lshl_add_u32 v1, v0, 2, 0
	s_mov_b32 s17, 0
	s_lshl_b32 s20, 0x100, s3
	s_mov_b32 s21, s17
	s_branch .LBB104_9
.LBB104_7:                              ;   in Loop: Header=BB104_9 Depth=1
	s_or_b32 exec_lo, exec_lo, s23
	ds_store_b32 v1, v4
.LBB104_8:                              ;   in Loop: Header=BB104_9 Depth=1
	s_or_b32 exec_lo, exec_lo, s22
	v_add_nc_u32_e32 v1, 0x400, v1
	s_addk_co_i32 s21, 0x100
	s_delay_alu instid0(SALU_CYCLE_1)
	s_cmp_ge_u32 s21, s20
	s_cbranch_scc1 .LBB104_12
.LBB104_9:                              ; =>This Inner Loop Header: Depth=1
	v_add_nc_u32_e32 v2, s21, v0
	s_mov_b32 s22, exec_lo
	s_delay_alu instid0(VALU_DEP_1) | instskip(NEXT) | instid1(VALU_DEP_1)
	v_lshrrev_b32_e32 v2, s3, v2
	v_add_nc_u32_e32 v2, s14, v2
	s_delay_alu instid0(VALU_DEP_1)
	v_cmpx_gt_u32_e64 s15, v2
	s_cbranch_execz .LBB104_8
; %bb.10:                               ;   in Loop: Header=BB104_9 Depth=1
	v_add_nc_u32_e32 v2, s19, v2
	global_load_b32 v2, v2, s[12:13] scale_offset
	s_wait_loadcnt 0x0
	v_ashrrev_i32_e32 v3, 31, v2
	s_wait_kmcnt 0x0
	s_wait_xcnt 0x0
	s_delay_alu instid0(VALU_DEP_1) | instskip(SKIP_3) | instid1(VALU_DEP_1)
	v_lshl_add_u64 v[2:3], v[2:3], 3, s[4:5]
	global_load_b128 v[2:5], v[2:3], off
	s_wait_loadcnt 0x0
	v_sub_nc_u64_e32 v[4:5], v[4:5], v[2:3]
	v_cmp_gt_i64_e32 vcc_lo, v[4:5], v[6:7]
	v_mov_b32_e32 v4, 0
	s_wait_xcnt 0x0
	s_and_saveexec_b32 s23, vcc_lo
	s_cbranch_execz .LBB104_7
; %bb.11:                               ;   in Loop: Header=BB104_9 Depth=1
	v_sub_nc_u64_e64 v[2:3], v[2:3], s[16:17]
	s_delay_alu instid0(VALU_DEP_1) | instskip(NEXT) | instid1(VALU_DEP_1)
	v_add_nc_u64_e32 v[2:3], v[2:3], v[6:7]
	v_lshl_add_u64 v[4:5], v[2:3], 2, s[6:7]
	v_add_nc_u64_e32 v[2:3], s[8:9], v[2:3]
	global_load_b32 v4, v[4:5], off
	global_load_i8 v2, v[2:3], off
	s_wait_loadcnt 0x1
	s_wait_xcnt 0x0
	v_subrev_nc_u32_e32 v3, s16, v4
	s_wait_loadcnt 0x0
	v_cvt_f32_i32_e32 v2, v2
	global_load_i8 v3, v3, s[10:11]
	v_mul_f32_e32 v2, s18, v2
	s_wait_loadcnt 0x0
	s_wait_xcnt 0x0
	v_cvt_f32_i32_e32 v3, v3
	s_delay_alu instid0(VALU_DEP_1)
	v_mul_f32_e32 v4, v2, v3
	s_branch .LBB104_7
.LBB104_12:
	s_wait_kmcnt 0x0
	s_sub_co_i32 s4, s15, s14
	s_wait_dscnt 0x0
	v_cmp_gt_u32_e32 vcc_lo, s4, v0
	s_barrier_signal -1
	s_barrier_wait -1
	s_and_saveexec_b32 s4, vcc_lo
	s_cbranch_execz .LBB104_18
; %bb.13:
	v_add3_u32 v1, s19, s14, v0
	s_load_b64 s[0:1], s[0:1], 0x58
	v_dual_lshlrev_b32 v0, s3, v0 :: v_dual_mov_b32 v4, 0
	s_mov_b32 s4, 1
	global_load_b32 v2, v1, s[12:13] scale_offset
	v_lshl_add_u32 v0, v0, 2, 0
.LBB104_14:                             ; =>This Inner Loop Header: Depth=1
	s_wait_xcnt 0x0
	ds_load_b32 v1, v0
	v_add_nc_u32_e32 v0, 4, v0
	s_lshr_b32 s5, s4, s3
	s_add_co_i32 s4, s4, 1
	s_cmp_lg_u32 s5, 0
	s_wait_dscnt 0x0
	v_add_f32_e32 v4, v4, v1
	s_cbranch_scc0 .LBB104_14
; %bb.15:
	s_wait_loadcnt 0x0
	v_ashrrev_i32_e32 v3, 31, v2
	s_cmp_neq_f32 s2, 0
	s_wait_kmcnt 0x0
	s_delay_alu instid0(VALU_DEP_1)
	v_lshl_add_u64 v[0:1], v[2:3], 2, s[0:1]
	s_cbranch_scc0 .LBB104_17
; %bb.16:
	global_load_b32 v2, v[0:1], off
	s_wait_loadcnt 0x0
	v_fmac_f32_e32 v4, s2, v2
.LBB104_17:
	global_store_b32 v[0:1], v4, off
.LBB104_18:
	s_endpgm
	.section	.rodata,"a",@progbits
	.p2align	6, 0x0
	.amdhsa_kernel _ZN9rocsparseL28csrmvn_lrb_short_rows_kernelIliaaffEEvbT_PT0_S3_jNS_24const_host_device_scalarIT4_EEPKS1_PKS2_PKT1_PKT2_S6_PT3_21rocsparse_index_base_b
		.amdhsa_group_segment_fixed_size 0
		.amdhsa_private_segment_fixed_size 0
		.amdhsa_kernarg_size 104
		.amdhsa_user_sgpr_count 2
		.amdhsa_user_sgpr_dispatch_ptr 0
		.amdhsa_user_sgpr_queue_ptr 0
		.amdhsa_user_sgpr_kernarg_segment_ptr 1
		.amdhsa_user_sgpr_dispatch_id 0
		.amdhsa_user_sgpr_kernarg_preload_length 0
		.amdhsa_user_sgpr_kernarg_preload_offset 0
		.amdhsa_user_sgpr_private_segment_size 0
		.amdhsa_wavefront_size32 1
		.amdhsa_uses_dynamic_stack 0
		.amdhsa_enable_private_segment 0
		.amdhsa_system_sgpr_workgroup_id_x 1
		.amdhsa_system_sgpr_workgroup_id_y 0
		.amdhsa_system_sgpr_workgroup_id_z 0
		.amdhsa_system_sgpr_workgroup_info 0
		.amdhsa_system_vgpr_workitem_id 0
		.amdhsa_next_free_vgpr 8
		.amdhsa_next_free_sgpr 24
		.amdhsa_named_barrier_count 0
		.amdhsa_reserve_vcc 1
		.amdhsa_float_round_mode_32 0
		.amdhsa_float_round_mode_16_64 0
		.amdhsa_float_denorm_mode_32 3
		.amdhsa_float_denorm_mode_16_64 3
		.amdhsa_fp16_overflow 0
		.amdhsa_memory_ordered 1
		.amdhsa_forward_progress 1
		.amdhsa_inst_pref_size 6
		.amdhsa_round_robin_scheduling 0
		.amdhsa_exception_fp_ieee_invalid_op 0
		.amdhsa_exception_fp_denorm_src 0
		.amdhsa_exception_fp_ieee_div_zero 0
		.amdhsa_exception_fp_ieee_overflow 0
		.amdhsa_exception_fp_ieee_underflow 0
		.amdhsa_exception_fp_ieee_inexact 0
		.amdhsa_exception_int_div_zero 0
	.end_amdhsa_kernel
	.section	.text._ZN9rocsparseL28csrmvn_lrb_short_rows_kernelIliaaffEEvbT_PT0_S3_jNS_24const_host_device_scalarIT4_EEPKS1_PKS2_PKT1_PKT2_S6_PT3_21rocsparse_index_base_b,"axG",@progbits,_ZN9rocsparseL28csrmvn_lrb_short_rows_kernelIliaaffEEvbT_PT0_S3_jNS_24const_host_device_scalarIT4_EEPKS1_PKS2_PKT1_PKT2_S6_PT3_21rocsparse_index_base_b,comdat
.Lfunc_end104:
	.size	_ZN9rocsparseL28csrmvn_lrb_short_rows_kernelIliaaffEEvbT_PT0_S3_jNS_24const_host_device_scalarIT4_EEPKS1_PKS2_PKT1_PKT2_S6_PT3_21rocsparse_index_base_b, .Lfunc_end104-_ZN9rocsparseL28csrmvn_lrb_short_rows_kernelIliaaffEEvbT_PT0_S3_jNS_24const_host_device_scalarIT4_EEPKS1_PKS2_PKT1_PKT2_S6_PT3_21rocsparse_index_base_b
                                        ; -- End function
	.set _ZN9rocsparseL28csrmvn_lrb_short_rows_kernelIliaaffEEvbT_PT0_S3_jNS_24const_host_device_scalarIT4_EEPKS1_PKS2_PKT1_PKT2_S6_PT3_21rocsparse_index_base_b.num_vgpr, 8
	.set _ZN9rocsparseL28csrmvn_lrb_short_rows_kernelIliaaffEEvbT_PT0_S3_jNS_24const_host_device_scalarIT4_EEPKS1_PKS2_PKT1_PKT2_S6_PT3_21rocsparse_index_base_b.num_agpr, 0
	.set _ZN9rocsparseL28csrmvn_lrb_short_rows_kernelIliaaffEEvbT_PT0_S3_jNS_24const_host_device_scalarIT4_EEPKS1_PKS2_PKT1_PKT2_S6_PT3_21rocsparse_index_base_b.numbered_sgpr, 24
	.set _ZN9rocsparseL28csrmvn_lrb_short_rows_kernelIliaaffEEvbT_PT0_S3_jNS_24const_host_device_scalarIT4_EEPKS1_PKS2_PKT1_PKT2_S6_PT3_21rocsparse_index_base_b.num_named_barrier, 0
	.set _ZN9rocsparseL28csrmvn_lrb_short_rows_kernelIliaaffEEvbT_PT0_S3_jNS_24const_host_device_scalarIT4_EEPKS1_PKS2_PKT1_PKT2_S6_PT3_21rocsparse_index_base_b.private_seg_size, 0
	.set _ZN9rocsparseL28csrmvn_lrb_short_rows_kernelIliaaffEEvbT_PT0_S3_jNS_24const_host_device_scalarIT4_EEPKS1_PKS2_PKT1_PKT2_S6_PT3_21rocsparse_index_base_b.uses_vcc, 1
	.set _ZN9rocsparseL28csrmvn_lrb_short_rows_kernelIliaaffEEvbT_PT0_S3_jNS_24const_host_device_scalarIT4_EEPKS1_PKS2_PKT1_PKT2_S6_PT3_21rocsparse_index_base_b.uses_flat_scratch, 0
	.set _ZN9rocsparseL28csrmvn_lrb_short_rows_kernelIliaaffEEvbT_PT0_S3_jNS_24const_host_device_scalarIT4_EEPKS1_PKS2_PKT1_PKT2_S6_PT3_21rocsparse_index_base_b.has_dyn_sized_stack, 0
	.set _ZN9rocsparseL28csrmvn_lrb_short_rows_kernelIliaaffEEvbT_PT0_S3_jNS_24const_host_device_scalarIT4_EEPKS1_PKS2_PKT1_PKT2_S6_PT3_21rocsparse_index_base_b.has_recursion, 0
	.set _ZN9rocsparseL28csrmvn_lrb_short_rows_kernelIliaaffEEvbT_PT0_S3_jNS_24const_host_device_scalarIT4_EEPKS1_PKS2_PKT1_PKT2_S6_PT3_21rocsparse_index_base_b.has_indirect_call, 0
	.section	.AMDGPU.csdata,"",@progbits
; Kernel info:
; codeLenInByte = 760
; TotalNumSgprs: 26
; NumVgprs: 8
; ScratchSize: 0
; MemoryBound: 0
; FloatMode: 240
; IeeeMode: 1
; LDSByteSize: 0 bytes/workgroup (compile time only)
; SGPRBlocks: 0
; VGPRBlocks: 0
; NumSGPRsForWavesPerEU: 26
; NumVGPRsForWavesPerEU: 8
; NamedBarCnt: 0
; Occupancy: 16
; WaveLimiterHint : 1
; COMPUTE_PGM_RSRC2:SCRATCH_EN: 0
; COMPUTE_PGM_RSRC2:USER_SGPR: 2
; COMPUTE_PGM_RSRC2:TRAP_HANDLER: 0
; COMPUTE_PGM_RSRC2:TGID_X_EN: 1
; COMPUTE_PGM_RSRC2:TGID_Y_EN: 0
; COMPUTE_PGM_RSRC2:TGID_Z_EN: 0
; COMPUTE_PGM_RSRC2:TIDIG_COMP_CNT: 0
	.section	.text._ZN9rocsparseL30csrmvn_lrb_short_rows_2_kernelIliaaffEEvbT_PT0_S3_jNS_24const_host_device_scalarIT4_EEPKS1_PKS2_PKT1_PKT2_S6_PT3_21rocsparse_index_base_b,"axG",@progbits,_ZN9rocsparseL30csrmvn_lrb_short_rows_2_kernelIliaaffEEvbT_PT0_S3_jNS_24const_host_device_scalarIT4_EEPKS1_PKS2_PKT1_PKT2_S6_PT3_21rocsparse_index_base_b,comdat
	.globl	_ZN9rocsparseL30csrmvn_lrb_short_rows_2_kernelIliaaffEEvbT_PT0_S3_jNS_24const_host_device_scalarIT4_EEPKS1_PKS2_PKT1_PKT2_S6_PT3_21rocsparse_index_base_b ; -- Begin function _ZN9rocsparseL30csrmvn_lrb_short_rows_2_kernelIliaaffEEvbT_PT0_S3_jNS_24const_host_device_scalarIT4_EEPKS1_PKS2_PKT1_PKT2_S6_PT3_21rocsparse_index_base_b
	.p2align	8
	.type	_ZN9rocsparseL30csrmvn_lrb_short_rows_2_kernelIliaaffEEvbT_PT0_S3_jNS_24const_host_device_scalarIT4_EEPKS1_PKS2_PKT1_PKT2_S6_PT3_21rocsparse_index_base_b,@function
_ZN9rocsparseL30csrmvn_lrb_short_rows_2_kernelIliaaffEEvbT_PT0_S3_jNS_24const_host_device_scalarIT4_EEPKS1_PKS2_PKT1_PKT2_S6_PT3_21rocsparse_index_base_b: ; @_ZN9rocsparseL30csrmvn_lrb_short_rows_2_kernelIliaaffEEvbT_PT0_S3_jNS_24const_host_device_scalarIT4_EEPKS1_PKS2_PKT1_PKT2_S6_PT3_21rocsparse_index_base_b
; %bb.0:
	s_clause 0x2
	s_load_b64 s[18:19], s[0:1], 0x60
	s_load_b64 s[16:17], s[0:1], 0x28
	;; [unrolled: 1-line block ×3, first 2 shown]
	s_wait_kmcnt 0x0
	s_bitcmp1_b32 s19, 0
	s_cselect_b32 s4, -1, 0
	s_delay_alu instid0(SALU_CYCLE_1)
	s_and_b32 vcc_lo, exec_lo, s4
	s_xor_b32 s4, s4, -1
	s_cbranch_vccnz .LBB105_2
; %bb.1:
	s_load_b32 s16, s[16:17], 0x0
.LBB105_2:
	s_and_not1_b32 vcc_lo, exec_lo, s4
	s_cbranch_vccnz .LBB105_4
; %bb.3:
	s_load_b32 s2, s[2:3], 0x0
.LBB105_4:
	s_wait_kmcnt 0x0
	s_cmp_neq_f32 s16, 0
	s_mov_b32 s19, 0
	s_cselect_b32 s3, -1, 0
	s_cmp_neq_f32 s2, 1.0
	s_cselect_b32 s4, -1, 0
	s_delay_alu instid0(SALU_CYCLE_1) | instskip(NEXT) | instid1(SALU_CYCLE_1)
	s_or_b32 s3, s3, s4
	s_and_not1_b32 vcc_lo, exec_lo, s3
	s_cbranch_vccnz .LBB105_30
; %bb.5:
	s_clause 0x1
	s_load_b32 s3, s[0:1], 0x20
	s_load_b128 s[12:15], s[0:1], 0x10
	s_getreg_b32 s21, hwreg(HW_REG_IB_STS2, 6, 4)
	s_wait_kmcnt 0x0
	v_dual_mov_b32 v7, 0 :: v_dual_lshrrev_b32 v1, s3, v0
	s_add_co_i32 s4, s3, 1
	s_clause 0x1
	s_load_b32 s17, s[14:15], s3 offset:0x0 scale_offset
	s_load_b32 s20, s[14:15], s4 offset:0x0 scale_offset
	s_wait_xcnt 0x0
	s_bfe_u32 s14, ttmp6, 0x4000c
	s_load_b256 s[4:11], s[0:1], 0x30
	s_add_co_i32 s14, s14, 1
	s_and_b32 s15, ttmp6, 15
	s_mul_i32 s14, ttmp9, s14
	v_bfe_u32 v6, v0, 0, s3
	s_add_co_i32 s15, s15, s14
	s_lshr_b32 s14, 0x400, s3
	s_wait_kmcnt 0x0
	s_sub_co_i32 s20, s20, s17
	s_cmp_eq_u32 s21, 0
	s_cselect_b32 s15, ttmp9, s15
	s_delay_alu instid0(SALU_CYCLE_1) | instskip(NEXT) | instid1(SALU_CYCLE_1)
	s_mul_i32 s15, s14, s15
	v_add_nc_u32_e32 v1, s15, v1
	s_add_co_i32 s21, s15, s14
	s_delay_alu instid0(SALU_CYCLE_1) | instskip(SKIP_1) | instid1(VALU_DEP_1)
	s_min_u32 s20, s20, s21
	s_mov_b32 s21, exec_lo
	v_cmpx_gt_u32_e64 s20, v1
	s_cbranch_execz .LBB105_9
; %bb.6:
	v_add_nc_u32_e32 v1, s17, v1
	s_mov_b32 s22, exec_lo
	global_load_b32 v2, v1, s[12:13] scale_offset
	s_wait_loadcnt 0x0
	v_dual_mov_b32 v1, v7 :: v_dual_ashrrev_i32 v3, 31, v2
	s_delay_alu instid0(VALU_DEP_1) | instskip(SKIP_3) | instid1(VALU_DEP_1)
	v_lshl_add_u64 v[2:3], v[2:3], 3, s[4:5]
	global_load_b128 v[2:5], v[2:3], off
	s_wait_loadcnt 0x0
	v_sub_nc_u64_e32 v[4:5], v[4:5], v[2:3]
	v_cmpx_gt_i64_e64 v[4:5], v[6:7]
	s_cbranch_execz .LBB105_8
; %bb.7:
	v_sub_nc_u64_e64 v[2:3], v[2:3], s[18:19]
	s_delay_alu instid0(VALU_DEP_1) | instskip(NEXT) | instid1(VALU_DEP_1)
	v_add_nc_u64_e32 v[2:3], v[2:3], v[6:7]
	v_lshl_add_u64 v[4:5], v[2:3], 2, s[6:7]
	v_add_nc_u64_e32 v[2:3], s[8:9], v[2:3]
	global_load_b32 v1, v[4:5], off
	global_load_i8 v2, v[2:3], off
	s_wait_loadcnt 0x1
	v_subrev_nc_u32_e32 v1, s18, v1
	s_wait_loadcnt 0x0
	v_cvt_f32_i32_e32 v2, v2
	global_load_i8 v1, v1, s[10:11]
	v_mul_f32_e32 v2, s16, v2
	s_wait_loadcnt 0x0
	v_cvt_f32_i32_e32 v1, v1
	s_delay_alu instid0(VALU_DEP_1)
	v_mul_f32_e32 v1, v2, v1
.LBB105_8:
	s_or_b32 exec_lo, exec_lo, s22
	v_lshlrev_b32_e32 v2, 2, v0
	ds_store_b32 v2, v1
.LBB105_9:
	s_or_b32 exec_lo, exec_lo, s21
	s_load_b64 s[0:1], s[0:1], 0x58
	v_or_b32_e32 v1, 0x100, v0
	s_mov_b32 s21, exec_lo
	s_delay_alu instid0(VALU_DEP_1) | instskip(NEXT) | instid1(VALU_DEP_1)
	v_lshrrev_b32_e32 v1, s3, v1
	v_add_nc_u32_e32 v1, s15, v1
	s_delay_alu instid0(VALU_DEP_1)
	v_cmpx_gt_u32_e64 s20, v1
	s_cbranch_execz .LBB105_13
; %bb.10:
	v_add_nc_u32_e32 v1, s17, v1
	s_mov_b32 s22, exec_lo
	global_load_b32 v2, v1, s[12:13] scale_offset
	s_wait_loadcnt 0x0
	v_dual_mov_b32 v1, 0 :: v_dual_ashrrev_i32 v3, 31, v2
	s_delay_alu instid0(VALU_DEP_1) | instskip(SKIP_3) | instid1(VALU_DEP_1)
	v_lshl_add_u64 v[2:3], v[2:3], 3, s[4:5]
	global_load_b128 v[2:5], v[2:3], off
	s_wait_loadcnt 0x0
	v_sub_nc_u64_e32 v[4:5], v[4:5], v[2:3]
	v_cmpx_gt_i64_e64 v[4:5], v[6:7]
	s_cbranch_execz .LBB105_12
; %bb.11:
	v_sub_nc_u64_e64 v[2:3], v[2:3], s[18:19]
	s_delay_alu instid0(VALU_DEP_1) | instskip(NEXT) | instid1(VALU_DEP_1)
	v_add_nc_u64_e32 v[2:3], v[2:3], v[6:7]
	v_lshl_add_u64 v[4:5], v[2:3], 2, s[6:7]
	v_add_nc_u64_e32 v[2:3], s[8:9], v[2:3]
	global_load_b32 v1, v[4:5], off
	global_load_i8 v2, v[2:3], off
	s_wait_loadcnt 0x1
	v_subrev_nc_u32_e32 v1, s18, v1
	s_wait_loadcnt 0x0
	v_cvt_f32_i32_e32 v2, v2
	global_load_i8 v1, v1, s[10:11]
	v_mul_f32_e32 v2, s16, v2
	s_wait_loadcnt 0x0
	v_cvt_f32_i32_e32 v1, v1
	s_delay_alu instid0(VALU_DEP_1)
	v_mul_f32_e32 v1, v2, v1
.LBB105_12:
	s_or_b32 exec_lo, exec_lo, s22
	v_lshlrev_b32_e32 v2, 2, v0
	ds_store_b32 v2, v1 offset:1024
.LBB105_13:
	s_or_b32 exec_lo, exec_lo, s21
	v_or_b32_e32 v1, 0x200, v0
	s_mov_b32 s21, exec_lo
	s_delay_alu instid0(VALU_DEP_1) | instskip(NEXT) | instid1(VALU_DEP_1)
	v_lshrrev_b32_e32 v1, s3, v1
	v_add_nc_u32_e32 v1, s15, v1
	s_delay_alu instid0(VALU_DEP_1)
	v_cmpx_gt_u32_e64 s20, v1
	s_cbranch_execz .LBB105_17
; %bb.14:
	v_add_nc_u32_e32 v1, s17, v1
	s_mov_b32 s22, exec_lo
	global_load_b32 v2, v1, s[12:13] scale_offset
	s_wait_loadcnt 0x0
	v_dual_mov_b32 v1, 0 :: v_dual_ashrrev_i32 v3, 31, v2
	s_delay_alu instid0(VALU_DEP_1) | instskip(SKIP_3) | instid1(VALU_DEP_1)
	v_lshl_add_u64 v[2:3], v[2:3], 3, s[4:5]
	global_load_b128 v[2:5], v[2:3], off
	s_wait_loadcnt 0x0
	v_sub_nc_u64_e32 v[4:5], v[4:5], v[2:3]
	v_cmpx_gt_i64_e64 v[4:5], v[6:7]
	s_cbranch_execz .LBB105_16
; %bb.15:
	v_sub_nc_u64_e64 v[2:3], v[2:3], s[18:19]
	s_delay_alu instid0(VALU_DEP_1) | instskip(NEXT) | instid1(VALU_DEP_1)
	v_add_nc_u64_e32 v[2:3], v[2:3], v[6:7]
	v_lshl_add_u64 v[4:5], v[2:3], 2, s[6:7]
	v_add_nc_u64_e32 v[2:3], s[8:9], v[2:3]
	global_load_b32 v1, v[4:5], off
	global_load_i8 v2, v[2:3], off
	s_wait_loadcnt 0x1
	v_subrev_nc_u32_e32 v1, s18, v1
	s_wait_loadcnt 0x0
	v_cvt_f32_i32_e32 v2, v2
	global_load_i8 v1, v1, s[10:11]
	v_mul_f32_e32 v2, s16, v2
	s_wait_loadcnt 0x0
	v_cvt_f32_i32_e32 v1, v1
	s_delay_alu instid0(VALU_DEP_1)
	v_mul_f32_e32 v1, v2, v1
.LBB105_16:
	s_or_b32 exec_lo, exec_lo, s22
	v_lshlrev_b32_e32 v2, 2, v0
	ds_store_b32 v2, v1 offset:2048
.LBB105_17:
	s_or_b32 exec_lo, exec_lo, s21
	v_or_b32_e32 v1, 0x300, v0
	s_mov_b32 s21, exec_lo
	s_delay_alu instid0(VALU_DEP_1) | instskip(NEXT) | instid1(VALU_DEP_1)
	v_lshrrev_b32_e32 v1, s3, v1
	v_add_nc_u32_e32 v1, s15, v1
	s_delay_alu instid0(VALU_DEP_1)
	v_cmpx_gt_u32_e64 s20, v1
	s_cbranch_execz .LBB105_21
; %bb.18:
	v_add_nc_u32_e32 v1, s17, v1
	global_load_b32 v2, v1, s[12:13] scale_offset
	s_wait_loadcnt 0x0
	v_dual_mov_b32 v1, 0 :: v_dual_ashrrev_i32 v3, 31, v2
	s_delay_alu instid0(VALU_DEP_1) | instskip(SKIP_4) | instid1(VALU_DEP_1)
	v_lshl_add_u64 v[2:3], v[2:3], 3, s[4:5]
	s_mov_b32 s4, exec_lo
	global_load_b128 v[2:5], v[2:3], off
	s_wait_loadcnt 0x0
	v_sub_nc_u64_e32 v[4:5], v[4:5], v[2:3]
	v_cmpx_gt_i64_e64 v[4:5], v[6:7]
	s_cbranch_execz .LBB105_20
; %bb.19:
	v_sub_nc_u64_e64 v[2:3], v[2:3], s[18:19]
	s_delay_alu instid0(VALU_DEP_1) | instskip(NEXT) | instid1(VALU_DEP_1)
	v_add_nc_u64_e32 v[2:3], v[2:3], v[6:7]
	v_lshl_add_u64 v[4:5], v[2:3], 2, s[6:7]
	v_add_nc_u64_e32 v[2:3], s[8:9], v[2:3]
	global_load_b32 v1, v[4:5], off
	global_load_i8 v2, v[2:3], off
	s_wait_loadcnt 0x1
	v_subrev_nc_u32_e32 v1, s18, v1
	s_wait_loadcnt 0x0
	v_cvt_f32_i32_e32 v2, v2
	global_load_i8 v1, v1, s[10:11]
	v_mul_f32_e32 v2, s16, v2
	s_wait_loadcnt 0x0
	v_cvt_f32_i32_e32 v1, v1
	s_delay_alu instid0(VALU_DEP_1)
	v_mul_f32_e32 v1, v2, v1
.LBB105_20:
	s_or_b32 exec_lo, exec_lo, s4
	v_lshlrev_b32_e32 v2, 2, v0
	ds_store_b32 v2, v1 offset:3072
.LBB105_21:
	s_or_b32 exec_lo, exec_lo, s21
	s_cmp_lt_u32 s3, 11
	s_wait_dscnt 0x0
	s_barrier_signal -1
	s_barrier_wait -1
	s_cbranch_scc0 .LBB105_30
; %bb.22:
	s_sub_co_i32 s4, s20, s15
	s_add_co_i32 s17, s17, s15
	s_cmp_neq_f32 s2, 0
	s_mov_b32 s5, 0
	s_cselect_b32 s6, -1, 0
	s_branch .LBB105_25
.LBB105_23:                             ;   in Loop: Header=BB105_25 Depth=1
	global_store_b32 v[2:3], v1, off
.LBB105_24:                             ;   in Loop: Header=BB105_25 Depth=1
	s_wait_xcnt 0x0
	s_or_b32 exec_lo, exec_lo, s7
	s_addk_co_i32 s5, 0x100
	s_delay_alu instid0(SALU_CYCLE_1)
	s_cmp_lt_u32 s5, s14
	s_cbranch_scc0 .LBB105_30
.LBB105_25:                             ; =>This Loop Header: Depth=1
                                        ;     Child Loop BB105_27 Depth 2
	v_add_nc_u32_e32 v1, s5, v0
	s_mov_b32 s7, exec_lo
	s_delay_alu instid0(VALU_DEP_1)
	v_cmpx_gt_u32_e64 s4, v1
	s_cbranch_execz .LBB105_24
; %bb.26:                               ;   in Loop: Header=BB105_25 Depth=1
	v_dual_add_nc_u32 v2, s17, v1 :: v_dual_lshlrev_b32 v1, s3, v1
	s_mov_b32 s8, 1
	global_load_b32 v2, v2, s[12:13] scale_offset
	v_dual_lshlrev_b32 v3, 2, v1 :: v_dual_mov_b32 v1, 0
.LBB105_27:                             ;   Parent Loop BB105_25 Depth=1
                                        ; =>  This Inner Loop Header: Depth=2
	ds_load_b32 v4, v3
	v_add_nc_u32_e32 v3, 4, v3
	s_lshr_b32 s9, s8, s3
	s_add_co_i32 s8, s8, 1
	s_cmp_lg_u32 s9, 0
	s_wait_dscnt 0x0
	v_add_f32_e32 v1, v1, v4
	s_cbranch_scc0 .LBB105_27
; %bb.28:                               ;   in Loop: Header=BB105_25 Depth=1
	s_wait_loadcnt 0x0
	v_ashrrev_i32_e32 v3, 31, v2
	s_and_b32 vcc_lo, exec_lo, s6
	s_wait_kmcnt 0x0
	s_wait_xcnt 0x0
	s_delay_alu instid0(VALU_DEP_1)
	v_lshl_add_u64 v[2:3], v[2:3], 2, s[0:1]
	s_cbranch_vccz .LBB105_23
; %bb.29:                               ;   in Loop: Header=BB105_25 Depth=1
	global_load_b32 v4, v[2:3], off
	s_wait_loadcnt 0x0
	v_fmac_f32_e32 v1, s2, v4
	s_branch .LBB105_23
.LBB105_30:
	s_endpgm
	.section	.rodata,"a",@progbits
	.p2align	6, 0x0
	.amdhsa_kernel _ZN9rocsparseL30csrmvn_lrb_short_rows_2_kernelIliaaffEEvbT_PT0_S3_jNS_24const_host_device_scalarIT4_EEPKS1_PKS2_PKT1_PKT2_S6_PT3_21rocsparse_index_base_b
		.amdhsa_group_segment_fixed_size 4096
		.amdhsa_private_segment_fixed_size 0
		.amdhsa_kernarg_size 104
		.amdhsa_user_sgpr_count 2
		.amdhsa_user_sgpr_dispatch_ptr 0
		.amdhsa_user_sgpr_queue_ptr 0
		.amdhsa_user_sgpr_kernarg_segment_ptr 1
		.amdhsa_user_sgpr_dispatch_id 0
		.amdhsa_user_sgpr_kernarg_preload_length 0
		.amdhsa_user_sgpr_kernarg_preload_offset 0
		.amdhsa_user_sgpr_private_segment_size 0
		.amdhsa_wavefront_size32 1
		.amdhsa_uses_dynamic_stack 0
		.amdhsa_enable_private_segment 0
		.amdhsa_system_sgpr_workgroup_id_x 1
		.amdhsa_system_sgpr_workgroup_id_y 0
		.amdhsa_system_sgpr_workgroup_id_z 0
		.amdhsa_system_sgpr_workgroup_info 0
		.amdhsa_system_vgpr_workitem_id 0
		.amdhsa_next_free_vgpr 8
		.amdhsa_next_free_sgpr 23
		.amdhsa_named_barrier_count 0
		.amdhsa_reserve_vcc 1
		.amdhsa_float_round_mode_32 0
		.amdhsa_float_round_mode_16_64 0
		.amdhsa_float_denorm_mode_32 3
		.amdhsa_float_denorm_mode_16_64 3
		.amdhsa_fp16_overflow 0
		.amdhsa_memory_ordered 1
		.amdhsa_forward_progress 1
		.amdhsa_inst_pref_size 12
		.amdhsa_round_robin_scheduling 0
		.amdhsa_exception_fp_ieee_invalid_op 0
		.amdhsa_exception_fp_denorm_src 0
		.amdhsa_exception_fp_ieee_div_zero 0
		.amdhsa_exception_fp_ieee_overflow 0
		.amdhsa_exception_fp_ieee_underflow 0
		.amdhsa_exception_fp_ieee_inexact 0
		.amdhsa_exception_int_div_zero 0
	.end_amdhsa_kernel
	.section	.text._ZN9rocsparseL30csrmvn_lrb_short_rows_2_kernelIliaaffEEvbT_PT0_S3_jNS_24const_host_device_scalarIT4_EEPKS1_PKS2_PKT1_PKT2_S6_PT3_21rocsparse_index_base_b,"axG",@progbits,_ZN9rocsparseL30csrmvn_lrb_short_rows_2_kernelIliaaffEEvbT_PT0_S3_jNS_24const_host_device_scalarIT4_EEPKS1_PKS2_PKT1_PKT2_S6_PT3_21rocsparse_index_base_b,comdat
.Lfunc_end105:
	.size	_ZN9rocsparseL30csrmvn_lrb_short_rows_2_kernelIliaaffEEvbT_PT0_S3_jNS_24const_host_device_scalarIT4_EEPKS1_PKS2_PKT1_PKT2_S6_PT3_21rocsparse_index_base_b, .Lfunc_end105-_ZN9rocsparseL30csrmvn_lrb_short_rows_2_kernelIliaaffEEvbT_PT0_S3_jNS_24const_host_device_scalarIT4_EEPKS1_PKS2_PKT1_PKT2_S6_PT3_21rocsparse_index_base_b
                                        ; -- End function
	.set _ZN9rocsparseL30csrmvn_lrb_short_rows_2_kernelIliaaffEEvbT_PT0_S3_jNS_24const_host_device_scalarIT4_EEPKS1_PKS2_PKT1_PKT2_S6_PT3_21rocsparse_index_base_b.num_vgpr, 8
	.set _ZN9rocsparseL30csrmvn_lrb_short_rows_2_kernelIliaaffEEvbT_PT0_S3_jNS_24const_host_device_scalarIT4_EEPKS1_PKS2_PKT1_PKT2_S6_PT3_21rocsparse_index_base_b.num_agpr, 0
	.set _ZN9rocsparseL30csrmvn_lrb_short_rows_2_kernelIliaaffEEvbT_PT0_S3_jNS_24const_host_device_scalarIT4_EEPKS1_PKS2_PKT1_PKT2_S6_PT3_21rocsparse_index_base_b.numbered_sgpr, 23
	.set _ZN9rocsparseL30csrmvn_lrb_short_rows_2_kernelIliaaffEEvbT_PT0_S3_jNS_24const_host_device_scalarIT4_EEPKS1_PKS2_PKT1_PKT2_S6_PT3_21rocsparse_index_base_b.num_named_barrier, 0
	.set _ZN9rocsparseL30csrmvn_lrb_short_rows_2_kernelIliaaffEEvbT_PT0_S3_jNS_24const_host_device_scalarIT4_EEPKS1_PKS2_PKT1_PKT2_S6_PT3_21rocsparse_index_base_b.private_seg_size, 0
	.set _ZN9rocsparseL30csrmvn_lrb_short_rows_2_kernelIliaaffEEvbT_PT0_S3_jNS_24const_host_device_scalarIT4_EEPKS1_PKS2_PKT1_PKT2_S6_PT3_21rocsparse_index_base_b.uses_vcc, 1
	.set _ZN9rocsparseL30csrmvn_lrb_short_rows_2_kernelIliaaffEEvbT_PT0_S3_jNS_24const_host_device_scalarIT4_EEPKS1_PKS2_PKT1_PKT2_S6_PT3_21rocsparse_index_base_b.uses_flat_scratch, 0
	.set _ZN9rocsparseL30csrmvn_lrb_short_rows_2_kernelIliaaffEEvbT_PT0_S3_jNS_24const_host_device_scalarIT4_EEPKS1_PKS2_PKT1_PKT2_S6_PT3_21rocsparse_index_base_b.has_dyn_sized_stack, 0
	.set _ZN9rocsparseL30csrmvn_lrb_short_rows_2_kernelIliaaffEEvbT_PT0_S3_jNS_24const_host_device_scalarIT4_EEPKS1_PKS2_PKT1_PKT2_S6_PT3_21rocsparse_index_base_b.has_recursion, 0
	.set _ZN9rocsparseL30csrmvn_lrb_short_rows_2_kernelIliaaffEEvbT_PT0_S3_jNS_24const_host_device_scalarIT4_EEPKS1_PKS2_PKT1_PKT2_S6_PT3_21rocsparse_index_base_b.has_indirect_call, 0
	.section	.AMDGPU.csdata,"",@progbits
; Kernel info:
; codeLenInByte = 1464
; TotalNumSgprs: 25
; NumVgprs: 8
; ScratchSize: 0
; MemoryBound: 0
; FloatMode: 240
; IeeeMode: 1
; LDSByteSize: 4096 bytes/workgroup (compile time only)
; SGPRBlocks: 0
; VGPRBlocks: 0
; NumSGPRsForWavesPerEU: 25
; NumVGPRsForWavesPerEU: 8
; NamedBarCnt: 0
; Occupancy: 16
; WaveLimiterHint : 1
; COMPUTE_PGM_RSRC2:SCRATCH_EN: 0
; COMPUTE_PGM_RSRC2:USER_SGPR: 2
; COMPUTE_PGM_RSRC2:TRAP_HANDLER: 0
; COMPUTE_PGM_RSRC2:TGID_X_EN: 1
; COMPUTE_PGM_RSRC2:TGID_Y_EN: 0
; COMPUTE_PGM_RSRC2:TGID_Z_EN: 0
; COMPUTE_PGM_RSRC2:TIDIG_COMP_CNT: 0
	.section	.text._ZN9rocsparseL41csrmvn_lrb_medium_rows_warp_reduce_kernelILj256ELj32EliaaffEEvbT1_lPT2_S3_jNS_24const_host_device_scalarIT6_EEPKS1_PKS2_PKT3_PKT4_S6_PT5_21rocsparse_index_base_b,"axG",@progbits,_ZN9rocsparseL41csrmvn_lrb_medium_rows_warp_reduce_kernelILj256ELj32EliaaffEEvbT1_lPT2_S3_jNS_24const_host_device_scalarIT6_EEPKS1_PKS2_PKT3_PKT4_S6_PT5_21rocsparse_index_base_b,comdat
	.globl	_ZN9rocsparseL41csrmvn_lrb_medium_rows_warp_reduce_kernelILj256ELj32EliaaffEEvbT1_lPT2_S3_jNS_24const_host_device_scalarIT6_EEPKS1_PKS2_PKT3_PKT4_S6_PT5_21rocsparse_index_base_b ; -- Begin function _ZN9rocsparseL41csrmvn_lrb_medium_rows_warp_reduce_kernelILj256ELj32EliaaffEEvbT1_lPT2_S3_jNS_24const_host_device_scalarIT6_EEPKS1_PKS2_PKT3_PKT4_S6_PT5_21rocsparse_index_base_b
	.p2align	8
	.type	_ZN9rocsparseL41csrmvn_lrb_medium_rows_warp_reduce_kernelILj256ELj32EliaaffEEvbT1_lPT2_S3_jNS_24const_host_device_scalarIT6_EEPKS1_PKS2_PKT3_PKT4_S6_PT5_21rocsparse_index_base_b,@function
_ZN9rocsparseL41csrmvn_lrb_medium_rows_warp_reduce_kernelILj256ELj32EliaaffEEvbT1_lPT2_S3_jNS_24const_host_device_scalarIT6_EEPKS1_PKS2_PKT3_PKT4_S6_PT5_21rocsparse_index_base_b: ; @_ZN9rocsparseL41csrmvn_lrb_medium_rows_warp_reduce_kernelILj256ELj32EliaaffEEvbT1_lPT2_S3_jNS_24const_host_device_scalarIT6_EEPKS1_PKS2_PKT3_PKT4_S6_PT5_21rocsparse_index_base_b
; %bb.0:
	s_clause 0x2
	s_load_b64 s[8:9], s[0:1], 0x68
	s_load_b64 s[10:11], s[0:1], 0x30
	;; [unrolled: 1-line block ×3, first 2 shown]
	s_wait_kmcnt 0x0
	s_bitcmp1_b32 s9, 0
	s_cselect_b32 s4, -1, 0
	s_delay_alu instid0(SALU_CYCLE_1)
	s_and_b32 vcc_lo, exec_lo, s4
	s_xor_b32 s4, s4, -1
	s_cbranch_vccnz .LBB106_2
; %bb.1:
	s_load_b32 s10, s[10:11], 0x0
.LBB106_2:
	s_and_not1_b32 vcc_lo, exec_lo, s4
	s_cbranch_vccnz .LBB106_4
; %bb.3:
	s_load_b32 s2, s[2:3], 0x0
.LBB106_4:
	s_wait_kmcnt 0x0
	s_cmp_neq_f32 s10, 0
	s_cselect_b32 s3, -1, 0
	s_cmp_neq_f32 s2, 1.0
	s_cselect_b32 s4, -1, 0
	s_delay_alu instid0(SALU_CYCLE_1) | instskip(NEXT) | instid1(SALU_CYCLE_1)
	s_or_b32 s3, s3, s4
	s_and_not1_b32 vcc_lo, exec_lo, s3
	s_cbranch_vccnz .LBB106_14
; %bb.5:
	s_bfe_u32 s3, ttmp6, 0x4000c
	s_load_b64 s[4:5], s[0:1], 0x10
	s_add_co_i32 s3, s3, 1
	s_and_b32 s6, ttmp6, 15
	s_mul_i32 s3, ttmp9, s3
	s_getreg_b32 s7, hwreg(HW_REG_IB_STS2, 6, 4)
	v_lshrrev_b32_e32 v1, 5, v0
	s_add_co_i32 s6, s6, s3
	s_cmp_eq_u32 s7, 0
	s_cselect_b32 s3, ttmp9, s6
	s_delay_alu instid0(VALU_DEP_1) | instid1(SALU_CYCLE_1)
	v_lshl_or_b32 v2, s3, 3, v1
	s_mov_b32 s3, exec_lo
	s_delay_alu instid0(VALU_DEP_1) | instskip(SKIP_1) | instid1(VALU_DEP_1)
	v_ashrrev_i32_e32 v3, 31, v2
	s_wait_kmcnt 0x0
	v_cmpx_gt_i64_e64 s[4:5], v[2:3]
	s_cbranch_execz .LBB106_14
; %bb.6:
	s_clause 0x1
	s_load_b128 s[4:7], s[0:1], 0x18
	s_load_b32 s3, s[0:1], 0x28
	v_and_b32_e32 v0, 31, v0
	s_mov_b32 s9, 0
	s_wait_kmcnt 0x0
	s_load_b32 s3, s[6:7], s3 offset:0x0 scale_offset
	s_wait_kmcnt 0x0
	v_add_nc_u32_e32 v1, s3, v2
	s_mov_b32 s3, exec_lo
	global_load_b32 v2, v1, s[4:5] scale_offset
	s_wait_xcnt 0x0
	s_load_b64 s[4:5], s[0:1], 0x38
	v_mov_b32_e32 v1, 0
	s_delay_alu instid0(VALU_DEP_1) | instskip(SKIP_3) | instid1(VALU_DEP_1)
	v_sub_nc_u64_e64 v[10:11], v[0:1], s[8:9]
	s_wait_loadcnt 0x0
	v_ashrrev_i32_e32 v3, 31, v2
	s_wait_kmcnt 0x0
	v_lshl_add_u64 v[4:5], v[2:3], 3, s[4:5]
	global_load_b128 v[6:9], v[4:5], off
	s_wait_loadcnt 0x0
	v_sub_nc_u64_e64 v[4:5], v[8:9], s[8:9]
	v_add_nc_u64_e32 v[6:7], v[6:7], v[10:11]
	s_delay_alu instid0(VALU_DEP_1)
	v_cmpx_lt_i64_e64 v[6:7], v[4:5]
	s_cbranch_execz .LBB106_10
; %bb.7:
	s_clause 0x1
	s_load_b128 s[4:7], s[0:1], 0x40
	s_load_b64 s[12:13], s[0:1], 0x50
	v_mov_b32_e32 v1, 0
	s_wait_kmcnt 0x0
	v_lshl_add_u64 v[8:9], v[6:7], 2, s[4:5]
.LBB106_8:                              ; =>This Inner Loop Header: Depth=1
	global_load_b32 v12, v[8:9], off
	v_add_nc_u64_e32 v[10:11], s[6:7], v[6:7]
	v_add_nc_u64_e32 v[6:7], 32, v[6:7]
	s_wait_xcnt 0x0
	v_add_nc_u64_e32 v[8:9], 0x80, v[8:9]
	global_load_i8 v10, v[10:11], off
	v_cmp_ge_i64_e32 vcc_lo, v[6:7], v[4:5]
	s_or_b32 s9, vcc_lo, s9
	s_wait_loadcnt 0x1
	s_wait_xcnt 0x0
	v_subrev_nc_u32_e32 v11, s8, v12
	global_load_i8 v11, v11, s[12:13]
	s_wait_loadcnt 0x1
	v_cvt_f32_i32_e32 v10, v10
	s_delay_alu instid0(VALU_DEP_1) | instskip(SKIP_2) | instid1(VALU_DEP_1)
	v_mul_f32_e32 v10, s10, v10
	s_wait_loadcnt 0x0
	v_cvt_f32_i32_e32 v11, v11
	v_fmac_f32_e32 v1, v10, v11
	s_and_not1_b32 exec_lo, exec_lo, s9
	s_cbranch_execnz .LBB106_8
; %bb.9:
	s_or_b32 exec_lo, exec_lo, s9
.LBB106_10:
	s_delay_alu instid0(SALU_CYCLE_1) | instskip(SKIP_2) | instid1(VALU_DEP_1)
	s_or_b32 exec_lo, exec_lo, s3
	v_mbcnt_lo_u32_b32 v4, -1, 0
	s_load_b64 s[0:1], s[0:1], 0x60
	v_xor_b32_e32 v6, 8, v4
	v_xor_b32_e32 v5, 16, v4
	s_delay_alu instid0(VALU_DEP_1) | instskip(SKIP_1) | instid1(VALU_DEP_4)
	v_cmp_gt_i32_e32 vcc_lo, 32, v5
	v_cndmask_b32_e32 v5, v4, v5, vcc_lo
	v_cmp_gt_i32_e32 vcc_lo, 32, v6
	v_cndmask_b32_e32 v6, v4, v6, vcc_lo
	s_delay_alu instid0(VALU_DEP_1)
	v_dual_lshlrev_b32 v6, 2, v6 :: v_dual_lshlrev_b32 v5, 2, v5
	ds_bpermute_b32 v5, v5, v1
	s_wait_dscnt 0x0
	v_add_f32_e32 v1, v1, v5
	ds_bpermute_b32 v5, v6, v1
	v_xor_b32_e32 v6, 4, v4
	s_delay_alu instid0(VALU_DEP_1) | instskip(SKIP_2) | instid1(VALU_DEP_1)
	v_cmp_gt_i32_e32 vcc_lo, 32, v6
	s_wait_dscnt 0x0
	v_dual_cndmask_b32 v6, v4, v6 :: v_dual_add_f32 v1, v1, v5
	v_lshlrev_b32_e32 v6, 2, v6
	ds_bpermute_b32 v5, v6, v1
	s_wait_dscnt 0x0
	v_dual_add_f32 v1, v1, v5 :: v_dual_bitop2_b32 v6, 2, v4 bitop3:0x14
	s_delay_alu instid0(VALU_DEP_1) | instskip(SKIP_1) | instid1(VALU_DEP_1)
	v_cmp_gt_i32_e32 vcc_lo, 32, v6
	v_cndmask_b32_e32 v6, v4, v6, vcc_lo
	v_lshlrev_b32_e32 v6, 2, v6
	ds_bpermute_b32 v5, v6, v1
	v_xor_b32_e32 v6, 1, v4
	s_delay_alu instid0(VALU_DEP_1) | instskip(SKIP_3) | instid1(VALU_DEP_2)
	v_cmp_gt_i32_e32 vcc_lo, 32, v6
	v_cndmask_b32_e32 v4, v4, v6, vcc_lo
	v_cmp_eq_u32_e32 vcc_lo, 31, v0
	s_wait_dscnt 0x0
	v_dual_add_f32 v1, v1, v5 :: v_dual_lshlrev_b32 v4, 2, v4
	ds_bpermute_b32 v4, v4, v1
	s_and_b32 exec_lo, exec_lo, vcc_lo
	s_cbranch_execz .LBB106_14
; %bb.11:
	s_wait_dscnt 0x0
	v_add_f32_e32 v4, v1, v4
	s_wait_kmcnt 0x0
	v_lshl_add_u64 v[0:1], v[2:3], 2, s[0:1]
	s_cmp_eq_f32 s2, 0
	s_cbranch_scc1 .LBB106_13
; %bb.12:
	global_load_b32 v2, v[0:1], off
	s_wait_loadcnt 0x0
	v_fmac_f32_e32 v4, s2, v2
.LBB106_13:
	global_store_b32 v[0:1], v4, off
.LBB106_14:
	s_endpgm
	.section	.rodata,"a",@progbits
	.p2align	6, 0x0
	.amdhsa_kernel _ZN9rocsparseL41csrmvn_lrb_medium_rows_warp_reduce_kernelILj256ELj32EliaaffEEvbT1_lPT2_S3_jNS_24const_host_device_scalarIT6_EEPKS1_PKS2_PKT3_PKT4_S6_PT5_21rocsparse_index_base_b
		.amdhsa_group_segment_fixed_size 0
		.amdhsa_private_segment_fixed_size 0
		.amdhsa_kernarg_size 112
		.amdhsa_user_sgpr_count 2
		.amdhsa_user_sgpr_dispatch_ptr 0
		.amdhsa_user_sgpr_queue_ptr 0
		.amdhsa_user_sgpr_kernarg_segment_ptr 1
		.amdhsa_user_sgpr_dispatch_id 0
		.amdhsa_user_sgpr_kernarg_preload_length 0
		.amdhsa_user_sgpr_kernarg_preload_offset 0
		.amdhsa_user_sgpr_private_segment_size 0
		.amdhsa_wavefront_size32 1
		.amdhsa_uses_dynamic_stack 0
		.amdhsa_enable_private_segment 0
		.amdhsa_system_sgpr_workgroup_id_x 1
		.amdhsa_system_sgpr_workgroup_id_y 0
		.amdhsa_system_sgpr_workgroup_id_z 0
		.amdhsa_system_sgpr_workgroup_info 0
		.amdhsa_system_vgpr_workitem_id 0
		.amdhsa_next_free_vgpr 13
		.amdhsa_next_free_sgpr 14
		.amdhsa_named_barrier_count 0
		.amdhsa_reserve_vcc 1
		.amdhsa_float_round_mode_32 0
		.amdhsa_float_round_mode_16_64 0
		.amdhsa_float_denorm_mode_32 3
		.amdhsa_float_denorm_mode_16_64 3
		.amdhsa_fp16_overflow 0
		.amdhsa_memory_ordered 1
		.amdhsa_forward_progress 1
		.amdhsa_inst_pref_size 7
		.amdhsa_round_robin_scheduling 0
		.amdhsa_exception_fp_ieee_invalid_op 0
		.amdhsa_exception_fp_denorm_src 0
		.amdhsa_exception_fp_ieee_div_zero 0
		.amdhsa_exception_fp_ieee_overflow 0
		.amdhsa_exception_fp_ieee_underflow 0
		.amdhsa_exception_fp_ieee_inexact 0
		.amdhsa_exception_int_div_zero 0
	.end_amdhsa_kernel
	.section	.text._ZN9rocsparseL41csrmvn_lrb_medium_rows_warp_reduce_kernelILj256ELj32EliaaffEEvbT1_lPT2_S3_jNS_24const_host_device_scalarIT6_EEPKS1_PKS2_PKT3_PKT4_S6_PT5_21rocsparse_index_base_b,"axG",@progbits,_ZN9rocsparseL41csrmvn_lrb_medium_rows_warp_reduce_kernelILj256ELj32EliaaffEEvbT1_lPT2_S3_jNS_24const_host_device_scalarIT6_EEPKS1_PKS2_PKT3_PKT4_S6_PT5_21rocsparse_index_base_b,comdat
.Lfunc_end106:
	.size	_ZN9rocsparseL41csrmvn_lrb_medium_rows_warp_reduce_kernelILj256ELj32EliaaffEEvbT1_lPT2_S3_jNS_24const_host_device_scalarIT6_EEPKS1_PKS2_PKT3_PKT4_S6_PT5_21rocsparse_index_base_b, .Lfunc_end106-_ZN9rocsparseL41csrmvn_lrb_medium_rows_warp_reduce_kernelILj256ELj32EliaaffEEvbT1_lPT2_S3_jNS_24const_host_device_scalarIT6_EEPKS1_PKS2_PKT3_PKT4_S6_PT5_21rocsparse_index_base_b
                                        ; -- End function
	.set _ZN9rocsparseL41csrmvn_lrb_medium_rows_warp_reduce_kernelILj256ELj32EliaaffEEvbT1_lPT2_S3_jNS_24const_host_device_scalarIT6_EEPKS1_PKS2_PKT3_PKT4_S6_PT5_21rocsparse_index_base_b.num_vgpr, 13
	.set _ZN9rocsparseL41csrmvn_lrb_medium_rows_warp_reduce_kernelILj256ELj32EliaaffEEvbT1_lPT2_S3_jNS_24const_host_device_scalarIT6_EEPKS1_PKS2_PKT3_PKT4_S6_PT5_21rocsparse_index_base_b.num_agpr, 0
	.set _ZN9rocsparseL41csrmvn_lrb_medium_rows_warp_reduce_kernelILj256ELj32EliaaffEEvbT1_lPT2_S3_jNS_24const_host_device_scalarIT6_EEPKS1_PKS2_PKT3_PKT4_S6_PT5_21rocsparse_index_base_b.numbered_sgpr, 14
	.set _ZN9rocsparseL41csrmvn_lrb_medium_rows_warp_reduce_kernelILj256ELj32EliaaffEEvbT1_lPT2_S3_jNS_24const_host_device_scalarIT6_EEPKS1_PKS2_PKT3_PKT4_S6_PT5_21rocsparse_index_base_b.num_named_barrier, 0
	.set _ZN9rocsparseL41csrmvn_lrb_medium_rows_warp_reduce_kernelILj256ELj32EliaaffEEvbT1_lPT2_S3_jNS_24const_host_device_scalarIT6_EEPKS1_PKS2_PKT3_PKT4_S6_PT5_21rocsparse_index_base_b.private_seg_size, 0
	.set _ZN9rocsparseL41csrmvn_lrb_medium_rows_warp_reduce_kernelILj256ELj32EliaaffEEvbT1_lPT2_S3_jNS_24const_host_device_scalarIT6_EEPKS1_PKS2_PKT3_PKT4_S6_PT5_21rocsparse_index_base_b.uses_vcc, 1
	.set _ZN9rocsparseL41csrmvn_lrb_medium_rows_warp_reduce_kernelILj256ELj32EliaaffEEvbT1_lPT2_S3_jNS_24const_host_device_scalarIT6_EEPKS1_PKS2_PKT3_PKT4_S6_PT5_21rocsparse_index_base_b.uses_flat_scratch, 0
	.set _ZN9rocsparseL41csrmvn_lrb_medium_rows_warp_reduce_kernelILj256ELj32EliaaffEEvbT1_lPT2_S3_jNS_24const_host_device_scalarIT6_EEPKS1_PKS2_PKT3_PKT4_S6_PT5_21rocsparse_index_base_b.has_dyn_sized_stack, 0
	.set _ZN9rocsparseL41csrmvn_lrb_medium_rows_warp_reduce_kernelILj256ELj32EliaaffEEvbT1_lPT2_S3_jNS_24const_host_device_scalarIT6_EEPKS1_PKS2_PKT3_PKT4_S6_PT5_21rocsparse_index_base_b.has_recursion, 0
	.set _ZN9rocsparseL41csrmvn_lrb_medium_rows_warp_reduce_kernelILj256ELj32EliaaffEEvbT1_lPT2_S3_jNS_24const_host_device_scalarIT6_EEPKS1_PKS2_PKT3_PKT4_S6_PT5_21rocsparse_index_base_b.has_indirect_call, 0
	.section	.AMDGPU.csdata,"",@progbits
; Kernel info:
; codeLenInByte = 792
; TotalNumSgprs: 16
; NumVgprs: 13
; ScratchSize: 0
; MemoryBound: 0
; FloatMode: 240
; IeeeMode: 1
; LDSByteSize: 0 bytes/workgroup (compile time only)
; SGPRBlocks: 0
; VGPRBlocks: 0
; NumSGPRsForWavesPerEU: 16
; NumVGPRsForWavesPerEU: 13
; NamedBarCnt: 0
; Occupancy: 16
; WaveLimiterHint : 1
; COMPUTE_PGM_RSRC2:SCRATCH_EN: 0
; COMPUTE_PGM_RSRC2:USER_SGPR: 2
; COMPUTE_PGM_RSRC2:TRAP_HANDLER: 0
; COMPUTE_PGM_RSRC2:TGID_X_EN: 1
; COMPUTE_PGM_RSRC2:TGID_Y_EN: 0
; COMPUTE_PGM_RSRC2:TGID_Z_EN: 0
; COMPUTE_PGM_RSRC2:TIDIG_COMP_CNT: 0
	.section	.text._ZN9rocsparseL41csrmvn_lrb_medium_rows_warp_reduce_kernelILj256ELj64EliaaffEEvbT1_lPT2_S3_jNS_24const_host_device_scalarIT6_EEPKS1_PKS2_PKT3_PKT4_S6_PT5_21rocsparse_index_base_b,"axG",@progbits,_ZN9rocsparseL41csrmvn_lrb_medium_rows_warp_reduce_kernelILj256ELj64EliaaffEEvbT1_lPT2_S3_jNS_24const_host_device_scalarIT6_EEPKS1_PKS2_PKT3_PKT4_S6_PT5_21rocsparse_index_base_b,comdat
	.globl	_ZN9rocsparseL41csrmvn_lrb_medium_rows_warp_reduce_kernelILj256ELj64EliaaffEEvbT1_lPT2_S3_jNS_24const_host_device_scalarIT6_EEPKS1_PKS2_PKT3_PKT4_S6_PT5_21rocsparse_index_base_b ; -- Begin function _ZN9rocsparseL41csrmvn_lrb_medium_rows_warp_reduce_kernelILj256ELj64EliaaffEEvbT1_lPT2_S3_jNS_24const_host_device_scalarIT6_EEPKS1_PKS2_PKT3_PKT4_S6_PT5_21rocsparse_index_base_b
	.p2align	8
	.type	_ZN9rocsparseL41csrmvn_lrb_medium_rows_warp_reduce_kernelILj256ELj64EliaaffEEvbT1_lPT2_S3_jNS_24const_host_device_scalarIT6_EEPKS1_PKS2_PKT3_PKT4_S6_PT5_21rocsparse_index_base_b,@function
_ZN9rocsparseL41csrmvn_lrb_medium_rows_warp_reduce_kernelILj256ELj64EliaaffEEvbT1_lPT2_S3_jNS_24const_host_device_scalarIT6_EEPKS1_PKS2_PKT3_PKT4_S6_PT5_21rocsparse_index_base_b: ; @_ZN9rocsparseL41csrmvn_lrb_medium_rows_warp_reduce_kernelILj256ELj64EliaaffEEvbT1_lPT2_S3_jNS_24const_host_device_scalarIT6_EEPKS1_PKS2_PKT3_PKT4_S6_PT5_21rocsparse_index_base_b
; %bb.0:
	s_clause 0x2
	s_load_b64 s[8:9], s[0:1], 0x68
	s_load_b64 s[10:11], s[0:1], 0x30
	;; [unrolled: 1-line block ×3, first 2 shown]
	s_wait_kmcnt 0x0
	s_bitcmp1_b32 s9, 0
	s_cselect_b32 s4, -1, 0
	s_delay_alu instid0(SALU_CYCLE_1)
	s_and_b32 vcc_lo, exec_lo, s4
	s_xor_b32 s4, s4, -1
	s_cbranch_vccnz .LBB107_2
; %bb.1:
	s_load_b32 s10, s[10:11], 0x0
.LBB107_2:
	s_and_not1_b32 vcc_lo, exec_lo, s4
	s_cbranch_vccnz .LBB107_4
; %bb.3:
	s_load_b32 s2, s[2:3], 0x0
.LBB107_4:
	s_wait_kmcnt 0x0
	s_cmp_neq_f32 s10, 0
	s_cselect_b32 s3, -1, 0
	s_cmp_neq_f32 s2, 1.0
	s_cselect_b32 s4, -1, 0
	s_delay_alu instid0(SALU_CYCLE_1) | instskip(NEXT) | instid1(SALU_CYCLE_1)
	s_or_b32 s3, s3, s4
	s_and_not1_b32 vcc_lo, exec_lo, s3
	s_cbranch_vccnz .LBB107_14
; %bb.5:
	s_bfe_u32 s3, ttmp6, 0x4000c
	s_load_b64 s[4:5], s[0:1], 0x10
	s_add_co_i32 s3, s3, 1
	s_and_b32 s6, ttmp6, 15
	s_mul_i32 s3, ttmp9, s3
	s_getreg_b32 s7, hwreg(HW_REG_IB_STS2, 6, 4)
	v_lshrrev_b32_e32 v1, 6, v0
	s_add_co_i32 s6, s6, s3
	s_cmp_eq_u32 s7, 0
	s_cselect_b32 s3, ttmp9, s6
	s_delay_alu instid0(VALU_DEP_1) | instid1(SALU_CYCLE_1)
	v_lshl_or_b32 v2, s3, 2, v1
	s_mov_b32 s3, exec_lo
	s_delay_alu instid0(VALU_DEP_1) | instskip(SKIP_1) | instid1(VALU_DEP_1)
	v_ashrrev_i32_e32 v3, 31, v2
	s_wait_kmcnt 0x0
	v_cmpx_gt_i64_e64 s[4:5], v[2:3]
	s_cbranch_execz .LBB107_14
; %bb.6:
	s_clause 0x1
	s_load_b128 s[4:7], s[0:1], 0x18
	s_load_b32 s3, s[0:1], 0x28
	v_and_b32_e32 v0, 63, v0
	s_mov_b32 s9, 0
	s_wait_kmcnt 0x0
	s_load_b32 s3, s[6:7], s3 offset:0x0 scale_offset
	s_wait_kmcnt 0x0
	v_add_nc_u32_e32 v1, s3, v2
	s_mov_b32 s3, exec_lo
	global_load_b32 v2, v1, s[4:5] scale_offset
	s_wait_xcnt 0x0
	s_load_b64 s[4:5], s[0:1], 0x38
	v_mov_b32_e32 v1, 0
	s_delay_alu instid0(VALU_DEP_1) | instskip(SKIP_3) | instid1(VALU_DEP_1)
	v_sub_nc_u64_e64 v[10:11], v[0:1], s[8:9]
	s_wait_loadcnt 0x0
	v_ashrrev_i32_e32 v3, 31, v2
	s_wait_kmcnt 0x0
	v_lshl_add_u64 v[4:5], v[2:3], 3, s[4:5]
	global_load_b128 v[6:9], v[4:5], off
	s_wait_loadcnt 0x0
	v_sub_nc_u64_e64 v[4:5], v[8:9], s[8:9]
	v_add_nc_u64_e32 v[6:7], v[6:7], v[10:11]
	s_delay_alu instid0(VALU_DEP_1)
	v_cmpx_lt_i64_e64 v[6:7], v[4:5]
	s_cbranch_execz .LBB107_10
; %bb.7:
	s_clause 0x1
	s_load_b128 s[4:7], s[0:1], 0x40
	s_load_b64 s[12:13], s[0:1], 0x50
	v_mov_b32_e32 v1, 0
	s_wait_kmcnt 0x0
	v_lshl_add_u64 v[8:9], v[6:7], 2, s[4:5]
.LBB107_8:                              ; =>This Inner Loop Header: Depth=1
	global_load_b32 v12, v[8:9], off
	v_add_nc_u64_e32 v[10:11], s[6:7], v[6:7]
	v_add_nc_u64_e32 v[6:7], 64, v[6:7]
	s_wait_xcnt 0x0
	v_add_nc_u64_e32 v[8:9], 0x100, v[8:9]
	global_load_i8 v10, v[10:11], off
	v_cmp_ge_i64_e32 vcc_lo, v[6:7], v[4:5]
	s_or_b32 s9, vcc_lo, s9
	s_wait_loadcnt 0x1
	s_wait_xcnt 0x0
	v_subrev_nc_u32_e32 v11, s8, v12
	global_load_i8 v11, v11, s[12:13]
	s_wait_loadcnt 0x1
	v_cvt_f32_i32_e32 v10, v10
	s_delay_alu instid0(VALU_DEP_1) | instskip(SKIP_2) | instid1(VALU_DEP_1)
	v_mul_f32_e32 v10, s10, v10
	s_wait_loadcnt 0x0
	v_cvt_f32_i32_e32 v11, v11
	v_fmac_f32_e32 v1, v10, v11
	s_and_not1_b32 exec_lo, exec_lo, s9
	s_cbranch_execnz .LBB107_8
; %bb.9:
	s_or_b32 exec_lo, exec_lo, s9
.LBB107_10:
	s_delay_alu instid0(SALU_CYCLE_1) | instskip(SKIP_2) | instid1(VALU_DEP_1)
	s_or_b32 exec_lo, exec_lo, s3
	v_mbcnt_lo_u32_b32 v4, -1, 0
	s_load_b64 s[0:1], s[0:1], 0x60
	v_xor_b32_e32 v6, 16, v4
	v_or_b32_e32 v5, 32, v4
	s_delay_alu instid0(VALU_DEP_1) | instskip(SKIP_1) | instid1(VALU_DEP_4)
	v_cmp_gt_i32_e32 vcc_lo, 32, v5
	v_cndmask_b32_e32 v5, v4, v5, vcc_lo
	v_cmp_gt_i32_e32 vcc_lo, 32, v6
	v_cndmask_b32_e32 v6, v4, v6, vcc_lo
	s_delay_alu instid0(VALU_DEP_1)
	v_dual_lshlrev_b32 v6, 2, v6 :: v_dual_lshlrev_b32 v5, 2, v5
	ds_bpermute_b32 v5, v5, v1
	s_wait_dscnt 0x0
	v_add_f32_e32 v1, v1, v5
	ds_bpermute_b32 v5, v6, v1
	v_xor_b32_e32 v6, 8, v4
	s_delay_alu instid0(VALU_DEP_1) | instskip(SKIP_2) | instid1(VALU_DEP_1)
	v_cmp_gt_i32_e32 vcc_lo, 32, v6
	s_wait_dscnt 0x0
	v_dual_cndmask_b32 v6, v4, v6 :: v_dual_add_f32 v1, v1, v5
	v_lshlrev_b32_e32 v6, 2, v6
	ds_bpermute_b32 v5, v6, v1
	s_wait_dscnt 0x0
	v_dual_add_f32 v1, v1, v5 :: v_dual_bitop2_b32 v6, 4, v4 bitop3:0x14
	s_delay_alu instid0(VALU_DEP_1) | instskip(SKIP_1) | instid1(VALU_DEP_1)
	v_cmp_gt_i32_e32 vcc_lo, 32, v6
	v_cndmask_b32_e32 v6, v4, v6, vcc_lo
	v_lshlrev_b32_e32 v6, 2, v6
	ds_bpermute_b32 v5, v6, v1
	v_xor_b32_e32 v6, 2, v4
	s_delay_alu instid0(VALU_DEP_1) | instskip(SKIP_2) | instid1(VALU_DEP_1)
	v_cmp_gt_i32_e32 vcc_lo, 32, v6
	v_cndmask_b32_e32 v6, v4, v6, vcc_lo
	s_wait_dscnt 0x0
	v_dual_add_f32 v1, v1, v5 :: v_dual_lshlrev_b32 v6, 2, v6
	ds_bpermute_b32 v5, v6, v1
	v_xor_b32_e32 v6, 1, v4
	s_delay_alu instid0(VALU_DEP_1) | instskip(SKIP_3) | instid1(VALU_DEP_2)
	v_cmp_gt_i32_e32 vcc_lo, 32, v6
	v_cndmask_b32_e32 v4, v4, v6, vcc_lo
	v_cmp_eq_u32_e32 vcc_lo, 63, v0
	s_wait_dscnt 0x0
	v_dual_add_f32 v1, v1, v5 :: v_dual_lshlrev_b32 v4, 2, v4
	ds_bpermute_b32 v4, v4, v1
	s_and_b32 exec_lo, exec_lo, vcc_lo
	s_cbranch_execz .LBB107_14
; %bb.11:
	s_wait_dscnt 0x0
	v_add_f32_e32 v4, v1, v4
	s_wait_kmcnt 0x0
	v_lshl_add_u64 v[0:1], v[2:3], 2, s[0:1]
	s_cmp_eq_f32 s2, 0
	s_cbranch_scc1 .LBB107_13
; %bb.12:
	global_load_b32 v2, v[0:1], off
	s_wait_loadcnt 0x0
	v_fmac_f32_e32 v4, s2, v2
.LBB107_13:
	global_store_b32 v[0:1], v4, off
.LBB107_14:
	s_endpgm
	.section	.rodata,"a",@progbits
	.p2align	6, 0x0
	.amdhsa_kernel _ZN9rocsparseL41csrmvn_lrb_medium_rows_warp_reduce_kernelILj256ELj64EliaaffEEvbT1_lPT2_S3_jNS_24const_host_device_scalarIT6_EEPKS1_PKS2_PKT3_PKT4_S6_PT5_21rocsparse_index_base_b
		.amdhsa_group_segment_fixed_size 0
		.amdhsa_private_segment_fixed_size 0
		.amdhsa_kernarg_size 112
		.amdhsa_user_sgpr_count 2
		.amdhsa_user_sgpr_dispatch_ptr 0
		.amdhsa_user_sgpr_queue_ptr 0
		.amdhsa_user_sgpr_kernarg_segment_ptr 1
		.amdhsa_user_sgpr_dispatch_id 0
		.amdhsa_user_sgpr_kernarg_preload_length 0
		.amdhsa_user_sgpr_kernarg_preload_offset 0
		.amdhsa_user_sgpr_private_segment_size 0
		.amdhsa_wavefront_size32 1
		.amdhsa_uses_dynamic_stack 0
		.amdhsa_enable_private_segment 0
		.amdhsa_system_sgpr_workgroup_id_x 1
		.amdhsa_system_sgpr_workgroup_id_y 0
		.amdhsa_system_sgpr_workgroup_id_z 0
		.amdhsa_system_sgpr_workgroup_info 0
		.amdhsa_system_vgpr_workitem_id 0
		.amdhsa_next_free_vgpr 13
		.amdhsa_next_free_sgpr 14
		.amdhsa_named_barrier_count 0
		.amdhsa_reserve_vcc 1
		.amdhsa_float_round_mode_32 0
		.amdhsa_float_round_mode_16_64 0
		.amdhsa_float_denorm_mode_32 3
		.amdhsa_float_denorm_mode_16_64 3
		.amdhsa_fp16_overflow 0
		.amdhsa_memory_ordered 1
		.amdhsa_forward_progress 1
		.amdhsa_inst_pref_size 7
		.amdhsa_round_robin_scheduling 0
		.amdhsa_exception_fp_ieee_invalid_op 0
		.amdhsa_exception_fp_denorm_src 0
		.amdhsa_exception_fp_ieee_div_zero 0
		.amdhsa_exception_fp_ieee_overflow 0
		.amdhsa_exception_fp_ieee_underflow 0
		.amdhsa_exception_fp_ieee_inexact 0
		.amdhsa_exception_int_div_zero 0
	.end_amdhsa_kernel
	.section	.text._ZN9rocsparseL41csrmvn_lrb_medium_rows_warp_reduce_kernelILj256ELj64EliaaffEEvbT1_lPT2_S3_jNS_24const_host_device_scalarIT6_EEPKS1_PKS2_PKT3_PKT4_S6_PT5_21rocsparse_index_base_b,"axG",@progbits,_ZN9rocsparseL41csrmvn_lrb_medium_rows_warp_reduce_kernelILj256ELj64EliaaffEEvbT1_lPT2_S3_jNS_24const_host_device_scalarIT6_EEPKS1_PKS2_PKT3_PKT4_S6_PT5_21rocsparse_index_base_b,comdat
.Lfunc_end107:
	.size	_ZN9rocsparseL41csrmvn_lrb_medium_rows_warp_reduce_kernelILj256ELj64EliaaffEEvbT1_lPT2_S3_jNS_24const_host_device_scalarIT6_EEPKS1_PKS2_PKT3_PKT4_S6_PT5_21rocsparse_index_base_b, .Lfunc_end107-_ZN9rocsparseL41csrmvn_lrb_medium_rows_warp_reduce_kernelILj256ELj64EliaaffEEvbT1_lPT2_S3_jNS_24const_host_device_scalarIT6_EEPKS1_PKS2_PKT3_PKT4_S6_PT5_21rocsparse_index_base_b
                                        ; -- End function
	.set _ZN9rocsparseL41csrmvn_lrb_medium_rows_warp_reduce_kernelILj256ELj64EliaaffEEvbT1_lPT2_S3_jNS_24const_host_device_scalarIT6_EEPKS1_PKS2_PKT3_PKT4_S6_PT5_21rocsparse_index_base_b.num_vgpr, 13
	.set _ZN9rocsparseL41csrmvn_lrb_medium_rows_warp_reduce_kernelILj256ELj64EliaaffEEvbT1_lPT2_S3_jNS_24const_host_device_scalarIT6_EEPKS1_PKS2_PKT3_PKT4_S6_PT5_21rocsparse_index_base_b.num_agpr, 0
	.set _ZN9rocsparseL41csrmvn_lrb_medium_rows_warp_reduce_kernelILj256ELj64EliaaffEEvbT1_lPT2_S3_jNS_24const_host_device_scalarIT6_EEPKS1_PKS2_PKT3_PKT4_S6_PT5_21rocsparse_index_base_b.numbered_sgpr, 14
	.set _ZN9rocsparseL41csrmvn_lrb_medium_rows_warp_reduce_kernelILj256ELj64EliaaffEEvbT1_lPT2_S3_jNS_24const_host_device_scalarIT6_EEPKS1_PKS2_PKT3_PKT4_S6_PT5_21rocsparse_index_base_b.num_named_barrier, 0
	.set _ZN9rocsparseL41csrmvn_lrb_medium_rows_warp_reduce_kernelILj256ELj64EliaaffEEvbT1_lPT2_S3_jNS_24const_host_device_scalarIT6_EEPKS1_PKS2_PKT3_PKT4_S6_PT5_21rocsparse_index_base_b.private_seg_size, 0
	.set _ZN9rocsparseL41csrmvn_lrb_medium_rows_warp_reduce_kernelILj256ELj64EliaaffEEvbT1_lPT2_S3_jNS_24const_host_device_scalarIT6_EEPKS1_PKS2_PKT3_PKT4_S6_PT5_21rocsparse_index_base_b.uses_vcc, 1
	.set _ZN9rocsparseL41csrmvn_lrb_medium_rows_warp_reduce_kernelILj256ELj64EliaaffEEvbT1_lPT2_S3_jNS_24const_host_device_scalarIT6_EEPKS1_PKS2_PKT3_PKT4_S6_PT5_21rocsparse_index_base_b.uses_flat_scratch, 0
	.set _ZN9rocsparseL41csrmvn_lrb_medium_rows_warp_reduce_kernelILj256ELj64EliaaffEEvbT1_lPT2_S3_jNS_24const_host_device_scalarIT6_EEPKS1_PKS2_PKT3_PKT4_S6_PT5_21rocsparse_index_base_b.has_dyn_sized_stack, 0
	.set _ZN9rocsparseL41csrmvn_lrb_medium_rows_warp_reduce_kernelILj256ELj64EliaaffEEvbT1_lPT2_S3_jNS_24const_host_device_scalarIT6_EEPKS1_PKS2_PKT3_PKT4_S6_PT5_21rocsparse_index_base_b.has_recursion, 0
	.set _ZN9rocsparseL41csrmvn_lrb_medium_rows_warp_reduce_kernelILj256ELj64EliaaffEEvbT1_lPT2_S3_jNS_24const_host_device_scalarIT6_EEPKS1_PKS2_PKT3_PKT4_S6_PT5_21rocsparse_index_base_b.has_indirect_call, 0
	.section	.AMDGPU.csdata,"",@progbits
; Kernel info:
; codeLenInByte = 828
; TotalNumSgprs: 16
; NumVgprs: 13
; ScratchSize: 0
; MemoryBound: 0
; FloatMode: 240
; IeeeMode: 1
; LDSByteSize: 0 bytes/workgroup (compile time only)
; SGPRBlocks: 0
; VGPRBlocks: 0
; NumSGPRsForWavesPerEU: 16
; NumVGPRsForWavesPerEU: 13
; NamedBarCnt: 0
; Occupancy: 16
; WaveLimiterHint : 1
; COMPUTE_PGM_RSRC2:SCRATCH_EN: 0
; COMPUTE_PGM_RSRC2:USER_SGPR: 2
; COMPUTE_PGM_RSRC2:TRAP_HANDLER: 0
; COMPUTE_PGM_RSRC2:TGID_X_EN: 1
; COMPUTE_PGM_RSRC2:TGID_Y_EN: 0
; COMPUTE_PGM_RSRC2:TGID_Z_EN: 0
; COMPUTE_PGM_RSRC2:TIDIG_COMP_CNT: 0
	.section	.text._ZN9rocsparseL29csrmvn_lrb_medium_rows_kernelILj256EliaaffEEvbT0_PT1_S3_jNS_24const_host_device_scalarIT5_EEPKS1_PKS2_PKT2_PKT3_S6_PT4_21rocsparse_index_base_b,"axG",@progbits,_ZN9rocsparseL29csrmvn_lrb_medium_rows_kernelILj256EliaaffEEvbT0_PT1_S3_jNS_24const_host_device_scalarIT5_EEPKS1_PKS2_PKT2_PKT3_S6_PT4_21rocsparse_index_base_b,comdat
	.globl	_ZN9rocsparseL29csrmvn_lrb_medium_rows_kernelILj256EliaaffEEvbT0_PT1_S3_jNS_24const_host_device_scalarIT5_EEPKS1_PKS2_PKT2_PKT3_S6_PT4_21rocsparse_index_base_b ; -- Begin function _ZN9rocsparseL29csrmvn_lrb_medium_rows_kernelILj256EliaaffEEvbT0_PT1_S3_jNS_24const_host_device_scalarIT5_EEPKS1_PKS2_PKT2_PKT3_S6_PT4_21rocsparse_index_base_b
	.p2align	8
	.type	_ZN9rocsparseL29csrmvn_lrb_medium_rows_kernelILj256EliaaffEEvbT0_PT1_S3_jNS_24const_host_device_scalarIT5_EEPKS1_PKS2_PKT2_PKT3_S6_PT4_21rocsparse_index_base_b,@function
_ZN9rocsparseL29csrmvn_lrb_medium_rows_kernelILj256EliaaffEEvbT0_PT1_S3_jNS_24const_host_device_scalarIT5_EEPKS1_PKS2_PKT2_PKT3_S6_PT4_21rocsparse_index_base_b: ; @_ZN9rocsparseL29csrmvn_lrb_medium_rows_kernelILj256EliaaffEEvbT0_PT1_S3_jNS_24const_host_device_scalarIT5_EEPKS1_PKS2_PKT2_PKT3_S6_PT4_21rocsparse_index_base_b
; %bb.0:
	s_clause 0x2
	s_load_b64 s[10:11], s[0:1], 0x60
	s_load_b64 s[12:13], s[0:1], 0x28
	;; [unrolled: 1-line block ×3, first 2 shown]
	s_wait_kmcnt 0x0
	s_bitcmp1_b32 s11, 0
	s_cselect_b32 s4, -1, 0
	s_delay_alu instid0(SALU_CYCLE_1)
	s_and_b32 vcc_lo, exec_lo, s4
	s_xor_b32 s4, s4, -1
	s_cbranch_vccnz .LBB108_2
; %bb.1:
	s_load_b32 s12, s[12:13], 0x0
.LBB108_2:
	s_and_not1_b32 vcc_lo, exec_lo, s4
	s_cbranch_vccnz .LBB108_4
; %bb.3:
	s_load_b32 s2, s[2:3], 0x0
.LBB108_4:
	s_wait_kmcnt 0x0
	s_cmp_neq_f32 s12, 0
	s_mov_b32 s11, 0
	s_cselect_b32 s3, -1, 0
	s_cmp_neq_f32 s2, 1.0
	s_cselect_b32 s4, -1, 0
	s_delay_alu instid0(SALU_CYCLE_1) | instskip(NEXT) | instid1(SALU_CYCLE_1)
	s_or_b32 s3, s3, s4
	s_and_not1_b32 vcc_lo, exec_lo, s3
	s_cbranch_vccnz .LBB108_29
; %bb.5:
	s_clause 0x1
	s_load_b128 s[4:7], s[0:1], 0x10
	s_load_b32 s3, s[0:1], 0x20
	s_getreg_b32 s8, hwreg(HW_REG_IB_STS2, 6, 4)
	v_mov_b32_e32 v1, 0
	s_delay_alu instid0(VALU_DEP_1)
	v_sub_nc_u64_e64 v[2:3], v[0:1], s[10:11]
	s_wait_kmcnt 0x0
	s_load_b32 s3, s[6:7], s3 offset:0x0 scale_offset
	s_wait_xcnt 0x0
	s_bfe_u32 s6, ttmp6, 0x4000c
	s_and_b32 s7, ttmp6, 15
	s_add_co_i32 s6, s6, 1
	s_delay_alu instid0(SALU_CYCLE_1) | instskip(NEXT) | instid1(SALU_CYCLE_1)
	s_mul_i32 s6, ttmp9, s6
	s_add_co_i32 s7, s7, s6
	s_cmp_eq_u32 s8, 0
	s_cselect_b32 s6, ttmp9, s7
	s_wait_kmcnt 0x0
	s_add_co_i32 s6, s3, s6
	s_mov_b32 s3, exec_lo
	s_ashr_i32 s7, s6, 31
	s_delay_alu instid0(SALU_CYCLE_1) | instskip(NEXT) | instid1(SALU_CYCLE_1)
	s_lshl_b64 s[6:7], s[6:7], 2
	s_add_nc_u64 s[4:5], s[4:5], s[6:7]
	s_load_b32 s8, s[4:5], 0x0
	s_load_b64 s[6:7], s[0:1], 0x30
	s_wait_kmcnt 0x0
	s_ashr_i32 s9, s8, 31
	s_delay_alu instid0(SALU_CYCLE_1) | instskip(NEXT) | instid1(SALU_CYCLE_1)
	s_lshl_b64 s[4:5], s[8:9], 3
	s_add_nc_u64 s[14:15], s[6:7], s[4:5]
	s_load_b128 s[4:7], s[14:15], 0x0
	s_wait_kmcnt 0x0
	v_add_nc_u64_e32 v[2:3], s[4:5], v[2:3]
	s_sub_nc_u64 s[14:15], s[6:7], s[10:11]
	s_delay_alu instid0(VALU_DEP_1) | instid1(SALU_CYCLE_1)
	v_cmpx_gt_i64_e64 s[14:15], v[2:3]
	s_cbranch_execz .LBB108_9
; %bb.6:
	s_clause 0x1
	s_load_b128 s[4:7], s[0:1], 0x38
	s_load_b64 s[16:17], s[0:1], 0x48
	v_mov_b32_e32 v1, 0
	s_wait_kmcnt 0x0
	v_lshl_add_u64 v[4:5], v[2:3], 2, s[4:5]
	s_mov_b32 s4, 0
.LBB108_7:                              ; =>This Inner Loop Header: Depth=1
	global_load_b32 v8, v[4:5], off
	v_add_nc_u64_e32 v[6:7], s[6:7], v[2:3]
	v_add_nc_u64_e32 v[2:3], 0x100, v[2:3]
	s_wait_xcnt 0x0
	v_add_nc_u64_e32 v[4:5], 0x400, v[4:5]
	global_load_i8 v6, v[6:7], off
	v_cmp_le_i64_e32 vcc_lo, s[14:15], v[2:3]
	s_or_b32 s4, vcc_lo, s4
	s_wait_loadcnt 0x1
	s_wait_xcnt 0x0
	v_subrev_nc_u32_e32 v7, s10, v8
	global_load_i8 v7, v7, s[16:17]
	s_wait_loadcnt 0x1
	v_cvt_f32_i32_e32 v6, v6
	s_delay_alu instid0(VALU_DEP_1) | instskip(SKIP_2) | instid1(VALU_DEP_1)
	v_mul_f32_e32 v6, s12, v6
	s_wait_loadcnt 0x0
	v_cvt_f32_i32_e32 v7, v7
	v_fmac_f32_e32 v1, v6, v7
	s_and_not1_b32 exec_lo, exec_lo, s4
	s_cbranch_execnz .LBB108_7
; %bb.8:
	s_or_b32 exec_lo, exec_lo, s4
.LBB108_9:
	s_delay_alu instid0(SALU_CYCLE_1)
	s_or_b32 exec_lo, exec_lo, s3
	s_load_b64 s[0:1], s[0:1], 0x58
	v_lshlrev_b32_e32 v2, 2, v0
	s_mov_b32 s3, exec_lo
	ds_store_b32 v2, v1
	s_wait_dscnt 0x0
	s_barrier_signal -1
	s_barrier_wait -1
	v_cmpx_gt_u32_e32 0x80, v0
	s_cbranch_execz .LBB108_11
; %bb.10:
	ds_load_2addr_stride64_b32 v[4:5], v2 offset1:2
	s_wait_dscnt 0x0
	v_add_f32_e32 v1, v4, v5
	ds_store_b32 v2, v1
.LBB108_11:
	s_or_b32 exec_lo, exec_lo, s3
	s_delay_alu instid0(SALU_CYCLE_1)
	s_mov_b32 s3, exec_lo
	s_wait_dscnt 0x0
	s_barrier_signal -1
	s_barrier_wait -1
	v_cmpx_gt_u32_e32 64, v0
	s_cbranch_execz .LBB108_13
; %bb.12:
	ds_load_2addr_stride64_b32 v[4:5], v2 offset1:1
	s_wait_dscnt 0x0
	v_add_f32_e32 v1, v4, v5
	ds_store_b32 v2, v1
.LBB108_13:
	s_or_b32 exec_lo, exec_lo, s3
	s_delay_alu instid0(SALU_CYCLE_1)
	s_mov_b32 s3, exec_lo
	s_wait_dscnt 0x0
	s_barrier_signal -1
	s_barrier_wait -1
	v_cmpx_gt_u32_e32 32, v0
	s_cbranch_execz .LBB108_15
; %bb.14:
	ds_load_2addr_b32 v[4:5], v2 offset1:32
	s_wait_dscnt 0x0
	v_add_f32_e32 v1, v4, v5
	ds_store_b32 v2, v1
.LBB108_15:
	s_or_b32 exec_lo, exec_lo, s3
	s_delay_alu instid0(SALU_CYCLE_1)
	s_mov_b32 s3, exec_lo
	s_wait_dscnt 0x0
	s_barrier_signal -1
	s_barrier_wait -1
	v_cmpx_gt_u32_e32 16, v0
	s_cbranch_execz .LBB108_17
; %bb.16:
	ds_load_2addr_b32 v[4:5], v2 offset1:16
	s_wait_dscnt 0x0
	v_add_f32_e32 v1, v4, v5
	ds_store_b32 v2, v1
.LBB108_17:
	;; [unrolled: 14-line block ×5, first 2 shown]
	s_or_b32 exec_lo, exec_lo, s3
	v_cmp_eq_u32_e32 vcc_lo, 0, v0
	s_wait_dscnt 0x0
	s_barrier_signal -1
	s_barrier_wait -1
	s_and_saveexec_b32 s3, vcc_lo
	s_cbranch_execz .LBB108_25
; %bb.24:
	v_mov_b32_e32 v2, 0
	ds_load_b64 v[0:1], v2
	s_wait_dscnt 0x0
	v_add_f32_e32 v0, v0, v1
	ds_store_b32 v2, v0
.LBB108_25:
	s_or_b32 exec_lo, exec_lo, s3
	s_wait_dscnt 0x0
	s_barrier_signal -1
	s_barrier_wait -1
	s_and_saveexec_b32 s3, vcc_lo
	s_cbranch_execz .LBB108_29
; %bb.26:
	v_mov_b32_e32 v0, 0
	s_cmp_eq_f32 s2, 0
	ds_load_b32 v1, v0
	s_cbranch_scc1 .LBB108_28
; %bb.27:
	s_lshl_b64 s[4:5], s[8:9], 2
	s_wait_kmcnt 0x0
	s_add_nc_u64 s[4:5], s[0:1], s[4:5]
	s_load_b32 s3, s[4:5], 0x0
	s_wait_dscnt 0x0
	s_wait_kmcnt 0x0
	v_fmac_f32_e64 v1, s2, s3
.LBB108_28:
	s_lshl_b64 s[2:3], s[8:9], 2
	s_wait_kmcnt 0x0
	s_add_nc_u64 s[0:1], s[0:1], s[2:3]
	s_wait_dscnt 0x0
	global_store_b32 v0, v1, s[0:1]
.LBB108_29:
	s_endpgm
	.section	.rodata,"a",@progbits
	.p2align	6, 0x0
	.amdhsa_kernel _ZN9rocsparseL29csrmvn_lrb_medium_rows_kernelILj256EliaaffEEvbT0_PT1_S3_jNS_24const_host_device_scalarIT5_EEPKS1_PKS2_PKT2_PKT3_S6_PT4_21rocsparse_index_base_b
		.amdhsa_group_segment_fixed_size 1024
		.amdhsa_private_segment_fixed_size 0
		.amdhsa_kernarg_size 104
		.amdhsa_user_sgpr_count 2
		.amdhsa_user_sgpr_dispatch_ptr 0
		.amdhsa_user_sgpr_queue_ptr 0
		.amdhsa_user_sgpr_kernarg_segment_ptr 1
		.amdhsa_user_sgpr_dispatch_id 0
		.amdhsa_user_sgpr_kernarg_preload_length 0
		.amdhsa_user_sgpr_kernarg_preload_offset 0
		.amdhsa_user_sgpr_private_segment_size 0
		.amdhsa_wavefront_size32 1
		.amdhsa_uses_dynamic_stack 0
		.amdhsa_enable_private_segment 0
		.amdhsa_system_sgpr_workgroup_id_x 1
		.amdhsa_system_sgpr_workgroup_id_y 0
		.amdhsa_system_sgpr_workgroup_id_z 0
		.amdhsa_system_sgpr_workgroup_info 0
		.amdhsa_system_vgpr_workitem_id 0
		.amdhsa_next_free_vgpr 9
		.amdhsa_next_free_sgpr 18
		.amdhsa_named_barrier_count 0
		.amdhsa_reserve_vcc 1
		.amdhsa_float_round_mode_32 0
		.amdhsa_float_round_mode_16_64 0
		.amdhsa_float_denorm_mode_32 3
		.amdhsa_float_denorm_mode_16_64 3
		.amdhsa_fp16_overflow 0
		.amdhsa_memory_ordered 1
		.amdhsa_forward_progress 1
		.amdhsa_inst_pref_size 9
		.amdhsa_round_robin_scheduling 0
		.amdhsa_exception_fp_ieee_invalid_op 0
		.amdhsa_exception_fp_denorm_src 0
		.amdhsa_exception_fp_ieee_div_zero 0
		.amdhsa_exception_fp_ieee_overflow 0
		.amdhsa_exception_fp_ieee_underflow 0
		.amdhsa_exception_fp_ieee_inexact 0
		.amdhsa_exception_int_div_zero 0
	.end_amdhsa_kernel
	.section	.text._ZN9rocsparseL29csrmvn_lrb_medium_rows_kernelILj256EliaaffEEvbT0_PT1_S3_jNS_24const_host_device_scalarIT5_EEPKS1_PKS2_PKT2_PKT3_S6_PT4_21rocsparse_index_base_b,"axG",@progbits,_ZN9rocsparseL29csrmvn_lrb_medium_rows_kernelILj256EliaaffEEvbT0_PT1_S3_jNS_24const_host_device_scalarIT5_EEPKS1_PKS2_PKT2_PKT3_S6_PT4_21rocsparse_index_base_b,comdat
.Lfunc_end108:
	.size	_ZN9rocsparseL29csrmvn_lrb_medium_rows_kernelILj256EliaaffEEvbT0_PT1_S3_jNS_24const_host_device_scalarIT5_EEPKS1_PKS2_PKT2_PKT3_S6_PT4_21rocsparse_index_base_b, .Lfunc_end108-_ZN9rocsparseL29csrmvn_lrb_medium_rows_kernelILj256EliaaffEEvbT0_PT1_S3_jNS_24const_host_device_scalarIT5_EEPKS1_PKS2_PKT2_PKT3_S6_PT4_21rocsparse_index_base_b
                                        ; -- End function
	.set _ZN9rocsparseL29csrmvn_lrb_medium_rows_kernelILj256EliaaffEEvbT0_PT1_S3_jNS_24const_host_device_scalarIT5_EEPKS1_PKS2_PKT2_PKT3_S6_PT4_21rocsparse_index_base_b.num_vgpr, 9
	.set _ZN9rocsparseL29csrmvn_lrb_medium_rows_kernelILj256EliaaffEEvbT0_PT1_S3_jNS_24const_host_device_scalarIT5_EEPKS1_PKS2_PKT2_PKT3_S6_PT4_21rocsparse_index_base_b.num_agpr, 0
	.set _ZN9rocsparseL29csrmvn_lrb_medium_rows_kernelILj256EliaaffEEvbT0_PT1_S3_jNS_24const_host_device_scalarIT5_EEPKS1_PKS2_PKT2_PKT3_S6_PT4_21rocsparse_index_base_b.numbered_sgpr, 18
	.set _ZN9rocsparseL29csrmvn_lrb_medium_rows_kernelILj256EliaaffEEvbT0_PT1_S3_jNS_24const_host_device_scalarIT5_EEPKS1_PKS2_PKT2_PKT3_S6_PT4_21rocsparse_index_base_b.num_named_barrier, 0
	.set _ZN9rocsparseL29csrmvn_lrb_medium_rows_kernelILj256EliaaffEEvbT0_PT1_S3_jNS_24const_host_device_scalarIT5_EEPKS1_PKS2_PKT2_PKT3_S6_PT4_21rocsparse_index_base_b.private_seg_size, 0
	.set _ZN9rocsparseL29csrmvn_lrb_medium_rows_kernelILj256EliaaffEEvbT0_PT1_S3_jNS_24const_host_device_scalarIT5_EEPKS1_PKS2_PKT2_PKT3_S6_PT4_21rocsparse_index_base_b.uses_vcc, 1
	.set _ZN9rocsparseL29csrmvn_lrb_medium_rows_kernelILj256EliaaffEEvbT0_PT1_S3_jNS_24const_host_device_scalarIT5_EEPKS1_PKS2_PKT2_PKT3_S6_PT4_21rocsparse_index_base_b.uses_flat_scratch, 0
	.set _ZN9rocsparseL29csrmvn_lrb_medium_rows_kernelILj256EliaaffEEvbT0_PT1_S3_jNS_24const_host_device_scalarIT5_EEPKS1_PKS2_PKT2_PKT3_S6_PT4_21rocsparse_index_base_b.has_dyn_sized_stack, 0
	.set _ZN9rocsparseL29csrmvn_lrb_medium_rows_kernelILj256EliaaffEEvbT0_PT1_S3_jNS_24const_host_device_scalarIT5_EEPKS1_PKS2_PKT2_PKT3_S6_PT4_21rocsparse_index_base_b.has_recursion, 0
	.set _ZN9rocsparseL29csrmvn_lrb_medium_rows_kernelILj256EliaaffEEvbT0_PT1_S3_jNS_24const_host_device_scalarIT5_EEPKS1_PKS2_PKT2_PKT3_S6_PT4_21rocsparse_index_base_b.has_indirect_call, 0
	.section	.AMDGPU.csdata,"",@progbits
; Kernel info:
; codeLenInByte = 1056
; TotalNumSgprs: 20
; NumVgprs: 9
; ScratchSize: 0
; MemoryBound: 0
; FloatMode: 240
; IeeeMode: 1
; LDSByteSize: 1024 bytes/workgroup (compile time only)
; SGPRBlocks: 0
; VGPRBlocks: 0
; NumSGPRsForWavesPerEU: 20
; NumVGPRsForWavesPerEU: 9
; NamedBarCnt: 0
; Occupancy: 16
; WaveLimiterHint : 1
; COMPUTE_PGM_RSRC2:SCRATCH_EN: 0
; COMPUTE_PGM_RSRC2:USER_SGPR: 2
; COMPUTE_PGM_RSRC2:TRAP_HANDLER: 0
; COMPUTE_PGM_RSRC2:TGID_X_EN: 1
; COMPUTE_PGM_RSRC2:TGID_Y_EN: 0
; COMPUTE_PGM_RSRC2:TGID_Z_EN: 0
; COMPUTE_PGM_RSRC2:TIDIG_COMP_CNT: 0
	.section	.text._ZN9rocsparseL27csrmvn_lrb_long_rows_kernelIliaaffEEvbT_PjPT0_S4_jNS_24const_host_device_scalarIT4_EEPKS1_PKS3_PKT1_PKT2_S7_PT3_21rocsparse_index_base_b,"axG",@progbits,_ZN9rocsparseL27csrmvn_lrb_long_rows_kernelIliaaffEEvbT_PjPT0_S4_jNS_24const_host_device_scalarIT4_EEPKS1_PKS3_PKT1_PKT2_S7_PT3_21rocsparse_index_base_b,comdat
	.globl	_ZN9rocsparseL27csrmvn_lrb_long_rows_kernelIliaaffEEvbT_PjPT0_S4_jNS_24const_host_device_scalarIT4_EEPKS1_PKS3_PKT1_PKT2_S7_PT3_21rocsparse_index_base_b ; -- Begin function _ZN9rocsparseL27csrmvn_lrb_long_rows_kernelIliaaffEEvbT_PjPT0_S4_jNS_24const_host_device_scalarIT4_EEPKS1_PKS3_PKT1_PKT2_S7_PT3_21rocsparse_index_base_b
	.p2align	8
	.type	_ZN9rocsparseL27csrmvn_lrb_long_rows_kernelIliaaffEEvbT_PjPT0_S4_jNS_24const_host_device_scalarIT4_EEPKS1_PKS3_PKT1_PKT2_S7_PT3_21rocsparse_index_base_b,@function
_ZN9rocsparseL27csrmvn_lrb_long_rows_kernelIliaaffEEvbT_PjPT0_S4_jNS_24const_host_device_scalarIT4_EEPKS1_PKS3_PKT1_PKT2_S7_PT3_21rocsparse_index_base_b: ; @_ZN9rocsparseL27csrmvn_lrb_long_rows_kernelIliaaffEEvbT_PjPT0_S4_jNS_24const_host_device_scalarIT4_EEPKS1_PKS3_PKT1_PKT2_S7_PT3_21rocsparse_index_base_b
; %bb.0:
	s_clause 0x2
	s_load_b64 s[16:17], s[0:1], 0x68
	s_load_b64 s[18:19], s[0:1], 0x30
	;; [unrolled: 1-line block ×3, first 2 shown]
	s_wait_kmcnt 0x0
	s_bitcmp1_b32 s17, 0
	s_cselect_b32 s2, -1, 0
	s_delay_alu instid0(SALU_CYCLE_1)
	s_and_b32 vcc_lo, exec_lo, s2
	s_xor_b32 s2, s2, -1
	s_cbranch_vccnz .LBB109_2
; %bb.1:
	s_load_b32 s18, s[18:19], 0x0
.LBB109_2:
	s_and_not1_b32 vcc_lo, exec_lo, s2
	s_cbranch_vccnz .LBB109_4
; %bb.3:
	s_load_b32 s20, s[20:21], 0x0
.LBB109_4:
	s_wait_kmcnt 0x0
	s_cmp_neq_f32 s18, 0
	s_cselect_b32 s2, -1, 0
	s_cmp_neq_f32 s20, 1.0
	s_cselect_b32 s3, -1, 0
	s_delay_alu instid0(SALU_CYCLE_1) | instskip(NEXT) | instid1(SALU_CYCLE_1)
	s_or_b32 s2, s2, s3
	s_and_not1_b32 vcc_lo, exec_lo, s2
	s_cbranch_vccnz .LBB109_38
; %bb.5:
	s_load_b96 s[4:6], s[0:1], 0x20
	s_bfe_u32 s8, ttmp6, 0x4000c
	s_and_b32 s7, ttmp6, 15
	s_add_co_i32 s8, s8, 1
	s_getreg_b32 s9, hwreg(HW_REG_IB_STS2, 6, 4)
	s_mul_i32 s8, ttmp9, s8
	v_mov_b32_e32 v8, 0
	s_add_co_i32 s7, s7, s8
	s_wait_kmcnt 0x0
	s_lshl_b32 s2, -1, s6
	s_load_b32 s8, s[4:5], s6 offset:0x0 scale_offset
	s_not_b32 s2, s2
	s_delay_alu instid0(SALU_CYCLE_1) | instskip(NEXT) | instid1(SALU_CYCLE_1)
	s_mul_hi_u32 s2, s2, 0x2aaaaaab
	s_lshr_b32 s2, s2, 7
	s_delay_alu instid0(SALU_CYCLE_1) | instskip(SKIP_2) | instid1(SALU_CYCLE_3)
	s_add_co_i32 s17, s2, 1
	s_not_b32 s2, s2
	s_cvt_f32_u32 s3, s17
	v_rcp_iflag_f32_e32 v1, s3
	v_nop
	s_delay_alu instid0(TRANS32_DEP_1) | instskip(SKIP_1) | instid1(SALU_CYCLE_3)
	v_readfirstlane_b32 s3, v1
	s_mul_f32 s3, s3, 0x4f7ffffe
	s_cvt_u32_f32 s3, s3
	s_delay_alu instid0(SALU_CYCLE_3) | instskip(NEXT) | instid1(SALU_CYCLE_1)
	s_mul_i32 s2, s2, s3
	s_mul_hi_u32 s2, s3, s2
	s_delay_alu instid0(SALU_CYCLE_1)
	s_add_co_i32 s3, s3, s2
	s_cmp_eq_u32 s9, 0
	s_cselect_b32 s22, ttmp9, s7
	s_wait_xcnt 0x0
	s_load_b128 s[4:7], s[0:1], 0x10
	s_mul_hi_u32 s2, s22, s3
	s_delay_alu instid0(SALU_CYCLE_1) | instskip(SKIP_2) | instid1(SALU_CYCLE_1)
	s_mul_i32 s3, s2, s17
	s_add_co_i32 s9, s2, 1
	s_sub_co_i32 s3, s22, s3
	s_sub_co_i32 s10, s3, s17
	s_cmp_ge_u32 s3, s17
	s_cselect_b32 s2, s9, s2
	s_cselect_b32 s3, s10, s3
	s_add_co_i32 s9, s2, 1
	s_cmp_ge_u32 s3, s17
	s_cselect_b32 s21, s9, s2
	s_ashr_i32 s23, s22, 31
	s_wait_kmcnt 0x0
	s_add_co_i32 s2, s21, s8
	s_lshl_b64 s[12:13], s[22:23], 2
	s_ashr_i32 s3, s2, 31
	s_add_nc_u64 s[12:13], s[4:5], s[12:13]
	s_lshl_b64 s[2:3], s[2:3], 2
	s_delay_alu instid0(SALU_CYCLE_1)
	s_add_nc_u64 s[8:9], s[6:7], s[2:3]
	s_load_b32 s2, s[8:9], 0x0
	s_clause 0x1
	s_load_b64 s[10:11], s[0:1], 0x38
	s_load_b64 s[6:7], s[0:1], 0x60
	s_wait_kmcnt 0x0
	s_ashr_i32 s3, s2, 31
	s_delay_alu instid0(SALU_CYCLE_1) | instskip(NEXT) | instid1(SALU_CYCLE_1)
	s_lshl_b64 s[8:9], s[2:3], 3
	s_add_nc_u64 s[14:15], s[10:11], s[8:9]
	s_load_b128 s[8:11], s[14:15], 0x0
	s_load_b32 s19, s[12:13], 0x0
	s_wait_xcnt 0x0
	s_mul_i32 s14, s21, s17
	s_delay_alu instid0(SALU_CYCLE_1) | instskip(NEXT) | instid1(SALU_CYCLE_1)
	s_sub_co_i32 s15, s22, s14
	v_or_b32_e32 v1, s15, v0
	s_delay_alu instid0(VALU_DEP_1)
	v_cmp_eq_u32_e32 vcc_lo, 0, v1
	v_mov_b32_e32 v1, 0
	s_and_saveexec_b32 s17, vcc_lo
	s_cbranch_execz .LBB109_9
; %bb.6:
	s_lshl_b64 s[22:23], s[2:3], 2
	s_add_f32 s20, s20, -1.0
	s_add_nc_u64 s[22:23], s[6:7], s[22:23]
	s_mov_b32 s21, exec_lo
	s_load_b32 s22, s[22:23], 0x0
	v_mbcnt_lo_u32_b32 v2, s21, 0
	global_wb scope:SCOPE_DEV
	s_wait_storecnt 0x0
	global_inv scope:SCOPE_DEV
	s_wait_kmcnt 0x0
	s_mul_f32 s20, s20, s22
	s_mov_b32 s22, exec_lo
	v_cmpx_eq_u32_e32 0, v2
	s_cbranch_execz .LBB109_8
; %bb.7:
	s_bcnt1_i32_b32 s21, s21
	s_delay_alu instid0(SALU_CYCLE_1) | instskip(NEXT) | instid1(SALU_CYCLE_1)
	s_and_b32 s21, s21, 1
	v_dual_mov_b32 v2, s14 :: v_dual_mov_b32 v3, s21
	global_atomic_xor_b32 v2, v3, s[4:5] scale_offset scope:SCOPE_DEV
.LBB109_8:
	s_wait_xcnt 0x0
	s_or_b32 exec_lo, exec_lo, s22
	v_mov_b32_e32 v8, s20
.LBB109_9:
	s_or_b32 exec_lo, exec_lo, s17
	s_mov_b32 s21, 0
	s_mul_i32 s20, s15, 3
	s_mov_b32 s17, s21
	s_lshl_b64 s[22:23], s[20:21], 8
	s_wait_kmcnt 0x0
	s_sub_nc_u64 s[8:9], s[8:9], s[16:17]
	s_sub_nc_u64 s[10:11], s[10:11], s[16:17]
	s_add_nc_u64 s[8:9], s[8:9], s[22:23]
	s_mov_b32 s17, exec_lo
	s_add_nc_u64 s[22:23], s[8:9], 0x300
	v_add_nc_u64_e32 v[4:5], s[8:9], v[0:1]
	v_min_i64 v[2:3], s[22:23], s[10:11]
	s_delay_alu instid0(VALU_DEP_1)
	v_cmpx_lt_i64_e64 v[4:5], v[2:3]
	s_cbranch_execz .LBB109_13
; %bb.10:
	s_clause 0x1
	s_load_b128 s[8:11], s[0:1], 0x40
	s_load_b64 s[22:23], s[0:1], 0x50
	s_wait_kmcnt 0x0
	v_lshl_add_u64 v[6:7], v[4:5], 2, s[8:9]
.LBB109_11:                             ; =>This Inner Loop Header: Depth=1
	global_load_b32 v1, v[6:7], off
	v_add_nc_u64_e32 v[10:11], s[10:11], v[4:5]
	v_add_nc_u64_e32 v[4:5], 0x100, v[4:5]
	s_wait_xcnt 0x0
	v_add_nc_u64_e32 v[6:7], 0x400, v[6:7]
	global_load_i8 v9, v[10:11], off
	v_cmp_ge_i64_e32 vcc_lo, v[4:5], v[2:3]
	s_or_b32 s21, vcc_lo, s21
	s_wait_loadcnt 0x1
	v_subrev_nc_u32_e32 v1, s16, v1
	global_load_i8 v1, v1, s[22:23]
	s_wait_loadcnt 0x1
	v_cvt_f32_i32_e32 v9, v9
	s_delay_alu instid0(VALU_DEP_1) | instskip(SKIP_2) | instid1(VALU_DEP_1)
	v_mul_f32_e32 v9, s18, v9
	s_wait_loadcnt 0x0
	v_cvt_f32_i32_e32 v1, v1
	v_fmac_f32_e32 v8, v9, v1
	s_and_not1_b32 exec_lo, exec_lo, s21
	s_cbranch_execnz .LBB109_11
; %bb.12:
	s_or_b32 exec_lo, exec_lo, s21
.LBB109_13:
	s_delay_alu instid0(SALU_CYCLE_1)
	s_or_b32 exec_lo, exec_lo, s17
	v_lshlrev_b32_e32 v1, 2, v0
	s_mov_b32 s0, exec_lo
	ds_store_b32 v1, v8
	s_wait_storecnt 0x0
	s_wait_loadcnt_dscnt 0x0
	s_barrier_signal -1
	s_barrier_wait -1
	v_cmpx_gt_u32_e32 0x80, v0
	s_cbranch_execz .LBB109_15
; %bb.14:
	ds_load_2addr_stride64_b32 v[2:3], v1 offset1:2
	s_wait_dscnt 0x0
	v_add_f32_e32 v2, v2, v3
	ds_store_b32 v1, v2
.LBB109_15:
	s_or_b32 exec_lo, exec_lo, s0
	s_delay_alu instid0(SALU_CYCLE_1)
	s_mov_b32 s0, exec_lo
	s_wait_dscnt 0x0
	s_barrier_signal -1
	s_barrier_wait -1
	v_cmpx_gt_u32_e32 64, v0
	s_cbranch_execz .LBB109_17
; %bb.16:
	ds_load_2addr_stride64_b32 v[2:3], v1 offset1:1
	s_wait_dscnt 0x0
	v_add_f32_e32 v2, v2, v3
	ds_store_b32 v1, v2
.LBB109_17:
	s_or_b32 exec_lo, exec_lo, s0
	s_delay_alu instid0(SALU_CYCLE_1)
	s_mov_b32 s0, exec_lo
	s_wait_dscnt 0x0
	s_barrier_signal -1
	s_barrier_wait -1
	v_cmpx_gt_u32_e32 32, v0
	s_cbranch_execz .LBB109_19
; %bb.18:
	ds_load_2addr_b32 v[2:3], v1 offset1:32
	s_wait_dscnt 0x0
	v_add_f32_e32 v2, v2, v3
	ds_store_b32 v1, v2
.LBB109_19:
	s_or_b32 exec_lo, exec_lo, s0
	s_delay_alu instid0(SALU_CYCLE_1)
	s_mov_b32 s0, exec_lo
	s_wait_dscnt 0x0
	s_barrier_signal -1
	s_barrier_wait -1
	v_cmpx_gt_u32_e32 16, v0
	s_cbranch_execz .LBB109_21
; %bb.20:
	ds_load_2addr_b32 v[2:3], v1 offset1:16
	s_wait_dscnt 0x0
	v_add_f32_e32 v2, v2, v3
	ds_store_b32 v1, v2
.LBB109_21:
	;; [unrolled: 14-line block ×5, first 2 shown]
	s_or_b32 exec_lo, exec_lo, s0
	v_cmp_eq_u32_e32 vcc_lo, 0, v0
	s_wait_dscnt 0x0
	s_barrier_signal -1
	s_barrier_wait -1
	s_and_saveexec_b32 s0, vcc_lo
	s_cbranch_execz .LBB109_29
; %bb.28:
	v_mov_b32_e32 v2, 0
	ds_load_b64 v[0:1], v2
	s_wait_dscnt 0x0
	v_add_f32_e32 v0, v0, v1
	ds_store_b32 v2, v0
.LBB109_29:
	s_or_b32 exec_lo, exec_lo, s0
	s_wait_dscnt 0x0
	s_barrier_signal -1
	s_barrier_wait -1
	s_and_saveexec_b32 s0, vcc_lo
	s_cbranch_execz .LBB109_38
; %bb.30:
	s_cmp_eq_u32 s15, 0
	s_cbranch_scc1 .LBB109_36
; %bb.31:
	s_ashr_i32 s15, s14, 31
	v_mov_b32_e32 v0, 0
	s_lshl_b64 s[0:1], s[14:15], 2
	s_delay_alu instid0(SALU_CYCLE_1)
	s_add_nc_u64 s[0:1], s[4:5], s[0:1]
	s_branch .LBB109_33
.LBB109_32:                             ;   in Loop: Header=BB109_33 Depth=1
	s_wait_xcnt 0x0
	s_or_b32 exec_lo, exec_lo, s4
	s_wait_loadcnt 0x0
	v_readfirstlane_b32 s4, v1
	s_cmp_eq_u32 s4, s19
	s_cbranch_scc0 .LBB109_35
.LBB109_33:                             ; =>This Inner Loop Header: Depth=1
	v_mbcnt_lo_u32_b32 v1, exec_lo, 0
	s_delay_alu instid0(VALU_DEP_1)
	v_cmp_eq_u32_e32 vcc_lo, 0, v1
                                        ; implicit-def: $vgpr1
	s_and_saveexec_b32 s4, vcc_lo
	s_cbranch_execz .LBB109_32
; %bb.34:                               ;   in Loop: Header=BB109_33 Depth=1
	global_load_b32 v1, v0, s[0:1] scope:SCOPE_DEV
	s_branch .LBB109_32
.LBB109_35:
	v_mov_b32_e32 v0, 0
	global_load_u16 v1, v0, s[12:13]
	s_wait_loadcnt 0x0
	v_xor_b32_e32 v1, 1, v1
	global_store_b16 v0, v1, s[12:13]
.LBB109_36:
	s_mov_b32 s0, exec_lo
	s_wait_xcnt 0x0
	v_mbcnt_lo_u32_b32 v0, s0, 0
	s_delay_alu instid0(VALU_DEP_1) | instskip(SKIP_1) | instid1(SALU_CYCLE_1)
	v_cmp_eq_u32_e32 vcc_lo, 0, v0
	s_and_b32 s1, exec_lo, vcc_lo
	s_mov_b32 exec_lo, s1
	s_cbranch_execz .LBB109_38
; %bb.37:
	s_bcnt1_i32_b32 s0, s0
	s_delay_alu instid0(SALU_CYCLE_1) | instskip(SKIP_2) | instid1(SALU_CYCLE_1)
	v_cvt_f32_ubyte0_e32 v2, s0
	v_mov_b32_e32 v0, 0
	s_lshl_b64 s[0:1], s[2:3], 2
	s_add_nc_u64 s[0:1], s[6:7], s[0:1]
	ds_load_b32 v1, v0
	s_wait_dscnt 0x0
	v_mul_f32_e32 v1, v1, v2
	global_atomic_add_f32 v0, v1, s[0:1] scope:SCOPE_DEV
.LBB109_38:
	s_endpgm
	.section	.rodata,"a",@progbits
	.p2align	6, 0x0
	.amdhsa_kernel _ZN9rocsparseL27csrmvn_lrb_long_rows_kernelIliaaffEEvbT_PjPT0_S4_jNS_24const_host_device_scalarIT4_EEPKS1_PKS3_PKT1_PKT2_S7_PT3_21rocsparse_index_base_b
		.amdhsa_group_segment_fixed_size 1024
		.amdhsa_private_segment_fixed_size 0
		.amdhsa_kernarg_size 112
		.amdhsa_user_sgpr_count 2
		.amdhsa_user_sgpr_dispatch_ptr 0
		.amdhsa_user_sgpr_queue_ptr 0
		.amdhsa_user_sgpr_kernarg_segment_ptr 1
		.amdhsa_user_sgpr_dispatch_id 0
		.amdhsa_user_sgpr_kernarg_preload_length 0
		.amdhsa_user_sgpr_kernarg_preload_offset 0
		.amdhsa_user_sgpr_private_segment_size 0
		.amdhsa_wavefront_size32 1
		.amdhsa_uses_dynamic_stack 0
		.amdhsa_enable_private_segment 0
		.amdhsa_system_sgpr_workgroup_id_x 1
		.amdhsa_system_sgpr_workgroup_id_y 0
		.amdhsa_system_sgpr_workgroup_id_z 0
		.amdhsa_system_sgpr_workgroup_info 0
		.amdhsa_system_vgpr_workitem_id 0
		.amdhsa_next_free_vgpr 12
		.amdhsa_next_free_sgpr 24
		.amdhsa_named_barrier_count 0
		.amdhsa_reserve_vcc 1
		.amdhsa_float_round_mode_32 0
		.amdhsa_float_round_mode_16_64 0
		.amdhsa_float_denorm_mode_32 3
		.amdhsa_float_denorm_mode_16_64 3
		.amdhsa_fp16_overflow 0
		.amdhsa_memory_ordered 1
		.amdhsa_forward_progress 1
		.amdhsa_inst_pref_size 12
		.amdhsa_round_robin_scheduling 0
		.amdhsa_exception_fp_ieee_invalid_op 0
		.amdhsa_exception_fp_denorm_src 0
		.amdhsa_exception_fp_ieee_div_zero 0
		.amdhsa_exception_fp_ieee_overflow 0
		.amdhsa_exception_fp_ieee_underflow 0
		.amdhsa_exception_fp_ieee_inexact 0
		.amdhsa_exception_int_div_zero 0
	.end_amdhsa_kernel
	.section	.text._ZN9rocsparseL27csrmvn_lrb_long_rows_kernelIliaaffEEvbT_PjPT0_S4_jNS_24const_host_device_scalarIT4_EEPKS1_PKS3_PKT1_PKT2_S7_PT3_21rocsparse_index_base_b,"axG",@progbits,_ZN9rocsparseL27csrmvn_lrb_long_rows_kernelIliaaffEEvbT_PjPT0_S4_jNS_24const_host_device_scalarIT4_EEPKS1_PKS3_PKT1_PKT2_S7_PT3_21rocsparse_index_base_b,comdat
.Lfunc_end109:
	.size	_ZN9rocsparseL27csrmvn_lrb_long_rows_kernelIliaaffEEvbT_PjPT0_S4_jNS_24const_host_device_scalarIT4_EEPKS1_PKS3_PKT1_PKT2_S7_PT3_21rocsparse_index_base_b, .Lfunc_end109-_ZN9rocsparseL27csrmvn_lrb_long_rows_kernelIliaaffEEvbT_PjPT0_S4_jNS_24const_host_device_scalarIT4_EEPKS1_PKS3_PKT1_PKT2_S7_PT3_21rocsparse_index_base_b
                                        ; -- End function
	.set _ZN9rocsparseL27csrmvn_lrb_long_rows_kernelIliaaffEEvbT_PjPT0_S4_jNS_24const_host_device_scalarIT4_EEPKS1_PKS3_PKT1_PKT2_S7_PT3_21rocsparse_index_base_b.num_vgpr, 12
	.set _ZN9rocsparseL27csrmvn_lrb_long_rows_kernelIliaaffEEvbT_PjPT0_S4_jNS_24const_host_device_scalarIT4_EEPKS1_PKS3_PKT1_PKT2_S7_PT3_21rocsparse_index_base_b.num_agpr, 0
	.set _ZN9rocsparseL27csrmvn_lrb_long_rows_kernelIliaaffEEvbT_PjPT0_S4_jNS_24const_host_device_scalarIT4_EEPKS1_PKS3_PKT1_PKT2_S7_PT3_21rocsparse_index_base_b.numbered_sgpr, 24
	.set _ZN9rocsparseL27csrmvn_lrb_long_rows_kernelIliaaffEEvbT_PjPT0_S4_jNS_24const_host_device_scalarIT4_EEPKS1_PKS3_PKT1_PKT2_S7_PT3_21rocsparse_index_base_b.num_named_barrier, 0
	.set _ZN9rocsparseL27csrmvn_lrb_long_rows_kernelIliaaffEEvbT_PjPT0_S4_jNS_24const_host_device_scalarIT4_EEPKS1_PKS3_PKT1_PKT2_S7_PT3_21rocsparse_index_base_b.private_seg_size, 0
	.set _ZN9rocsparseL27csrmvn_lrb_long_rows_kernelIliaaffEEvbT_PjPT0_S4_jNS_24const_host_device_scalarIT4_EEPKS1_PKS3_PKT1_PKT2_S7_PT3_21rocsparse_index_base_b.uses_vcc, 1
	.set _ZN9rocsparseL27csrmvn_lrb_long_rows_kernelIliaaffEEvbT_PjPT0_S4_jNS_24const_host_device_scalarIT4_EEPKS1_PKS3_PKT1_PKT2_S7_PT3_21rocsparse_index_base_b.uses_flat_scratch, 0
	.set _ZN9rocsparseL27csrmvn_lrb_long_rows_kernelIliaaffEEvbT_PjPT0_S4_jNS_24const_host_device_scalarIT4_EEPKS1_PKS3_PKT1_PKT2_S7_PT3_21rocsparse_index_base_b.has_dyn_sized_stack, 0
	.set _ZN9rocsparseL27csrmvn_lrb_long_rows_kernelIliaaffEEvbT_PjPT0_S4_jNS_24const_host_device_scalarIT4_EEPKS1_PKS3_PKT1_PKT2_S7_PT3_21rocsparse_index_base_b.has_recursion, 0
	.set _ZN9rocsparseL27csrmvn_lrb_long_rows_kernelIliaaffEEvbT_PjPT0_S4_jNS_24const_host_device_scalarIT4_EEPKS1_PKS3_PKT1_PKT2_S7_PT3_21rocsparse_index_base_b.has_indirect_call, 0
	.section	.AMDGPU.csdata,"",@progbits
; Kernel info:
; codeLenInByte = 1528
; TotalNumSgprs: 26
; NumVgprs: 12
; ScratchSize: 0
; MemoryBound: 0
; FloatMode: 240
; IeeeMode: 1
; LDSByteSize: 1024 bytes/workgroup (compile time only)
; SGPRBlocks: 0
; VGPRBlocks: 0
; NumSGPRsForWavesPerEU: 26
; NumVGPRsForWavesPerEU: 12
; NamedBarCnt: 0
; Occupancy: 16
; WaveLimiterHint : 1
; COMPUTE_PGM_RSRC2:SCRATCH_EN: 0
; COMPUTE_PGM_RSRC2:USER_SGPR: 2
; COMPUTE_PGM_RSRC2:TRAP_HANDLER: 0
; COMPUTE_PGM_RSRC2:TGID_X_EN: 1
; COMPUTE_PGM_RSRC2:TGID_Y_EN: 0
; COMPUTE_PGM_RSRC2:TGID_Z_EN: 0
; COMPUTE_PGM_RSRC2:TIDIG_COMP_CNT: 0
	.section	.text._ZN9rocsparseL28csrmvn_lrb_short_rows_kernelIllaaffEEvbT_PT0_S3_jNS_24const_host_device_scalarIT4_EEPKS1_PKS2_PKT1_PKT2_S6_PT3_21rocsparse_index_base_b,"axG",@progbits,_ZN9rocsparseL28csrmvn_lrb_short_rows_kernelIllaaffEEvbT_PT0_S3_jNS_24const_host_device_scalarIT4_EEPKS1_PKS2_PKT1_PKT2_S6_PT3_21rocsparse_index_base_b,comdat
	.globl	_ZN9rocsparseL28csrmvn_lrb_short_rows_kernelIllaaffEEvbT_PT0_S3_jNS_24const_host_device_scalarIT4_EEPKS1_PKS2_PKT1_PKT2_S6_PT3_21rocsparse_index_base_b ; -- Begin function _ZN9rocsparseL28csrmvn_lrb_short_rows_kernelIllaaffEEvbT_PT0_S3_jNS_24const_host_device_scalarIT4_EEPKS1_PKS2_PKT1_PKT2_S6_PT3_21rocsparse_index_base_b
	.p2align	8
	.type	_ZN9rocsparseL28csrmvn_lrb_short_rows_kernelIllaaffEEvbT_PT0_S3_jNS_24const_host_device_scalarIT4_EEPKS1_PKS2_PKT1_PKT2_S6_PT3_21rocsparse_index_base_b,@function
_ZN9rocsparseL28csrmvn_lrb_short_rows_kernelIllaaffEEvbT_PT0_S3_jNS_24const_host_device_scalarIT4_EEPKS1_PKS2_PKT1_PKT2_S6_PT3_21rocsparse_index_base_b: ; @_ZN9rocsparseL28csrmvn_lrb_short_rows_kernelIllaaffEEvbT_PT0_S3_jNS_24const_host_device_scalarIT4_EEPKS1_PKS2_PKT1_PKT2_S6_PT3_21rocsparse_index_base_b
; %bb.0:
	s_clause 0x2
	s_load_b64 s[16:17], s[0:1], 0x60
	s_load_b64 s[18:19], s[0:1], 0x28
	;; [unrolled: 1-line block ×3, first 2 shown]
	s_wait_kmcnt 0x0
	s_bitcmp1_b32 s17, 0
	s_cselect_b32 s4, -1, 0
	s_delay_alu instid0(SALU_CYCLE_1)
	s_and_b32 vcc_lo, exec_lo, s4
	s_xor_b32 s4, s4, -1
	s_cbranch_vccnz .LBB110_2
; %bb.1:
	s_load_b32 s18, s[18:19], 0x0
.LBB110_2:
	s_and_not1_b32 vcc_lo, exec_lo, s4
	s_cbranch_vccnz .LBB110_4
; %bb.3:
	s_load_b32 s2, s[2:3], 0x0
.LBB110_4:
	s_wait_kmcnt 0x0
	s_cmp_neq_f32 s18, 0
	s_mov_b32 s5, 0
	s_cselect_b32 s3, -1, 0
	s_cmp_neq_f32 s2, 1.0
	s_cselect_b32 s4, -1, 0
	s_delay_alu instid0(SALU_CYCLE_1) | instskip(NEXT) | instid1(SALU_CYCLE_1)
	s_or_b32 s3, s3, s4
	s_and_not1_b32 vcc_lo, exec_lo, s3
	s_cbranch_vccnz .LBB110_18
; %bb.5:
	s_clause 0x1
	s_load_b32 s3, s[0:1], 0x20
	s_load_b128 s[12:15], s[0:1], 0x10
	s_getreg_b32 s7, hwreg(HW_REG_IB_STS2, 6, 4)
	s_wait_kmcnt 0x0
	s_add_co_i32 s4, s3, 1
	s_delay_alu instid0(SALU_CYCLE_1) | instskip(NEXT) | instid1(SALU_CYCLE_1)
	s_lshl_b64 s[4:5], s[4:5], 3
	s_add_nc_u64 s[4:5], s[14:15], s[4:5]
	s_clause 0x1
	s_load_b64 s[20:21], s[14:15], s3 offset:0x0 scale_offset
	s_load_b32 s6, s[4:5], 0x0
	s_wait_xcnt 0x0
	s_bfe_u32 s4, ttmp6, 0x4000c
	s_and_b32 s5, ttmp6, 15
	s_add_co_i32 s4, s4, 1
	s_delay_alu instid0(SALU_CYCLE_1) | instskip(NEXT) | instid1(SALU_CYCLE_1)
	s_mul_i32 s4, ttmp9, s4
	s_add_co_i32 s5, s5, s4
	s_wait_kmcnt 0x0
	s_sub_co_i32 s6, s6, s20
	s_cmp_eq_u32 s7, 0
	s_cselect_b32 s4, ttmp9, s5
	s_delay_alu instid0(SALU_CYCLE_1) | instskip(NEXT) | instid1(SALU_CYCLE_1)
	s_lshl_b32 s14, s4, 8
	s_add_co_i32 s4, s14, 0x100
	s_delay_alu instid0(SALU_CYCLE_1)
	s_min_u32 s15, s6, s4
	s_cmp_gt_u32 s3, 23
	s_cbranch_scc1 .LBB110_12
; %bb.6:
	s_load_b256 s[4:11], s[0:1], 0x30
	v_bfe_u32 v6, v0, 0, s3
	v_mov_b32_e32 v7, 0
	v_lshl_add_u32 v1, v0, 2, 0
	s_lshl_b64 s[22:23], s[20:21], 3
	s_mov_b32 s17, 0
	s_lshl_b32 s19, 0x100, s3
	s_add_nc_u64 s[22:23], s[12:13], s[22:23]
	s_mov_b32 s24, s17
	s_branch .LBB110_9
.LBB110_7:                              ;   in Loop: Header=BB110_9 Depth=1
	s_or_b32 exec_lo, exec_lo, s26
	ds_store_b32 v1, v4
.LBB110_8:                              ;   in Loop: Header=BB110_9 Depth=1
	s_or_b32 exec_lo, exec_lo, s25
	v_add_nc_u32_e32 v1, 0x400, v1
	s_addk_co_i32 s24, 0x100
	s_delay_alu instid0(SALU_CYCLE_1)
	s_cmp_ge_u32 s24, s19
	s_cbranch_scc1 .LBB110_12
.LBB110_9:                              ; =>This Inner Loop Header: Depth=1
	v_add_nc_u32_e32 v2, s24, v0
	s_mov_b32 s25, exec_lo
	s_delay_alu instid0(VALU_DEP_1) | instskip(NEXT) | instid1(VALU_DEP_1)
	v_lshrrev_b32_e32 v2, s3, v2
	v_add_nc_u32_e32 v2, s14, v2
	s_delay_alu instid0(VALU_DEP_1)
	v_cmpx_gt_u32_e64 s15, v2
	s_cbranch_execz .LBB110_8
; %bb.10:                               ;   in Loop: Header=BB110_9 Depth=1
	global_load_b64 v[2:3], v2, s[22:23] scale_offset
	s_wait_loadcnt 0x0
	s_wait_kmcnt 0x0
	s_wait_xcnt 0x0
	v_lshl_add_u64 v[2:3], v[2:3], 3, s[4:5]
	global_load_b128 v[2:5], v[2:3], off
	s_wait_loadcnt 0x0
	v_sub_nc_u64_e32 v[4:5], v[4:5], v[2:3]
	s_delay_alu instid0(VALU_DEP_1)
	v_cmp_gt_i64_e32 vcc_lo, v[4:5], v[6:7]
	v_mov_b32_e32 v4, 0
	s_wait_xcnt 0x0
	s_and_saveexec_b32 s26, vcc_lo
	s_cbranch_execz .LBB110_7
; %bb.11:                               ;   in Loop: Header=BB110_9 Depth=1
	v_sub_nc_u64_e64 v[2:3], v[2:3], s[16:17]
	s_delay_alu instid0(VALU_DEP_1) | instskip(NEXT) | instid1(VALU_DEP_1)
	v_add_nc_u64_e32 v[2:3], v[2:3], v[6:7]
	v_lshl_add_u64 v[4:5], v[2:3], 3, s[6:7]
	v_add_nc_u64_e32 v[2:3], s[8:9], v[2:3]
	global_load_b64 v[4:5], v[4:5], off
	s_wait_loadcnt 0x0
	s_wait_xcnt 0x0
	v_sub_nc_u64_e64 v[4:5], v[4:5], s[16:17]
	s_delay_alu instid0(VALU_DEP_1)
	v_add_nc_u64_e32 v[4:5], s[10:11], v[4:5]
	global_load_i8 v8, v[2:3], off
	global_load_i8 v9, v[4:5], off
	s_wait_loadcnt 0x1
	s_wait_xcnt 0x1
	v_cvt_f32_i32_e32 v2, v8
	s_wait_loadcnt 0x0
	v_cvt_f32_i32_e32 v3, v9
	s_delay_alu instid0(VALU_DEP_2) | instskip(SKIP_1) | instid1(VALU_DEP_1)
	v_mul_f32_e32 v2, s18, v2
	s_wait_xcnt 0x0
	v_mul_f32_e32 v4, v2, v3
	s_branch .LBB110_7
.LBB110_12:
	s_wait_kmcnt 0x0
	s_sub_co_i32 s4, s15, s14
	s_wait_dscnt 0x0
	v_cmp_gt_u32_e32 vcc_lo, s4, v0
	s_barrier_signal -1
	s_barrier_wait -1
	s_and_saveexec_b32 s4, vcc_lo
	s_cbranch_execz .LBB110_18
; %bb.13:
	s_lshl_b64 s[4:5], s[20:21], 3
	s_mov_b32 s15, 0
	s_add_nc_u64 s[4:5], s[12:13], s[4:5]
	s_lshl_b64 s[6:7], s[14:15], 3
	s_load_b64 s[0:1], s[0:1], 0x58
	s_add_nc_u64 s[4:5], s[4:5], s[6:7]
	v_mov_b32_e32 v4, 0
	global_load_b64 v[2:3], v0, s[4:5] scale_offset
	s_wait_xcnt 0x0
	v_lshlrev_b32_e32 v0, s3, v0
	s_mov_b32 s4, 1
	s_delay_alu instid0(VALU_DEP_1)
	v_lshl_add_u32 v0, v0, 2, 0
.LBB110_14:                             ; =>This Inner Loop Header: Depth=1
	ds_load_b32 v1, v0
	v_add_nc_u32_e32 v0, 4, v0
	s_lshr_b32 s5, s4, s3
	s_add_co_i32 s4, s4, 1
	s_cmp_lg_u32 s5, 0
	s_wait_dscnt 0x0
	v_add_f32_e32 v4, v4, v1
	s_cbranch_scc0 .LBB110_14
; %bb.15:
	s_wait_loadcnt 0x0
	s_wait_kmcnt 0x0
	v_lshl_add_u64 v[0:1], v[2:3], 2, s[0:1]
	s_cmp_neq_f32 s2, 0
	s_cbranch_scc0 .LBB110_17
; %bb.16:
	global_load_b32 v2, v[0:1], off
	s_wait_loadcnt 0x0
	v_fmac_f32_e32 v4, s2, v2
.LBB110_17:
	global_store_b32 v[0:1], v4, off
.LBB110_18:
	s_endpgm
	.section	.rodata,"a",@progbits
	.p2align	6, 0x0
	.amdhsa_kernel _ZN9rocsparseL28csrmvn_lrb_short_rows_kernelIllaaffEEvbT_PT0_S3_jNS_24const_host_device_scalarIT4_EEPKS1_PKS2_PKT1_PKT2_S6_PT3_21rocsparse_index_base_b
		.amdhsa_group_segment_fixed_size 0
		.amdhsa_private_segment_fixed_size 0
		.amdhsa_kernarg_size 104
		.amdhsa_user_sgpr_count 2
		.amdhsa_user_sgpr_dispatch_ptr 0
		.amdhsa_user_sgpr_queue_ptr 0
		.amdhsa_user_sgpr_kernarg_segment_ptr 1
		.amdhsa_user_sgpr_dispatch_id 0
		.amdhsa_user_sgpr_kernarg_preload_length 0
		.amdhsa_user_sgpr_kernarg_preload_offset 0
		.amdhsa_user_sgpr_private_segment_size 0
		.amdhsa_wavefront_size32 1
		.amdhsa_uses_dynamic_stack 0
		.amdhsa_enable_private_segment 0
		.amdhsa_system_sgpr_workgroup_id_x 1
		.amdhsa_system_sgpr_workgroup_id_y 0
		.amdhsa_system_sgpr_workgroup_id_z 0
		.amdhsa_system_sgpr_workgroup_info 0
		.amdhsa_system_vgpr_workitem_id 0
		.amdhsa_next_free_vgpr 10
		.amdhsa_next_free_sgpr 27
		.amdhsa_named_barrier_count 0
		.amdhsa_reserve_vcc 1
		.amdhsa_float_round_mode_32 0
		.amdhsa_float_round_mode_16_64 0
		.amdhsa_float_denorm_mode_32 3
		.amdhsa_float_denorm_mode_16_64 3
		.amdhsa_fp16_overflow 0
		.amdhsa_memory_ordered 1
		.amdhsa_forward_progress 1
		.amdhsa_inst_pref_size 7
		.amdhsa_round_robin_scheduling 0
		.amdhsa_exception_fp_ieee_invalid_op 0
		.amdhsa_exception_fp_denorm_src 0
		.amdhsa_exception_fp_ieee_div_zero 0
		.amdhsa_exception_fp_ieee_overflow 0
		.amdhsa_exception_fp_ieee_underflow 0
		.amdhsa_exception_fp_ieee_inexact 0
		.amdhsa_exception_int_div_zero 0
	.end_amdhsa_kernel
	.section	.text._ZN9rocsparseL28csrmvn_lrb_short_rows_kernelIllaaffEEvbT_PT0_S3_jNS_24const_host_device_scalarIT4_EEPKS1_PKS2_PKT1_PKT2_S6_PT3_21rocsparse_index_base_b,"axG",@progbits,_ZN9rocsparseL28csrmvn_lrb_short_rows_kernelIllaaffEEvbT_PT0_S3_jNS_24const_host_device_scalarIT4_EEPKS1_PKS2_PKT1_PKT2_S6_PT3_21rocsparse_index_base_b,comdat
.Lfunc_end110:
	.size	_ZN9rocsparseL28csrmvn_lrb_short_rows_kernelIllaaffEEvbT_PT0_S3_jNS_24const_host_device_scalarIT4_EEPKS1_PKS2_PKT1_PKT2_S6_PT3_21rocsparse_index_base_b, .Lfunc_end110-_ZN9rocsparseL28csrmvn_lrb_short_rows_kernelIllaaffEEvbT_PT0_S3_jNS_24const_host_device_scalarIT4_EEPKS1_PKS2_PKT1_PKT2_S6_PT3_21rocsparse_index_base_b
                                        ; -- End function
	.set _ZN9rocsparseL28csrmvn_lrb_short_rows_kernelIllaaffEEvbT_PT0_S3_jNS_24const_host_device_scalarIT4_EEPKS1_PKS2_PKT1_PKT2_S6_PT3_21rocsparse_index_base_b.num_vgpr, 10
	.set _ZN9rocsparseL28csrmvn_lrb_short_rows_kernelIllaaffEEvbT_PT0_S3_jNS_24const_host_device_scalarIT4_EEPKS1_PKS2_PKT1_PKT2_S6_PT3_21rocsparse_index_base_b.num_agpr, 0
	.set _ZN9rocsparseL28csrmvn_lrb_short_rows_kernelIllaaffEEvbT_PT0_S3_jNS_24const_host_device_scalarIT4_EEPKS1_PKS2_PKT1_PKT2_S6_PT3_21rocsparse_index_base_b.numbered_sgpr, 27
	.set _ZN9rocsparseL28csrmvn_lrb_short_rows_kernelIllaaffEEvbT_PT0_S3_jNS_24const_host_device_scalarIT4_EEPKS1_PKS2_PKT1_PKT2_S6_PT3_21rocsparse_index_base_b.num_named_barrier, 0
	.set _ZN9rocsparseL28csrmvn_lrb_short_rows_kernelIllaaffEEvbT_PT0_S3_jNS_24const_host_device_scalarIT4_EEPKS1_PKS2_PKT1_PKT2_S6_PT3_21rocsparse_index_base_b.private_seg_size, 0
	.set _ZN9rocsparseL28csrmvn_lrb_short_rows_kernelIllaaffEEvbT_PT0_S3_jNS_24const_host_device_scalarIT4_EEPKS1_PKS2_PKT1_PKT2_S6_PT3_21rocsparse_index_base_b.uses_vcc, 1
	.set _ZN9rocsparseL28csrmvn_lrb_short_rows_kernelIllaaffEEvbT_PT0_S3_jNS_24const_host_device_scalarIT4_EEPKS1_PKS2_PKT1_PKT2_S6_PT3_21rocsparse_index_base_b.uses_flat_scratch, 0
	.set _ZN9rocsparseL28csrmvn_lrb_short_rows_kernelIllaaffEEvbT_PT0_S3_jNS_24const_host_device_scalarIT4_EEPKS1_PKS2_PKT1_PKT2_S6_PT3_21rocsparse_index_base_b.has_dyn_sized_stack, 0
	.set _ZN9rocsparseL28csrmvn_lrb_short_rows_kernelIllaaffEEvbT_PT0_S3_jNS_24const_host_device_scalarIT4_EEPKS1_PKS2_PKT1_PKT2_S6_PT3_21rocsparse_index_base_b.has_recursion, 0
	.set _ZN9rocsparseL28csrmvn_lrb_short_rows_kernelIllaaffEEvbT_PT0_S3_jNS_24const_host_device_scalarIT4_EEPKS1_PKS2_PKT1_PKT2_S6_PT3_21rocsparse_index_base_b.has_indirect_call, 0
	.section	.AMDGPU.csdata,"",@progbits
; Kernel info:
; codeLenInByte = 796
; TotalNumSgprs: 29
; NumVgprs: 10
; ScratchSize: 0
; MemoryBound: 0
; FloatMode: 240
; IeeeMode: 1
; LDSByteSize: 0 bytes/workgroup (compile time only)
; SGPRBlocks: 0
; VGPRBlocks: 0
; NumSGPRsForWavesPerEU: 29
; NumVGPRsForWavesPerEU: 10
; NamedBarCnt: 0
; Occupancy: 16
; WaveLimiterHint : 1
; COMPUTE_PGM_RSRC2:SCRATCH_EN: 0
; COMPUTE_PGM_RSRC2:USER_SGPR: 2
; COMPUTE_PGM_RSRC2:TRAP_HANDLER: 0
; COMPUTE_PGM_RSRC2:TGID_X_EN: 1
; COMPUTE_PGM_RSRC2:TGID_Y_EN: 0
; COMPUTE_PGM_RSRC2:TGID_Z_EN: 0
; COMPUTE_PGM_RSRC2:TIDIG_COMP_CNT: 0
	.section	.text._ZN9rocsparseL30csrmvn_lrb_short_rows_2_kernelIllaaffEEvbT_PT0_S3_jNS_24const_host_device_scalarIT4_EEPKS1_PKS2_PKT1_PKT2_S6_PT3_21rocsparse_index_base_b,"axG",@progbits,_ZN9rocsparseL30csrmvn_lrb_short_rows_2_kernelIllaaffEEvbT_PT0_S3_jNS_24const_host_device_scalarIT4_EEPKS1_PKS2_PKT1_PKT2_S6_PT3_21rocsparse_index_base_b,comdat
	.globl	_ZN9rocsparseL30csrmvn_lrb_short_rows_2_kernelIllaaffEEvbT_PT0_S3_jNS_24const_host_device_scalarIT4_EEPKS1_PKS2_PKT1_PKT2_S6_PT3_21rocsparse_index_base_b ; -- Begin function _ZN9rocsparseL30csrmvn_lrb_short_rows_2_kernelIllaaffEEvbT_PT0_S3_jNS_24const_host_device_scalarIT4_EEPKS1_PKS2_PKT1_PKT2_S6_PT3_21rocsparse_index_base_b
	.p2align	8
	.type	_ZN9rocsparseL30csrmvn_lrb_short_rows_2_kernelIllaaffEEvbT_PT0_S3_jNS_24const_host_device_scalarIT4_EEPKS1_PKS2_PKT1_PKT2_S6_PT3_21rocsparse_index_base_b,@function
_ZN9rocsparseL30csrmvn_lrb_short_rows_2_kernelIllaaffEEvbT_PT0_S3_jNS_24const_host_device_scalarIT4_EEPKS1_PKS2_PKT1_PKT2_S6_PT3_21rocsparse_index_base_b: ; @_ZN9rocsparseL30csrmvn_lrb_short_rows_2_kernelIllaaffEEvbT_PT0_S3_jNS_24const_host_device_scalarIT4_EEPKS1_PKS2_PKT1_PKT2_S6_PT3_21rocsparse_index_base_b
; %bb.0:
	s_clause 0x2
	s_load_b64 s[16:17], s[0:1], 0x60
	s_load_b64 s[14:15], s[0:1], 0x28
	;; [unrolled: 1-line block ×3, first 2 shown]
	s_wait_kmcnt 0x0
	s_bitcmp1_b32 s17, 0
	s_cselect_b32 s4, -1, 0
	s_delay_alu instid0(SALU_CYCLE_1)
	s_and_b32 vcc_lo, exec_lo, s4
	s_xor_b32 s4, s4, -1
	s_cbranch_vccnz .LBB111_2
; %bb.1:
	s_load_b32 s14, s[14:15], 0x0
.LBB111_2:
	s_and_not1_b32 vcc_lo, exec_lo, s4
	s_cbranch_vccnz .LBB111_4
; %bb.3:
	s_load_b32 s2, s[2:3], 0x0
.LBB111_4:
	s_wait_kmcnt 0x0
	s_cmp_neq_f32 s14, 0
	s_mov_b32 s17, 0
	s_cselect_b32 s3, -1, 0
	s_cmp_neq_f32 s2, 1.0
	s_cselect_b32 s4, -1, 0
	s_delay_alu instid0(SALU_CYCLE_1) | instskip(NEXT) | instid1(SALU_CYCLE_1)
	s_or_b32 s3, s3, s4
	s_and_not1_b32 vcc_lo, exec_lo, s3
	s_cbranch_vccnz .LBB111_30
; %bb.5:
	s_clause 0x1
	s_load_b32 s3, s[0:1], 0x20
	s_load_b128 s[24:27], s[0:1], 0x10
	s_mov_b32 s5, s17
	s_bfe_u32 s13, ttmp6, 0x4000c
	s_and_b32 s15, ttmp6, 15
	s_add_co_i32 s13, s13, 1
	s_getreg_b32 s20, hwreg(HW_REG_IB_STS2, 6, 4)
	s_mul_i32 s13, ttmp9, s13
	v_mov_b32_e32 v7, 0
	s_add_co_i32 s13, s15, s13
	s_wait_kmcnt 0x0
	s_add_co_i32 s4, s3, 1
	s_lshr_b32 s15, 0x400, s3
	s_lshl_b64 s[4:5], s[4:5], 3
	v_lshrrev_b32_e32 v1, s3, v0
	s_add_nc_u64 s[4:5], s[26:27], s[4:5]
	s_clause 0x1
	s_load_b64 s[18:19], s[26:27], s3 offset:0x0 scale_offset
	s_load_b32 s12, s[4:5], 0x0
	v_bfe_u32 v6, v0, 0, s3
	s_wait_xcnt 0x0
	s_load_b256 s[4:11], s[0:1], 0x30
	s_wait_kmcnt 0x0
	s_sub_co_i32 s21, s12, s18
	s_cmp_eq_u32 s20, 0
	s_cselect_b32 s12, ttmp9, s13
	s_lshl_b64 s[18:19], s[18:19], 3
	s_mul_i32 s12, s15, s12
	s_add_nc_u64 s[18:19], s[24:25], s[18:19]
	v_add_nc_u32_e32 v1, s12, v1
	s_add_co_i32 s13, s12, s15
	s_delay_alu instid0(SALU_CYCLE_1) | instskip(SKIP_1) | instid1(VALU_DEP_1)
	s_min_u32 s20, s21, s13
	s_mov_b32 s13, exec_lo
	v_cmpx_gt_u32_e64 s20, v1
	s_cbranch_execz .LBB111_9
; %bb.6:
	global_load_b64 v[2:3], v1, s[18:19] scale_offset
	s_wait_xcnt 0x0
	v_mov_b32_e32 v1, v7
	s_mov_b32 s21, exec_lo
	s_wait_loadcnt 0x0
	v_lshl_add_u64 v[2:3], v[2:3], 3, s[4:5]
	global_load_b128 v[2:5], v[2:3], off
	s_wait_loadcnt 0x0
	v_sub_nc_u64_e32 v[4:5], v[4:5], v[2:3]
	s_delay_alu instid0(VALU_DEP_1)
	v_cmpx_gt_i64_e64 v[4:5], v[6:7]
	s_cbranch_execz .LBB111_8
; %bb.7:
	v_sub_nc_u64_e64 v[2:3], v[2:3], s[16:17]
	s_delay_alu instid0(VALU_DEP_1) | instskip(NEXT) | instid1(VALU_DEP_1)
	v_add_nc_u64_e32 v[2:3], v[2:3], v[6:7]
	v_lshl_add_u64 v[4:5], v[2:3], 3, s[6:7]
	v_add_nc_u64_e32 v[2:3], s[8:9], v[2:3]
	global_load_b64 v[4:5], v[4:5], off
	s_wait_loadcnt 0x0
	v_sub_nc_u64_e64 v[4:5], v[4:5], s[16:17]
	s_delay_alu instid0(VALU_DEP_1)
	v_add_nc_u64_e32 v[4:5], s[10:11], v[4:5]
	global_load_i8 v1, v[2:3], off
	global_load_i8 v8, v[4:5], off
	s_wait_loadcnt 0x1
	v_cvt_f32_i32_e32 v1, v1
	s_wait_loadcnt 0x0
	v_cvt_f32_i32_e32 v2, v8
	s_delay_alu instid0(VALU_DEP_2) | instskip(NEXT) | instid1(VALU_DEP_1)
	v_mul_f32_e32 v1, s14, v1
	v_mul_f32_e32 v1, v1, v2
.LBB111_8:
	s_or_b32 exec_lo, exec_lo, s21
	v_lshlrev_b32_e32 v2, 2, v0
	ds_store_b32 v2, v1
.LBB111_9:
	s_or_b32 exec_lo, exec_lo, s13
	s_load_b64 s[0:1], s[0:1], 0x58
	v_or_b32_e32 v1, 0x100, v0
	s_mov_b32 s13, exec_lo
	s_delay_alu instid0(VALU_DEP_1) | instskip(NEXT) | instid1(VALU_DEP_1)
	v_lshrrev_b32_e32 v1, s3, v1
	v_add_nc_u32_e32 v1, s12, v1
	s_delay_alu instid0(VALU_DEP_1)
	v_cmpx_gt_u32_e64 s20, v1
	s_cbranch_execz .LBB111_13
; %bb.10:
	global_load_b64 v[2:3], v1, s[18:19] scale_offset
	s_wait_xcnt 0x0
	v_mov_b32_e32 v1, 0
	s_mov_b32 s21, exec_lo
	s_wait_loadcnt 0x0
	v_lshl_add_u64 v[2:3], v[2:3], 3, s[4:5]
	global_load_b128 v[2:5], v[2:3], off
	s_wait_loadcnt 0x0
	v_sub_nc_u64_e32 v[4:5], v[4:5], v[2:3]
	s_delay_alu instid0(VALU_DEP_1)
	v_cmpx_gt_i64_e64 v[4:5], v[6:7]
	s_cbranch_execz .LBB111_12
; %bb.11:
	v_sub_nc_u64_e64 v[2:3], v[2:3], s[16:17]
	s_delay_alu instid0(VALU_DEP_1) | instskip(NEXT) | instid1(VALU_DEP_1)
	v_add_nc_u64_e32 v[2:3], v[2:3], v[6:7]
	v_lshl_add_u64 v[4:5], v[2:3], 3, s[6:7]
	v_add_nc_u64_e32 v[2:3], s[8:9], v[2:3]
	global_load_b64 v[4:5], v[4:5], off
	s_wait_loadcnt 0x0
	v_sub_nc_u64_e64 v[4:5], v[4:5], s[16:17]
	s_delay_alu instid0(VALU_DEP_1)
	v_add_nc_u64_e32 v[4:5], s[10:11], v[4:5]
	global_load_i8 v1, v[2:3], off
	global_load_i8 v8, v[4:5], off
	s_wait_loadcnt 0x1
	v_cvt_f32_i32_e32 v1, v1
	s_wait_loadcnt 0x0
	v_cvt_f32_i32_e32 v2, v8
	s_delay_alu instid0(VALU_DEP_2) | instskip(NEXT) | instid1(VALU_DEP_1)
	v_mul_f32_e32 v1, s14, v1
	v_mul_f32_e32 v1, v1, v2
.LBB111_12:
	s_or_b32 exec_lo, exec_lo, s21
	v_lshlrev_b32_e32 v2, 2, v0
	ds_store_b32 v2, v1 offset:1024
.LBB111_13:
	s_or_b32 exec_lo, exec_lo, s13
	v_or_b32_e32 v1, 0x200, v0
	s_mov_b32 s13, exec_lo
	s_delay_alu instid0(VALU_DEP_1) | instskip(NEXT) | instid1(VALU_DEP_1)
	v_lshrrev_b32_e32 v1, s3, v1
	v_add_nc_u32_e32 v1, s12, v1
	s_delay_alu instid0(VALU_DEP_1)
	v_cmpx_gt_u32_e64 s20, v1
	s_cbranch_execz .LBB111_17
; %bb.14:
	global_load_b64 v[2:3], v1, s[18:19] scale_offset
	s_wait_xcnt 0x0
	v_mov_b32_e32 v1, 0
	s_mov_b32 s21, exec_lo
	s_wait_loadcnt 0x0
	v_lshl_add_u64 v[2:3], v[2:3], 3, s[4:5]
	global_load_b128 v[2:5], v[2:3], off
	s_wait_loadcnt 0x0
	v_sub_nc_u64_e32 v[4:5], v[4:5], v[2:3]
	s_delay_alu instid0(VALU_DEP_1)
	v_cmpx_gt_i64_e64 v[4:5], v[6:7]
	s_cbranch_execz .LBB111_16
; %bb.15:
	v_sub_nc_u64_e64 v[2:3], v[2:3], s[16:17]
	s_delay_alu instid0(VALU_DEP_1) | instskip(NEXT) | instid1(VALU_DEP_1)
	v_add_nc_u64_e32 v[2:3], v[2:3], v[6:7]
	v_lshl_add_u64 v[4:5], v[2:3], 3, s[6:7]
	v_add_nc_u64_e32 v[2:3], s[8:9], v[2:3]
	global_load_b64 v[4:5], v[4:5], off
	s_wait_loadcnt 0x0
	v_sub_nc_u64_e64 v[4:5], v[4:5], s[16:17]
	s_delay_alu instid0(VALU_DEP_1)
	v_add_nc_u64_e32 v[4:5], s[10:11], v[4:5]
	global_load_i8 v1, v[2:3], off
	global_load_i8 v8, v[4:5], off
	s_wait_loadcnt 0x1
	v_cvt_f32_i32_e32 v1, v1
	s_wait_loadcnt 0x0
	v_cvt_f32_i32_e32 v2, v8
	s_delay_alu instid0(VALU_DEP_2) | instskip(NEXT) | instid1(VALU_DEP_1)
	v_mul_f32_e32 v1, s14, v1
	v_mul_f32_e32 v1, v1, v2
.LBB111_16:
	s_or_b32 exec_lo, exec_lo, s21
	v_lshlrev_b32_e32 v2, 2, v0
	ds_store_b32 v2, v1 offset:2048
.LBB111_17:
	s_or_b32 exec_lo, exec_lo, s13
	v_or_b32_e32 v1, 0x300, v0
	s_mov_b32 s13, exec_lo
	s_delay_alu instid0(VALU_DEP_1) | instskip(NEXT) | instid1(VALU_DEP_1)
	v_lshrrev_b32_e32 v1, s3, v1
	v_add_nc_u32_e32 v1, s12, v1
	s_delay_alu instid0(VALU_DEP_1)
	v_cmpx_gt_u32_e64 s20, v1
	s_cbranch_execz .LBB111_21
; %bb.18:
	global_load_b64 v[2:3], v1, s[18:19] scale_offset
	s_wait_xcnt 0x0
	v_mov_b32_e32 v1, 0
	s_wait_loadcnt 0x0
	v_lshl_add_u64 v[2:3], v[2:3], 3, s[4:5]
	s_mov_b32 s4, exec_lo
	global_load_b128 v[2:5], v[2:3], off
	s_wait_loadcnt 0x0
	v_sub_nc_u64_e32 v[4:5], v[4:5], v[2:3]
	s_delay_alu instid0(VALU_DEP_1)
	v_cmpx_gt_i64_e64 v[4:5], v[6:7]
	s_cbranch_execz .LBB111_20
; %bb.19:
	v_sub_nc_u64_e64 v[2:3], v[2:3], s[16:17]
	s_delay_alu instid0(VALU_DEP_1) | instskip(NEXT) | instid1(VALU_DEP_1)
	v_add_nc_u64_e32 v[2:3], v[2:3], v[6:7]
	v_lshl_add_u64 v[4:5], v[2:3], 3, s[6:7]
	v_add_nc_u64_e32 v[2:3], s[8:9], v[2:3]
	global_load_b64 v[4:5], v[4:5], off
	s_wait_loadcnt 0x0
	v_sub_nc_u64_e64 v[4:5], v[4:5], s[16:17]
	s_delay_alu instid0(VALU_DEP_1)
	v_add_nc_u64_e32 v[4:5], s[10:11], v[4:5]
	global_load_i8 v1, v[2:3], off
	global_load_i8 v6, v[4:5], off
	s_wait_loadcnt 0x1
	v_cvt_f32_i32_e32 v1, v1
	s_wait_loadcnt 0x0
	v_cvt_f32_i32_e32 v2, v6
	s_delay_alu instid0(VALU_DEP_2) | instskip(NEXT) | instid1(VALU_DEP_1)
	v_mul_f32_e32 v1, s14, v1
	v_mul_f32_e32 v1, v1, v2
.LBB111_20:
	s_or_b32 exec_lo, exec_lo, s4
	v_lshlrev_b32_e32 v2, 2, v0
	ds_store_b32 v2, v1 offset:3072
.LBB111_21:
	s_or_b32 exec_lo, exec_lo, s13
	s_cmp_lt_u32 s3, 11
	s_wait_dscnt 0x0
	s_barrier_signal -1
	s_barrier_wait -1
	s_cbranch_scc0 .LBB111_30
; %bb.22:
	s_mov_b32 s13, 0
	s_sub_co_i32 s6, s20, s12
	s_lshl_b64 s[4:5], s[12:13], 3
	s_cmp_neq_f32 s2, 0
	s_add_nc_u64 s[4:5], s[18:19], s[4:5]
	s_cselect_b32 s7, -1, 0
	s_branch .LBB111_25
.LBB111_23:                             ;   in Loop: Header=BB111_25 Depth=1
	global_store_b32 v[2:3], v1, off
.LBB111_24:                             ;   in Loop: Header=BB111_25 Depth=1
	s_wait_xcnt 0x0
	s_or_b32 exec_lo, exec_lo, s8
	s_addk_co_i32 s13, 0x100
	s_delay_alu instid0(SALU_CYCLE_1)
	s_cmp_lt_u32 s13, s15
	s_cbranch_scc0 .LBB111_30
.LBB111_25:                             ; =>This Loop Header: Depth=1
                                        ;     Child Loop BB111_27 Depth 2
	v_add_nc_u32_e32 v1, s13, v0
	s_mov_b32 s8, exec_lo
	s_delay_alu instid0(VALU_DEP_1)
	v_cmpx_gt_u32_e64 s6, v1
	s_cbranch_execz .LBB111_24
; %bb.26:                               ;   in Loop: Header=BB111_25 Depth=1
	global_load_b64 v[2:3], v1, s[4:5] scale_offset
	s_wait_xcnt 0x0
	v_lshlrev_b32_e32 v1, s3, v1
	s_mov_b32 s9, 1
	s_delay_alu instid0(VALU_DEP_1)
	v_dual_mov_b32 v1, 0 :: v_dual_lshlrev_b32 v4, 2, v1
.LBB111_27:                             ;   Parent Loop BB111_25 Depth=1
                                        ; =>  This Inner Loop Header: Depth=2
	ds_load_b32 v5, v4
	v_add_nc_u32_e32 v4, 4, v4
	s_lshr_b32 s10, s9, s3
	s_add_co_i32 s9, s9, 1
	s_cmp_lg_u32 s10, 0
	s_wait_dscnt 0x0
	v_add_f32_e32 v1, v1, v5
	s_cbranch_scc0 .LBB111_27
; %bb.28:                               ;   in Loop: Header=BB111_25 Depth=1
	s_wait_loadcnt 0x0
	s_wait_kmcnt 0x0
	v_lshl_add_u64 v[2:3], v[2:3], 2, s[0:1]
	s_and_b32 vcc_lo, exec_lo, s7
	s_cbranch_vccz .LBB111_23
; %bb.29:                               ;   in Loop: Header=BB111_25 Depth=1
	global_load_b32 v4, v[2:3], off
	s_wait_loadcnt 0x0
	v_fmac_f32_e32 v1, s2, v4
	s_branch .LBB111_23
.LBB111_30:
	s_endpgm
	.section	.rodata,"a",@progbits
	.p2align	6, 0x0
	.amdhsa_kernel _ZN9rocsparseL30csrmvn_lrb_short_rows_2_kernelIllaaffEEvbT_PT0_S3_jNS_24const_host_device_scalarIT4_EEPKS1_PKS2_PKT1_PKT2_S6_PT3_21rocsparse_index_base_b
		.amdhsa_group_segment_fixed_size 4096
		.amdhsa_private_segment_fixed_size 0
		.amdhsa_kernarg_size 104
		.amdhsa_user_sgpr_count 2
		.amdhsa_user_sgpr_dispatch_ptr 0
		.amdhsa_user_sgpr_queue_ptr 0
		.amdhsa_user_sgpr_kernarg_segment_ptr 1
		.amdhsa_user_sgpr_dispatch_id 0
		.amdhsa_user_sgpr_kernarg_preload_length 0
		.amdhsa_user_sgpr_kernarg_preload_offset 0
		.amdhsa_user_sgpr_private_segment_size 0
		.amdhsa_wavefront_size32 1
		.amdhsa_uses_dynamic_stack 0
		.amdhsa_enable_private_segment 0
		.amdhsa_system_sgpr_workgroup_id_x 1
		.amdhsa_system_sgpr_workgroup_id_y 0
		.amdhsa_system_sgpr_workgroup_id_z 0
		.amdhsa_system_sgpr_workgroup_info 0
		.amdhsa_system_vgpr_workitem_id 0
		.amdhsa_next_free_vgpr 9
		.amdhsa_next_free_sgpr 28
		.amdhsa_named_barrier_count 0
		.amdhsa_reserve_vcc 1
		.amdhsa_float_round_mode_32 0
		.amdhsa_float_round_mode_16_64 0
		.amdhsa_float_denorm_mode_32 3
		.amdhsa_float_denorm_mode_16_64 3
		.amdhsa_fp16_overflow 0
		.amdhsa_memory_ordered 1
		.amdhsa_forward_progress 1
		.amdhsa_inst_pref_size 12
		.amdhsa_round_robin_scheduling 0
		.amdhsa_exception_fp_ieee_invalid_op 0
		.amdhsa_exception_fp_denorm_src 0
		.amdhsa_exception_fp_ieee_div_zero 0
		.amdhsa_exception_fp_ieee_overflow 0
		.amdhsa_exception_fp_ieee_underflow 0
		.amdhsa_exception_fp_ieee_inexact 0
		.amdhsa_exception_int_div_zero 0
	.end_amdhsa_kernel
	.section	.text._ZN9rocsparseL30csrmvn_lrb_short_rows_2_kernelIllaaffEEvbT_PT0_S3_jNS_24const_host_device_scalarIT4_EEPKS1_PKS2_PKT1_PKT2_S6_PT3_21rocsparse_index_base_b,"axG",@progbits,_ZN9rocsparseL30csrmvn_lrb_short_rows_2_kernelIllaaffEEvbT_PT0_S3_jNS_24const_host_device_scalarIT4_EEPKS1_PKS2_PKT1_PKT2_S6_PT3_21rocsparse_index_base_b,comdat
.Lfunc_end111:
	.size	_ZN9rocsparseL30csrmvn_lrb_short_rows_2_kernelIllaaffEEvbT_PT0_S3_jNS_24const_host_device_scalarIT4_EEPKS1_PKS2_PKT1_PKT2_S6_PT3_21rocsparse_index_base_b, .Lfunc_end111-_ZN9rocsparseL30csrmvn_lrb_short_rows_2_kernelIllaaffEEvbT_PT0_S3_jNS_24const_host_device_scalarIT4_EEPKS1_PKS2_PKT1_PKT2_S6_PT3_21rocsparse_index_base_b
                                        ; -- End function
	.set _ZN9rocsparseL30csrmvn_lrb_short_rows_2_kernelIllaaffEEvbT_PT0_S3_jNS_24const_host_device_scalarIT4_EEPKS1_PKS2_PKT1_PKT2_S6_PT3_21rocsparse_index_base_b.num_vgpr, 9
	.set _ZN9rocsparseL30csrmvn_lrb_short_rows_2_kernelIllaaffEEvbT_PT0_S3_jNS_24const_host_device_scalarIT4_EEPKS1_PKS2_PKT1_PKT2_S6_PT3_21rocsparse_index_base_b.num_agpr, 0
	.set _ZN9rocsparseL30csrmvn_lrb_short_rows_2_kernelIllaaffEEvbT_PT0_S3_jNS_24const_host_device_scalarIT4_EEPKS1_PKS2_PKT1_PKT2_S6_PT3_21rocsparse_index_base_b.numbered_sgpr, 28
	.set _ZN9rocsparseL30csrmvn_lrb_short_rows_2_kernelIllaaffEEvbT_PT0_S3_jNS_24const_host_device_scalarIT4_EEPKS1_PKS2_PKT1_PKT2_S6_PT3_21rocsparse_index_base_b.num_named_barrier, 0
	.set _ZN9rocsparseL30csrmvn_lrb_short_rows_2_kernelIllaaffEEvbT_PT0_S3_jNS_24const_host_device_scalarIT4_EEPKS1_PKS2_PKT1_PKT2_S6_PT3_21rocsparse_index_base_b.private_seg_size, 0
	.set _ZN9rocsparseL30csrmvn_lrb_short_rows_2_kernelIllaaffEEvbT_PT0_S3_jNS_24const_host_device_scalarIT4_EEPKS1_PKS2_PKT1_PKT2_S6_PT3_21rocsparse_index_base_b.uses_vcc, 1
	.set _ZN9rocsparseL30csrmvn_lrb_short_rows_2_kernelIllaaffEEvbT_PT0_S3_jNS_24const_host_device_scalarIT4_EEPKS1_PKS2_PKT1_PKT2_S6_PT3_21rocsparse_index_base_b.uses_flat_scratch, 0
	.set _ZN9rocsparseL30csrmvn_lrb_short_rows_2_kernelIllaaffEEvbT_PT0_S3_jNS_24const_host_device_scalarIT4_EEPKS1_PKS2_PKT1_PKT2_S6_PT3_21rocsparse_index_base_b.has_dyn_sized_stack, 0
	.set _ZN9rocsparseL30csrmvn_lrb_short_rows_2_kernelIllaaffEEvbT_PT0_S3_jNS_24const_host_device_scalarIT4_EEPKS1_PKS2_PKT1_PKT2_S6_PT3_21rocsparse_index_base_b.has_recursion, 0
	.set _ZN9rocsparseL30csrmvn_lrb_short_rows_2_kernelIllaaffEEvbT_PT0_S3_jNS_24const_host_device_scalarIT4_EEPKS1_PKS2_PKT1_PKT2_S6_PT3_21rocsparse_index_base_b.has_indirect_call, 0
	.section	.AMDGPU.csdata,"",@progbits
; Kernel info:
; codeLenInByte = 1480
; TotalNumSgprs: 30
; NumVgprs: 9
; ScratchSize: 0
; MemoryBound: 0
; FloatMode: 240
; IeeeMode: 1
; LDSByteSize: 4096 bytes/workgroup (compile time only)
; SGPRBlocks: 0
; VGPRBlocks: 0
; NumSGPRsForWavesPerEU: 30
; NumVGPRsForWavesPerEU: 9
; NamedBarCnt: 0
; Occupancy: 16
; WaveLimiterHint : 1
; COMPUTE_PGM_RSRC2:SCRATCH_EN: 0
; COMPUTE_PGM_RSRC2:USER_SGPR: 2
; COMPUTE_PGM_RSRC2:TRAP_HANDLER: 0
; COMPUTE_PGM_RSRC2:TGID_X_EN: 1
; COMPUTE_PGM_RSRC2:TGID_Y_EN: 0
; COMPUTE_PGM_RSRC2:TGID_Z_EN: 0
; COMPUTE_PGM_RSRC2:TIDIG_COMP_CNT: 0
	.section	.text._ZN9rocsparseL41csrmvn_lrb_medium_rows_warp_reduce_kernelILj256ELj32EllaaffEEvbT1_lPT2_S3_jNS_24const_host_device_scalarIT6_EEPKS1_PKS2_PKT3_PKT4_S6_PT5_21rocsparse_index_base_b,"axG",@progbits,_ZN9rocsparseL41csrmvn_lrb_medium_rows_warp_reduce_kernelILj256ELj32EllaaffEEvbT1_lPT2_S3_jNS_24const_host_device_scalarIT6_EEPKS1_PKS2_PKT3_PKT4_S6_PT5_21rocsparse_index_base_b,comdat
	.globl	_ZN9rocsparseL41csrmvn_lrb_medium_rows_warp_reduce_kernelILj256ELj32EllaaffEEvbT1_lPT2_S3_jNS_24const_host_device_scalarIT6_EEPKS1_PKS2_PKT3_PKT4_S6_PT5_21rocsparse_index_base_b ; -- Begin function _ZN9rocsparseL41csrmvn_lrb_medium_rows_warp_reduce_kernelILj256ELj32EllaaffEEvbT1_lPT2_S3_jNS_24const_host_device_scalarIT6_EEPKS1_PKS2_PKT3_PKT4_S6_PT5_21rocsparse_index_base_b
	.p2align	8
	.type	_ZN9rocsparseL41csrmvn_lrb_medium_rows_warp_reduce_kernelILj256ELj32EllaaffEEvbT1_lPT2_S3_jNS_24const_host_device_scalarIT6_EEPKS1_PKS2_PKT3_PKT4_S6_PT5_21rocsparse_index_base_b,@function
_ZN9rocsparseL41csrmvn_lrb_medium_rows_warp_reduce_kernelILj256ELj32EllaaffEEvbT1_lPT2_S3_jNS_24const_host_device_scalarIT6_EEPKS1_PKS2_PKT3_PKT4_S6_PT5_21rocsparse_index_base_b: ; @_ZN9rocsparseL41csrmvn_lrb_medium_rows_warp_reduce_kernelILj256ELj32EllaaffEEvbT1_lPT2_S3_jNS_24const_host_device_scalarIT6_EEPKS1_PKS2_PKT3_PKT4_S6_PT5_21rocsparse_index_base_b
; %bb.0:
	s_clause 0x2
	s_load_b64 s[8:9], s[0:1], 0x68
	s_load_b64 s[10:11], s[0:1], 0x30
	;; [unrolled: 1-line block ×3, first 2 shown]
	s_wait_kmcnt 0x0
	s_bitcmp1_b32 s9, 0
	s_cselect_b32 s4, -1, 0
	s_delay_alu instid0(SALU_CYCLE_1)
	s_and_b32 vcc_lo, exec_lo, s4
	s_xor_b32 s4, s4, -1
	s_cbranch_vccnz .LBB112_2
; %bb.1:
	s_load_b32 s10, s[10:11], 0x0
.LBB112_2:
	s_and_not1_b32 vcc_lo, exec_lo, s4
	s_cbranch_vccnz .LBB112_4
; %bb.3:
	s_load_b32 s2, s[2:3], 0x0
.LBB112_4:
	s_wait_kmcnt 0x0
	s_cmp_neq_f32 s10, 0
	s_cselect_b32 s3, -1, 0
	s_cmp_neq_f32 s2, 1.0
	s_cselect_b32 s4, -1, 0
	s_delay_alu instid0(SALU_CYCLE_1) | instskip(NEXT) | instid1(SALU_CYCLE_1)
	s_or_b32 s3, s3, s4
	s_and_not1_b32 vcc_lo, exec_lo, s3
	s_cbranch_vccnz .LBB112_14
; %bb.5:
	s_bfe_u32 s3, ttmp6, 0x4000c
	s_load_b64 s[4:5], s[0:1], 0x10
	s_add_co_i32 s3, s3, 1
	s_and_b32 s6, ttmp6, 15
	s_mul_i32 s3, ttmp9, s3
	s_getreg_b32 s7, hwreg(HW_REG_IB_STS2, 6, 4)
	v_lshrrev_b32_e32 v1, 5, v0
	s_add_co_i32 s6, s6, s3
	s_cmp_eq_u32 s7, 0
	s_cselect_b32 s3, ttmp9, s6
	s_delay_alu instid0(VALU_DEP_1) | instid1(SALU_CYCLE_1)
	v_lshl_or_b32 v2, s3, 3, v1
	s_mov_b32 s3, exec_lo
	s_delay_alu instid0(VALU_DEP_1) | instskip(SKIP_1) | instid1(VALU_DEP_1)
	v_ashrrev_i32_e32 v3, 31, v2
	s_wait_kmcnt 0x0
	v_cmpx_gt_i64_e64 s[4:5], v[2:3]
	s_cbranch_execz .LBB112_14
; %bb.6:
	s_clause 0x1
	s_load_b128 s[4:7], s[0:1], 0x18
	s_load_b32 s3, s[0:1], 0x28
	v_dual_mov_b32 v1, 0 :: v_dual_bitop2_b32 v0, 31, v0 bitop3:0x40
	s_mov_b32 s9, 0
	s_delay_alu instid0(VALU_DEP_1) | instid1(SALU_CYCLE_1)
	v_sub_nc_u64_e64 v[10:11], v[0:1], s[8:9]
	s_wait_kmcnt 0x0
	s_load_b64 s[6:7], s[6:7], s3 offset:0x0 scale_offset
	s_wait_xcnt 0x0
	s_mov_b32 s3, exec_lo
	s_wait_kmcnt 0x0
	s_lshl_b64 s[6:7], s[6:7], 3
	s_delay_alu instid0(SALU_CYCLE_1) | instskip(NEXT) | instid1(SALU_CYCLE_1)
	s_add_nc_u64 s[4:5], s[4:5], s[6:7]
	v_lshl_add_u64 v[2:3], v[2:3], 3, s[4:5]
	s_load_b64 s[4:5], s[0:1], 0x38
	global_load_b64 v[2:3], v[2:3], off
	s_wait_loadcnt 0x0
	s_wait_kmcnt 0x0
	v_lshl_add_u64 v[4:5], v[2:3], 3, s[4:5]
	global_load_b128 v[6:9], v[4:5], off
	s_wait_loadcnt 0x0
	v_sub_nc_u64_e64 v[4:5], v[8:9], s[8:9]
	v_add_nc_u64_e32 v[6:7], v[6:7], v[10:11]
	s_delay_alu instid0(VALU_DEP_1)
	v_cmpx_lt_i64_e64 v[6:7], v[4:5]
	s_cbranch_execz .LBB112_10
; %bb.7:
	s_clause 0x1
	s_load_b128 s[4:7], s[0:1], 0x40
	s_load_b64 s[12:13], s[0:1], 0x50
	v_mov_b32_e32 v1, 0
	s_wait_kmcnt 0x0
	v_lshl_add_u64 v[8:9], v[6:7], 3, s[4:5]
	s_mov_b32 s4, s9
.LBB112_8:                              ; =>This Inner Loop Header: Depth=1
	global_load_b64 v[10:11], v[8:9], off
	v_add_nc_u64_e32 v[12:13], s[6:7], v[6:7]
	v_add_nc_u64_e32 v[6:7], 32, v[6:7]
	s_wait_xcnt 0x0
	v_add_nc_u64_e32 v[8:9], 0x100, v[8:9]
	s_delay_alu instid0(VALU_DEP_2) | instskip(SKIP_3) | instid1(VALU_DEP_1)
	v_cmp_ge_i64_e32 vcc_lo, v[6:7], v[4:5]
	s_or_b32 s4, vcc_lo, s4
	s_wait_loadcnt 0x0
	v_sub_nc_u64_e64 v[10:11], v[10:11], s[8:9]
	v_add_nc_u64_e32 v[10:11], s[12:13], v[10:11]
	global_load_i8 v14, v[12:13], off
	global_load_i8 v15, v[10:11], off
	s_wait_loadcnt 0x1
	s_wait_xcnt 0x0
	v_cvt_f32_i32_e32 v10, v14
	s_wait_loadcnt 0x0
	v_cvt_f32_i32_e32 v11, v15
	s_delay_alu instid0(VALU_DEP_2) | instskip(NEXT) | instid1(VALU_DEP_1)
	v_mul_f32_e32 v10, s10, v10
	v_fmac_f32_e32 v1, v10, v11
	s_and_not1_b32 exec_lo, exec_lo, s4
	s_cbranch_execnz .LBB112_8
; %bb.9:
	s_or_b32 exec_lo, exec_lo, s4
.LBB112_10:
	s_delay_alu instid0(SALU_CYCLE_1) | instskip(SKIP_2) | instid1(VALU_DEP_1)
	s_or_b32 exec_lo, exec_lo, s3
	v_mbcnt_lo_u32_b32 v4, -1, 0
	s_load_b64 s[0:1], s[0:1], 0x60
	v_xor_b32_e32 v6, 8, v4
	v_xor_b32_e32 v5, 16, v4
	s_delay_alu instid0(VALU_DEP_1) | instskip(SKIP_1) | instid1(VALU_DEP_4)
	v_cmp_gt_i32_e32 vcc_lo, 32, v5
	v_cndmask_b32_e32 v5, v4, v5, vcc_lo
	v_cmp_gt_i32_e32 vcc_lo, 32, v6
	v_cndmask_b32_e32 v6, v4, v6, vcc_lo
	s_delay_alu instid0(VALU_DEP_1)
	v_dual_lshlrev_b32 v6, 2, v6 :: v_dual_lshlrev_b32 v5, 2, v5
	ds_bpermute_b32 v5, v5, v1
	s_wait_dscnt 0x0
	v_add_f32_e32 v1, v1, v5
	ds_bpermute_b32 v5, v6, v1
	v_xor_b32_e32 v6, 4, v4
	s_delay_alu instid0(VALU_DEP_1) | instskip(SKIP_2) | instid1(VALU_DEP_1)
	v_cmp_gt_i32_e32 vcc_lo, 32, v6
	s_wait_dscnt 0x0
	v_dual_cndmask_b32 v6, v4, v6 :: v_dual_add_f32 v1, v1, v5
	v_lshlrev_b32_e32 v6, 2, v6
	ds_bpermute_b32 v5, v6, v1
	s_wait_dscnt 0x0
	v_dual_add_f32 v1, v1, v5 :: v_dual_bitop2_b32 v6, 2, v4 bitop3:0x14
	s_delay_alu instid0(VALU_DEP_1) | instskip(SKIP_1) | instid1(VALU_DEP_1)
	v_cmp_gt_i32_e32 vcc_lo, 32, v6
	v_cndmask_b32_e32 v6, v4, v6, vcc_lo
	v_lshlrev_b32_e32 v6, 2, v6
	ds_bpermute_b32 v5, v6, v1
	v_xor_b32_e32 v6, 1, v4
	s_delay_alu instid0(VALU_DEP_1) | instskip(SKIP_3) | instid1(VALU_DEP_2)
	v_cmp_gt_i32_e32 vcc_lo, 32, v6
	v_cndmask_b32_e32 v4, v4, v6, vcc_lo
	v_cmp_eq_u32_e32 vcc_lo, 31, v0
	s_wait_dscnt 0x0
	v_dual_add_f32 v1, v1, v5 :: v_dual_lshlrev_b32 v4, 2, v4
	ds_bpermute_b32 v4, v4, v1
	s_and_b32 exec_lo, exec_lo, vcc_lo
	s_cbranch_execz .LBB112_14
; %bb.11:
	s_wait_dscnt 0x0
	v_add_f32_e32 v4, v1, v4
	s_wait_kmcnt 0x0
	v_lshl_add_u64 v[0:1], v[2:3], 2, s[0:1]
	s_cmp_eq_f32 s2, 0
	s_cbranch_scc1 .LBB112_13
; %bb.12:
	global_load_b32 v2, v[0:1], off
	s_wait_loadcnt 0x0
	v_fmac_f32_e32 v4, s2, v2
.LBB112_13:
	global_store_b32 v[0:1], v4, off
.LBB112_14:
	s_endpgm
	.section	.rodata,"a",@progbits
	.p2align	6, 0x0
	.amdhsa_kernel _ZN9rocsparseL41csrmvn_lrb_medium_rows_warp_reduce_kernelILj256ELj32EllaaffEEvbT1_lPT2_S3_jNS_24const_host_device_scalarIT6_EEPKS1_PKS2_PKT3_PKT4_S6_PT5_21rocsparse_index_base_b
		.amdhsa_group_segment_fixed_size 0
		.amdhsa_private_segment_fixed_size 0
		.amdhsa_kernarg_size 112
		.amdhsa_user_sgpr_count 2
		.amdhsa_user_sgpr_dispatch_ptr 0
		.amdhsa_user_sgpr_queue_ptr 0
		.amdhsa_user_sgpr_kernarg_segment_ptr 1
		.amdhsa_user_sgpr_dispatch_id 0
		.amdhsa_user_sgpr_kernarg_preload_length 0
		.amdhsa_user_sgpr_kernarg_preload_offset 0
		.amdhsa_user_sgpr_private_segment_size 0
		.amdhsa_wavefront_size32 1
		.amdhsa_uses_dynamic_stack 0
		.amdhsa_enable_private_segment 0
		.amdhsa_system_sgpr_workgroup_id_x 1
		.amdhsa_system_sgpr_workgroup_id_y 0
		.amdhsa_system_sgpr_workgroup_id_z 0
		.amdhsa_system_sgpr_workgroup_info 0
		.amdhsa_system_vgpr_workitem_id 0
		.amdhsa_next_free_vgpr 16
		.amdhsa_next_free_sgpr 14
		.amdhsa_named_barrier_count 0
		.amdhsa_reserve_vcc 1
		.amdhsa_float_round_mode_32 0
		.amdhsa_float_round_mode_16_64 0
		.amdhsa_float_denorm_mode_32 3
		.amdhsa_float_denorm_mode_16_64 3
		.amdhsa_fp16_overflow 0
		.amdhsa_memory_ordered 1
		.amdhsa_forward_progress 1
		.amdhsa_inst_pref_size 7
		.amdhsa_round_robin_scheduling 0
		.amdhsa_exception_fp_ieee_invalid_op 0
		.amdhsa_exception_fp_denorm_src 0
		.amdhsa_exception_fp_ieee_div_zero 0
		.amdhsa_exception_fp_ieee_overflow 0
		.amdhsa_exception_fp_ieee_underflow 0
		.amdhsa_exception_fp_ieee_inexact 0
		.amdhsa_exception_int_div_zero 0
	.end_amdhsa_kernel
	.section	.text._ZN9rocsparseL41csrmvn_lrb_medium_rows_warp_reduce_kernelILj256ELj32EllaaffEEvbT1_lPT2_S3_jNS_24const_host_device_scalarIT6_EEPKS1_PKS2_PKT3_PKT4_S6_PT5_21rocsparse_index_base_b,"axG",@progbits,_ZN9rocsparseL41csrmvn_lrb_medium_rows_warp_reduce_kernelILj256ELj32EllaaffEEvbT1_lPT2_S3_jNS_24const_host_device_scalarIT6_EEPKS1_PKS2_PKT3_PKT4_S6_PT5_21rocsparse_index_base_b,comdat
.Lfunc_end112:
	.size	_ZN9rocsparseL41csrmvn_lrb_medium_rows_warp_reduce_kernelILj256ELj32EllaaffEEvbT1_lPT2_S3_jNS_24const_host_device_scalarIT6_EEPKS1_PKS2_PKT3_PKT4_S6_PT5_21rocsparse_index_base_b, .Lfunc_end112-_ZN9rocsparseL41csrmvn_lrb_medium_rows_warp_reduce_kernelILj256ELj32EllaaffEEvbT1_lPT2_S3_jNS_24const_host_device_scalarIT6_EEPKS1_PKS2_PKT3_PKT4_S6_PT5_21rocsparse_index_base_b
                                        ; -- End function
	.set _ZN9rocsparseL41csrmvn_lrb_medium_rows_warp_reduce_kernelILj256ELj32EllaaffEEvbT1_lPT2_S3_jNS_24const_host_device_scalarIT6_EEPKS1_PKS2_PKT3_PKT4_S6_PT5_21rocsparse_index_base_b.num_vgpr, 16
	.set _ZN9rocsparseL41csrmvn_lrb_medium_rows_warp_reduce_kernelILj256ELj32EllaaffEEvbT1_lPT2_S3_jNS_24const_host_device_scalarIT6_EEPKS1_PKS2_PKT3_PKT4_S6_PT5_21rocsparse_index_base_b.num_agpr, 0
	.set _ZN9rocsparseL41csrmvn_lrb_medium_rows_warp_reduce_kernelILj256ELj32EllaaffEEvbT1_lPT2_S3_jNS_24const_host_device_scalarIT6_EEPKS1_PKS2_PKT3_PKT4_S6_PT5_21rocsparse_index_base_b.numbered_sgpr, 14
	.set _ZN9rocsparseL41csrmvn_lrb_medium_rows_warp_reduce_kernelILj256ELj32EllaaffEEvbT1_lPT2_S3_jNS_24const_host_device_scalarIT6_EEPKS1_PKS2_PKT3_PKT4_S6_PT5_21rocsparse_index_base_b.num_named_barrier, 0
	.set _ZN9rocsparseL41csrmvn_lrb_medium_rows_warp_reduce_kernelILj256ELj32EllaaffEEvbT1_lPT2_S3_jNS_24const_host_device_scalarIT6_EEPKS1_PKS2_PKT3_PKT4_S6_PT5_21rocsparse_index_base_b.private_seg_size, 0
	.set _ZN9rocsparseL41csrmvn_lrb_medium_rows_warp_reduce_kernelILj256ELj32EllaaffEEvbT1_lPT2_S3_jNS_24const_host_device_scalarIT6_EEPKS1_PKS2_PKT3_PKT4_S6_PT5_21rocsparse_index_base_b.uses_vcc, 1
	.set _ZN9rocsparseL41csrmvn_lrb_medium_rows_warp_reduce_kernelILj256ELj32EllaaffEEvbT1_lPT2_S3_jNS_24const_host_device_scalarIT6_EEPKS1_PKS2_PKT3_PKT4_S6_PT5_21rocsparse_index_base_b.uses_flat_scratch, 0
	.set _ZN9rocsparseL41csrmvn_lrb_medium_rows_warp_reduce_kernelILj256ELj32EllaaffEEvbT1_lPT2_S3_jNS_24const_host_device_scalarIT6_EEPKS1_PKS2_PKT3_PKT4_S6_PT5_21rocsparse_index_base_b.has_dyn_sized_stack, 0
	.set _ZN9rocsparseL41csrmvn_lrb_medium_rows_warp_reduce_kernelILj256ELj32EllaaffEEvbT1_lPT2_S3_jNS_24const_host_device_scalarIT6_EEPKS1_PKS2_PKT3_PKT4_S6_PT5_21rocsparse_index_base_b.has_recursion, 0
	.set _ZN9rocsparseL41csrmvn_lrb_medium_rows_warp_reduce_kernelILj256ELj32EllaaffEEvbT1_lPT2_S3_jNS_24const_host_device_scalarIT6_EEPKS1_PKS2_PKT3_PKT4_S6_PT5_21rocsparse_index_base_b.has_indirect_call, 0
	.section	.AMDGPU.csdata,"",@progbits
; Kernel info:
; codeLenInByte = 824
; TotalNumSgprs: 16
; NumVgprs: 16
; ScratchSize: 0
; MemoryBound: 0
; FloatMode: 240
; IeeeMode: 1
; LDSByteSize: 0 bytes/workgroup (compile time only)
; SGPRBlocks: 0
; VGPRBlocks: 0
; NumSGPRsForWavesPerEU: 16
; NumVGPRsForWavesPerEU: 16
; NamedBarCnt: 0
; Occupancy: 16
; WaveLimiterHint : 1
; COMPUTE_PGM_RSRC2:SCRATCH_EN: 0
; COMPUTE_PGM_RSRC2:USER_SGPR: 2
; COMPUTE_PGM_RSRC2:TRAP_HANDLER: 0
; COMPUTE_PGM_RSRC2:TGID_X_EN: 1
; COMPUTE_PGM_RSRC2:TGID_Y_EN: 0
; COMPUTE_PGM_RSRC2:TGID_Z_EN: 0
; COMPUTE_PGM_RSRC2:TIDIG_COMP_CNT: 0
	.section	.text._ZN9rocsparseL41csrmvn_lrb_medium_rows_warp_reduce_kernelILj256ELj64EllaaffEEvbT1_lPT2_S3_jNS_24const_host_device_scalarIT6_EEPKS1_PKS2_PKT3_PKT4_S6_PT5_21rocsparse_index_base_b,"axG",@progbits,_ZN9rocsparseL41csrmvn_lrb_medium_rows_warp_reduce_kernelILj256ELj64EllaaffEEvbT1_lPT2_S3_jNS_24const_host_device_scalarIT6_EEPKS1_PKS2_PKT3_PKT4_S6_PT5_21rocsparse_index_base_b,comdat
	.globl	_ZN9rocsparseL41csrmvn_lrb_medium_rows_warp_reduce_kernelILj256ELj64EllaaffEEvbT1_lPT2_S3_jNS_24const_host_device_scalarIT6_EEPKS1_PKS2_PKT3_PKT4_S6_PT5_21rocsparse_index_base_b ; -- Begin function _ZN9rocsparseL41csrmvn_lrb_medium_rows_warp_reduce_kernelILj256ELj64EllaaffEEvbT1_lPT2_S3_jNS_24const_host_device_scalarIT6_EEPKS1_PKS2_PKT3_PKT4_S6_PT5_21rocsparse_index_base_b
	.p2align	8
	.type	_ZN9rocsparseL41csrmvn_lrb_medium_rows_warp_reduce_kernelILj256ELj64EllaaffEEvbT1_lPT2_S3_jNS_24const_host_device_scalarIT6_EEPKS1_PKS2_PKT3_PKT4_S6_PT5_21rocsparse_index_base_b,@function
_ZN9rocsparseL41csrmvn_lrb_medium_rows_warp_reduce_kernelILj256ELj64EllaaffEEvbT1_lPT2_S3_jNS_24const_host_device_scalarIT6_EEPKS1_PKS2_PKT3_PKT4_S6_PT5_21rocsparse_index_base_b: ; @_ZN9rocsparseL41csrmvn_lrb_medium_rows_warp_reduce_kernelILj256ELj64EllaaffEEvbT1_lPT2_S3_jNS_24const_host_device_scalarIT6_EEPKS1_PKS2_PKT3_PKT4_S6_PT5_21rocsparse_index_base_b
; %bb.0:
	s_clause 0x2
	s_load_b64 s[8:9], s[0:1], 0x68
	s_load_b64 s[10:11], s[0:1], 0x30
	s_load_b64 s[2:3], s[0:1], 0x58
	s_wait_kmcnt 0x0
	s_bitcmp1_b32 s9, 0
	s_cselect_b32 s4, -1, 0
	s_delay_alu instid0(SALU_CYCLE_1)
	s_and_b32 vcc_lo, exec_lo, s4
	s_xor_b32 s4, s4, -1
	s_cbranch_vccnz .LBB113_2
; %bb.1:
	s_load_b32 s10, s[10:11], 0x0
.LBB113_2:
	s_and_not1_b32 vcc_lo, exec_lo, s4
	s_cbranch_vccnz .LBB113_4
; %bb.3:
	s_load_b32 s2, s[2:3], 0x0
.LBB113_4:
	s_wait_kmcnt 0x0
	s_cmp_neq_f32 s10, 0
	s_cselect_b32 s3, -1, 0
	s_cmp_neq_f32 s2, 1.0
	s_cselect_b32 s4, -1, 0
	s_delay_alu instid0(SALU_CYCLE_1) | instskip(NEXT) | instid1(SALU_CYCLE_1)
	s_or_b32 s3, s3, s4
	s_and_not1_b32 vcc_lo, exec_lo, s3
	s_cbranch_vccnz .LBB113_14
; %bb.5:
	s_bfe_u32 s3, ttmp6, 0x4000c
	s_load_b64 s[4:5], s[0:1], 0x10
	s_add_co_i32 s3, s3, 1
	s_and_b32 s6, ttmp6, 15
	s_mul_i32 s3, ttmp9, s3
	s_getreg_b32 s7, hwreg(HW_REG_IB_STS2, 6, 4)
	v_lshrrev_b32_e32 v1, 6, v0
	s_add_co_i32 s6, s6, s3
	s_cmp_eq_u32 s7, 0
	s_cselect_b32 s3, ttmp9, s6
	s_delay_alu instid0(VALU_DEP_1) | instid1(SALU_CYCLE_1)
	v_lshl_or_b32 v2, s3, 2, v1
	s_mov_b32 s3, exec_lo
	s_delay_alu instid0(VALU_DEP_1) | instskip(SKIP_1) | instid1(VALU_DEP_1)
	v_ashrrev_i32_e32 v3, 31, v2
	s_wait_kmcnt 0x0
	v_cmpx_gt_i64_e64 s[4:5], v[2:3]
	s_cbranch_execz .LBB113_14
; %bb.6:
	s_clause 0x1
	s_load_b128 s[4:7], s[0:1], 0x18
	s_load_b32 s3, s[0:1], 0x28
	v_dual_mov_b32 v1, 0 :: v_dual_bitop2_b32 v0, 63, v0 bitop3:0x40
	s_mov_b32 s9, 0
	s_delay_alu instid0(VALU_DEP_1) | instid1(SALU_CYCLE_1)
	v_sub_nc_u64_e64 v[10:11], v[0:1], s[8:9]
	s_wait_kmcnt 0x0
	s_load_b64 s[6:7], s[6:7], s3 offset:0x0 scale_offset
	s_wait_xcnt 0x0
	s_mov_b32 s3, exec_lo
	s_wait_kmcnt 0x0
	s_lshl_b64 s[6:7], s[6:7], 3
	s_delay_alu instid0(SALU_CYCLE_1) | instskip(NEXT) | instid1(SALU_CYCLE_1)
	s_add_nc_u64 s[4:5], s[4:5], s[6:7]
	v_lshl_add_u64 v[2:3], v[2:3], 3, s[4:5]
	s_load_b64 s[4:5], s[0:1], 0x38
	global_load_b64 v[2:3], v[2:3], off
	s_wait_loadcnt 0x0
	s_wait_kmcnt 0x0
	v_lshl_add_u64 v[4:5], v[2:3], 3, s[4:5]
	global_load_b128 v[6:9], v[4:5], off
	s_wait_loadcnt 0x0
	v_sub_nc_u64_e64 v[4:5], v[8:9], s[8:9]
	v_add_nc_u64_e32 v[6:7], v[6:7], v[10:11]
	s_delay_alu instid0(VALU_DEP_1)
	v_cmpx_lt_i64_e64 v[6:7], v[4:5]
	s_cbranch_execz .LBB113_10
; %bb.7:
	s_clause 0x1
	s_load_b128 s[4:7], s[0:1], 0x40
	s_load_b64 s[12:13], s[0:1], 0x50
	v_mov_b32_e32 v1, 0
	s_wait_kmcnt 0x0
	v_lshl_add_u64 v[8:9], v[6:7], 3, s[4:5]
	s_mov_b32 s4, s9
.LBB113_8:                              ; =>This Inner Loop Header: Depth=1
	global_load_b64 v[10:11], v[8:9], off
	v_add_nc_u64_e32 v[12:13], s[6:7], v[6:7]
	v_add_nc_u64_e32 v[6:7], 64, v[6:7]
	s_wait_xcnt 0x0
	v_add_nc_u64_e32 v[8:9], 0x200, v[8:9]
	s_delay_alu instid0(VALU_DEP_2) | instskip(SKIP_3) | instid1(VALU_DEP_1)
	v_cmp_ge_i64_e32 vcc_lo, v[6:7], v[4:5]
	s_or_b32 s4, vcc_lo, s4
	s_wait_loadcnt 0x0
	v_sub_nc_u64_e64 v[10:11], v[10:11], s[8:9]
	v_add_nc_u64_e32 v[10:11], s[12:13], v[10:11]
	global_load_i8 v14, v[12:13], off
	global_load_i8 v15, v[10:11], off
	s_wait_loadcnt 0x1
	s_wait_xcnt 0x0
	v_cvt_f32_i32_e32 v10, v14
	s_wait_loadcnt 0x0
	v_cvt_f32_i32_e32 v11, v15
	s_delay_alu instid0(VALU_DEP_2) | instskip(NEXT) | instid1(VALU_DEP_1)
	v_mul_f32_e32 v10, s10, v10
	v_fmac_f32_e32 v1, v10, v11
	s_and_not1_b32 exec_lo, exec_lo, s4
	s_cbranch_execnz .LBB113_8
; %bb.9:
	s_or_b32 exec_lo, exec_lo, s4
.LBB113_10:
	s_delay_alu instid0(SALU_CYCLE_1) | instskip(SKIP_2) | instid1(VALU_DEP_1)
	s_or_b32 exec_lo, exec_lo, s3
	v_mbcnt_lo_u32_b32 v4, -1, 0
	s_load_b64 s[0:1], s[0:1], 0x60
	v_xor_b32_e32 v6, 16, v4
	v_or_b32_e32 v5, 32, v4
	s_delay_alu instid0(VALU_DEP_1) | instskip(SKIP_1) | instid1(VALU_DEP_4)
	v_cmp_gt_i32_e32 vcc_lo, 32, v5
	v_cndmask_b32_e32 v5, v4, v5, vcc_lo
	v_cmp_gt_i32_e32 vcc_lo, 32, v6
	v_cndmask_b32_e32 v6, v4, v6, vcc_lo
	s_delay_alu instid0(VALU_DEP_1)
	v_dual_lshlrev_b32 v6, 2, v6 :: v_dual_lshlrev_b32 v5, 2, v5
	ds_bpermute_b32 v5, v5, v1
	s_wait_dscnt 0x0
	v_add_f32_e32 v1, v1, v5
	ds_bpermute_b32 v5, v6, v1
	v_xor_b32_e32 v6, 8, v4
	s_delay_alu instid0(VALU_DEP_1) | instskip(SKIP_2) | instid1(VALU_DEP_1)
	v_cmp_gt_i32_e32 vcc_lo, 32, v6
	s_wait_dscnt 0x0
	v_dual_cndmask_b32 v6, v4, v6 :: v_dual_add_f32 v1, v1, v5
	v_lshlrev_b32_e32 v6, 2, v6
	ds_bpermute_b32 v5, v6, v1
	s_wait_dscnt 0x0
	v_dual_add_f32 v1, v1, v5 :: v_dual_bitop2_b32 v6, 4, v4 bitop3:0x14
	s_delay_alu instid0(VALU_DEP_1) | instskip(SKIP_1) | instid1(VALU_DEP_1)
	v_cmp_gt_i32_e32 vcc_lo, 32, v6
	v_cndmask_b32_e32 v6, v4, v6, vcc_lo
	v_lshlrev_b32_e32 v6, 2, v6
	ds_bpermute_b32 v5, v6, v1
	v_xor_b32_e32 v6, 2, v4
	s_delay_alu instid0(VALU_DEP_1) | instskip(SKIP_2) | instid1(VALU_DEP_1)
	v_cmp_gt_i32_e32 vcc_lo, 32, v6
	v_cndmask_b32_e32 v6, v4, v6, vcc_lo
	s_wait_dscnt 0x0
	v_dual_add_f32 v1, v1, v5 :: v_dual_lshlrev_b32 v6, 2, v6
	ds_bpermute_b32 v5, v6, v1
	v_xor_b32_e32 v6, 1, v4
	s_delay_alu instid0(VALU_DEP_1) | instskip(SKIP_3) | instid1(VALU_DEP_2)
	v_cmp_gt_i32_e32 vcc_lo, 32, v6
	v_cndmask_b32_e32 v4, v4, v6, vcc_lo
	v_cmp_eq_u32_e32 vcc_lo, 63, v0
	s_wait_dscnt 0x0
	v_dual_add_f32 v1, v1, v5 :: v_dual_lshlrev_b32 v4, 2, v4
	ds_bpermute_b32 v4, v4, v1
	s_and_b32 exec_lo, exec_lo, vcc_lo
	s_cbranch_execz .LBB113_14
; %bb.11:
	s_wait_dscnt 0x0
	v_add_f32_e32 v4, v1, v4
	s_wait_kmcnt 0x0
	v_lshl_add_u64 v[0:1], v[2:3], 2, s[0:1]
	s_cmp_eq_f32 s2, 0
	s_cbranch_scc1 .LBB113_13
; %bb.12:
	global_load_b32 v2, v[0:1], off
	s_wait_loadcnt 0x0
	v_fmac_f32_e32 v4, s2, v2
.LBB113_13:
	global_store_b32 v[0:1], v4, off
.LBB113_14:
	s_endpgm
	.section	.rodata,"a",@progbits
	.p2align	6, 0x0
	.amdhsa_kernel _ZN9rocsparseL41csrmvn_lrb_medium_rows_warp_reduce_kernelILj256ELj64EllaaffEEvbT1_lPT2_S3_jNS_24const_host_device_scalarIT6_EEPKS1_PKS2_PKT3_PKT4_S6_PT5_21rocsparse_index_base_b
		.amdhsa_group_segment_fixed_size 0
		.amdhsa_private_segment_fixed_size 0
		.amdhsa_kernarg_size 112
		.amdhsa_user_sgpr_count 2
		.amdhsa_user_sgpr_dispatch_ptr 0
		.amdhsa_user_sgpr_queue_ptr 0
		.amdhsa_user_sgpr_kernarg_segment_ptr 1
		.amdhsa_user_sgpr_dispatch_id 0
		.amdhsa_user_sgpr_kernarg_preload_length 0
		.amdhsa_user_sgpr_kernarg_preload_offset 0
		.amdhsa_user_sgpr_private_segment_size 0
		.amdhsa_wavefront_size32 1
		.amdhsa_uses_dynamic_stack 0
		.amdhsa_enable_private_segment 0
		.amdhsa_system_sgpr_workgroup_id_x 1
		.amdhsa_system_sgpr_workgroup_id_y 0
		.amdhsa_system_sgpr_workgroup_id_z 0
		.amdhsa_system_sgpr_workgroup_info 0
		.amdhsa_system_vgpr_workitem_id 0
		.amdhsa_next_free_vgpr 16
		.amdhsa_next_free_sgpr 14
		.amdhsa_named_barrier_count 0
		.amdhsa_reserve_vcc 1
		.amdhsa_float_round_mode_32 0
		.amdhsa_float_round_mode_16_64 0
		.amdhsa_float_denorm_mode_32 3
		.amdhsa_float_denorm_mode_16_64 3
		.amdhsa_fp16_overflow 0
		.amdhsa_memory_ordered 1
		.amdhsa_forward_progress 1
		.amdhsa_inst_pref_size 7
		.amdhsa_round_robin_scheduling 0
		.amdhsa_exception_fp_ieee_invalid_op 0
		.amdhsa_exception_fp_denorm_src 0
		.amdhsa_exception_fp_ieee_div_zero 0
		.amdhsa_exception_fp_ieee_overflow 0
		.amdhsa_exception_fp_ieee_underflow 0
		.amdhsa_exception_fp_ieee_inexact 0
		.amdhsa_exception_int_div_zero 0
	.end_amdhsa_kernel
	.section	.text._ZN9rocsparseL41csrmvn_lrb_medium_rows_warp_reduce_kernelILj256ELj64EllaaffEEvbT1_lPT2_S3_jNS_24const_host_device_scalarIT6_EEPKS1_PKS2_PKT3_PKT4_S6_PT5_21rocsparse_index_base_b,"axG",@progbits,_ZN9rocsparseL41csrmvn_lrb_medium_rows_warp_reduce_kernelILj256ELj64EllaaffEEvbT1_lPT2_S3_jNS_24const_host_device_scalarIT6_EEPKS1_PKS2_PKT3_PKT4_S6_PT5_21rocsparse_index_base_b,comdat
.Lfunc_end113:
	.size	_ZN9rocsparseL41csrmvn_lrb_medium_rows_warp_reduce_kernelILj256ELj64EllaaffEEvbT1_lPT2_S3_jNS_24const_host_device_scalarIT6_EEPKS1_PKS2_PKT3_PKT4_S6_PT5_21rocsparse_index_base_b, .Lfunc_end113-_ZN9rocsparseL41csrmvn_lrb_medium_rows_warp_reduce_kernelILj256ELj64EllaaffEEvbT1_lPT2_S3_jNS_24const_host_device_scalarIT6_EEPKS1_PKS2_PKT3_PKT4_S6_PT5_21rocsparse_index_base_b
                                        ; -- End function
	.set _ZN9rocsparseL41csrmvn_lrb_medium_rows_warp_reduce_kernelILj256ELj64EllaaffEEvbT1_lPT2_S3_jNS_24const_host_device_scalarIT6_EEPKS1_PKS2_PKT3_PKT4_S6_PT5_21rocsparse_index_base_b.num_vgpr, 16
	.set _ZN9rocsparseL41csrmvn_lrb_medium_rows_warp_reduce_kernelILj256ELj64EllaaffEEvbT1_lPT2_S3_jNS_24const_host_device_scalarIT6_EEPKS1_PKS2_PKT3_PKT4_S6_PT5_21rocsparse_index_base_b.num_agpr, 0
	.set _ZN9rocsparseL41csrmvn_lrb_medium_rows_warp_reduce_kernelILj256ELj64EllaaffEEvbT1_lPT2_S3_jNS_24const_host_device_scalarIT6_EEPKS1_PKS2_PKT3_PKT4_S6_PT5_21rocsparse_index_base_b.numbered_sgpr, 14
	.set _ZN9rocsparseL41csrmvn_lrb_medium_rows_warp_reduce_kernelILj256ELj64EllaaffEEvbT1_lPT2_S3_jNS_24const_host_device_scalarIT6_EEPKS1_PKS2_PKT3_PKT4_S6_PT5_21rocsparse_index_base_b.num_named_barrier, 0
	.set _ZN9rocsparseL41csrmvn_lrb_medium_rows_warp_reduce_kernelILj256ELj64EllaaffEEvbT1_lPT2_S3_jNS_24const_host_device_scalarIT6_EEPKS1_PKS2_PKT3_PKT4_S6_PT5_21rocsparse_index_base_b.private_seg_size, 0
	.set _ZN9rocsparseL41csrmvn_lrb_medium_rows_warp_reduce_kernelILj256ELj64EllaaffEEvbT1_lPT2_S3_jNS_24const_host_device_scalarIT6_EEPKS1_PKS2_PKT3_PKT4_S6_PT5_21rocsparse_index_base_b.uses_vcc, 1
	.set _ZN9rocsparseL41csrmvn_lrb_medium_rows_warp_reduce_kernelILj256ELj64EllaaffEEvbT1_lPT2_S3_jNS_24const_host_device_scalarIT6_EEPKS1_PKS2_PKT3_PKT4_S6_PT5_21rocsparse_index_base_b.uses_flat_scratch, 0
	.set _ZN9rocsparseL41csrmvn_lrb_medium_rows_warp_reduce_kernelILj256ELj64EllaaffEEvbT1_lPT2_S3_jNS_24const_host_device_scalarIT6_EEPKS1_PKS2_PKT3_PKT4_S6_PT5_21rocsparse_index_base_b.has_dyn_sized_stack, 0
	.set _ZN9rocsparseL41csrmvn_lrb_medium_rows_warp_reduce_kernelILj256ELj64EllaaffEEvbT1_lPT2_S3_jNS_24const_host_device_scalarIT6_EEPKS1_PKS2_PKT3_PKT4_S6_PT5_21rocsparse_index_base_b.has_recursion, 0
	.set _ZN9rocsparseL41csrmvn_lrb_medium_rows_warp_reduce_kernelILj256ELj64EllaaffEEvbT1_lPT2_S3_jNS_24const_host_device_scalarIT6_EEPKS1_PKS2_PKT3_PKT4_S6_PT5_21rocsparse_index_base_b.has_indirect_call, 0
	.section	.AMDGPU.csdata,"",@progbits
; Kernel info:
; codeLenInByte = 860
; TotalNumSgprs: 16
; NumVgprs: 16
; ScratchSize: 0
; MemoryBound: 0
; FloatMode: 240
; IeeeMode: 1
; LDSByteSize: 0 bytes/workgroup (compile time only)
; SGPRBlocks: 0
; VGPRBlocks: 0
; NumSGPRsForWavesPerEU: 16
; NumVGPRsForWavesPerEU: 16
; NamedBarCnt: 0
; Occupancy: 16
; WaveLimiterHint : 1
; COMPUTE_PGM_RSRC2:SCRATCH_EN: 0
; COMPUTE_PGM_RSRC2:USER_SGPR: 2
; COMPUTE_PGM_RSRC2:TRAP_HANDLER: 0
; COMPUTE_PGM_RSRC2:TGID_X_EN: 1
; COMPUTE_PGM_RSRC2:TGID_Y_EN: 0
; COMPUTE_PGM_RSRC2:TGID_Z_EN: 0
; COMPUTE_PGM_RSRC2:TIDIG_COMP_CNT: 0
	.section	.text._ZN9rocsparseL29csrmvn_lrb_medium_rows_kernelILj256EllaaffEEvbT0_PT1_S3_jNS_24const_host_device_scalarIT5_EEPKS1_PKS2_PKT2_PKT3_S6_PT4_21rocsparse_index_base_b,"axG",@progbits,_ZN9rocsparseL29csrmvn_lrb_medium_rows_kernelILj256EllaaffEEvbT0_PT1_S3_jNS_24const_host_device_scalarIT5_EEPKS1_PKS2_PKT2_PKT3_S6_PT4_21rocsparse_index_base_b,comdat
	.globl	_ZN9rocsparseL29csrmvn_lrb_medium_rows_kernelILj256EllaaffEEvbT0_PT1_S3_jNS_24const_host_device_scalarIT5_EEPKS1_PKS2_PKT2_PKT3_S6_PT4_21rocsparse_index_base_b ; -- Begin function _ZN9rocsparseL29csrmvn_lrb_medium_rows_kernelILj256EllaaffEEvbT0_PT1_S3_jNS_24const_host_device_scalarIT5_EEPKS1_PKS2_PKT2_PKT3_S6_PT4_21rocsparse_index_base_b
	.p2align	8
	.type	_ZN9rocsparseL29csrmvn_lrb_medium_rows_kernelILj256EllaaffEEvbT0_PT1_S3_jNS_24const_host_device_scalarIT5_EEPKS1_PKS2_PKT2_PKT3_S6_PT4_21rocsparse_index_base_b,@function
_ZN9rocsparseL29csrmvn_lrb_medium_rows_kernelILj256EllaaffEEvbT0_PT1_S3_jNS_24const_host_device_scalarIT5_EEPKS1_PKS2_PKT2_PKT3_S6_PT4_21rocsparse_index_base_b: ; @_ZN9rocsparseL29csrmvn_lrb_medium_rows_kernelILj256EllaaffEEvbT0_PT1_S3_jNS_24const_host_device_scalarIT5_EEPKS1_PKS2_PKT2_PKT3_S6_PT4_21rocsparse_index_base_b
; %bb.0:
	s_clause 0x2
	s_load_b64 s[10:11], s[0:1], 0x60
	s_load_b64 s[12:13], s[0:1], 0x28
	;; [unrolled: 1-line block ×3, first 2 shown]
	s_wait_kmcnt 0x0
	s_bitcmp1_b32 s11, 0
	s_cselect_b32 s4, -1, 0
	s_delay_alu instid0(SALU_CYCLE_1)
	s_and_b32 vcc_lo, exec_lo, s4
	s_xor_b32 s4, s4, -1
	s_cbranch_vccnz .LBB114_2
; %bb.1:
	s_load_b32 s12, s[12:13], 0x0
.LBB114_2:
	s_and_not1_b32 vcc_lo, exec_lo, s4
	s_cbranch_vccnz .LBB114_4
; %bb.3:
	s_load_b32 s2, s[2:3], 0x0
.LBB114_4:
	s_wait_kmcnt 0x0
	s_cmp_neq_f32 s12, 0
	s_mov_b32 s11, 0
	s_cselect_b32 s3, -1, 0
	s_cmp_neq_f32 s2, 1.0
	s_cselect_b32 s4, -1, 0
	s_delay_alu instid0(SALU_CYCLE_1) | instskip(NEXT) | instid1(SALU_CYCLE_1)
	s_or_b32 s3, s3, s4
	s_and_not1_b32 vcc_lo, exec_lo, s3
	s_cbranch_vccnz .LBB114_29
; %bb.5:
	s_clause 0x1
	s_load_b128 s[4:7], s[0:1], 0x10
	s_load_b32 s3, s[0:1], 0x20
	s_and_b32 s8, ttmp6, 15
	s_getreg_b32 s9, hwreg(HW_REG_IB_STS2, 6, 4)
	v_mov_b32_e32 v1, 0
	s_delay_alu instid0(VALU_DEP_1) | instskip(SKIP_4) | instid1(SALU_CYCLE_1)
	v_sub_nc_u64_e64 v[2:3], v[0:1], s[10:11]
	s_wait_kmcnt 0x0
	s_load_b64 s[6:7], s[6:7], s3 offset:0x0 scale_offset
	s_wait_xcnt 0x0
	s_bfe_u32 s3, ttmp6, 0x4000c
	s_add_co_i32 s3, s3, 1
	s_delay_alu instid0(SALU_CYCLE_1) | instskip(NEXT) | instid1(SALU_CYCLE_1)
	s_mul_i32 s3, ttmp9, s3
	s_add_co_i32 s8, s8, s3
	s_cmp_eq_u32 s9, 0
	s_mov_b32 s3, exec_lo
	s_cselect_b32 s8, ttmp9, s8
	s_delay_alu instid0(SALU_CYCLE_1) | instskip(SKIP_2) | instid1(SALU_CYCLE_1)
	s_ashr_i32 s9, s8, 31
	s_wait_kmcnt 0x0
	s_lshl_b64 s[6:7], s[6:7], 3
	s_add_nc_u64 s[4:5], s[4:5], s[6:7]
	s_lshl_b64 s[6:7], s[8:9], 3
	s_delay_alu instid0(SALU_CYCLE_1) | instskip(SKIP_4) | instid1(SALU_CYCLE_1)
	s_add_nc_u64 s[4:5], s[4:5], s[6:7]
	s_load_b64 s[8:9], s[4:5], 0x0
	s_load_b64 s[6:7], s[0:1], 0x30
	s_wait_kmcnt 0x0
	s_lshl_b64 s[4:5], s[8:9], 3
	s_add_nc_u64 s[14:15], s[6:7], s[4:5]
	s_load_b128 s[4:7], s[14:15], 0x0
	s_wait_kmcnt 0x0
	v_add_nc_u64_e32 v[2:3], s[4:5], v[2:3]
	s_sub_nc_u64 s[14:15], s[6:7], s[10:11]
	s_delay_alu instid0(VALU_DEP_1) | instid1(SALU_CYCLE_1)
	v_cmpx_gt_i64_e64 s[14:15], v[2:3]
	s_cbranch_execz .LBB114_9
; %bb.6:
	s_clause 0x1
	s_load_b128 s[4:7], s[0:1], 0x38
	s_load_b64 s[16:17], s[0:1], 0x48
	v_mov_b32_e32 v1, 0
	s_wait_kmcnt 0x0
	v_lshl_add_u64 v[4:5], v[2:3], 3, s[4:5]
	s_mov_b32 s4, 0
.LBB114_7:                              ; =>This Inner Loop Header: Depth=1
	global_load_b64 v[6:7], v[4:5], off
	v_add_nc_u64_e32 v[8:9], s[6:7], v[2:3]
	v_add_nc_u64_e32 v[2:3], 0x100, v[2:3]
	s_wait_xcnt 0x0
	v_add_nc_u64_e32 v[4:5], 0x800, v[4:5]
	s_delay_alu instid0(VALU_DEP_2) | instskip(SKIP_3) | instid1(VALU_DEP_1)
	v_cmp_le_i64_e32 vcc_lo, s[14:15], v[2:3]
	s_or_b32 s4, vcc_lo, s4
	s_wait_loadcnt 0x0
	v_sub_nc_u64_e64 v[6:7], v[6:7], s[10:11]
	v_add_nc_u64_e32 v[6:7], s[16:17], v[6:7]
	global_load_i8 v10, v[8:9], off
	global_load_i8 v11, v[6:7], off
	s_wait_loadcnt 0x1
	s_wait_xcnt 0x0
	v_cvt_f32_i32_e32 v6, v10
	s_wait_loadcnt 0x0
	v_cvt_f32_i32_e32 v7, v11
	s_delay_alu instid0(VALU_DEP_2) | instskip(NEXT) | instid1(VALU_DEP_1)
	v_mul_f32_e32 v6, s12, v6
	v_fmac_f32_e32 v1, v6, v7
	s_and_not1_b32 exec_lo, exec_lo, s4
	s_cbranch_execnz .LBB114_7
; %bb.8:
	s_or_b32 exec_lo, exec_lo, s4
.LBB114_9:
	s_delay_alu instid0(SALU_CYCLE_1)
	s_or_b32 exec_lo, exec_lo, s3
	s_load_b64 s[0:1], s[0:1], 0x58
	v_lshlrev_b32_e32 v2, 2, v0
	s_mov_b32 s3, exec_lo
	ds_store_b32 v2, v1
	s_wait_dscnt 0x0
	s_barrier_signal -1
	s_barrier_wait -1
	v_cmpx_gt_u32_e32 0x80, v0
	s_cbranch_execz .LBB114_11
; %bb.10:
	ds_load_2addr_stride64_b32 v[4:5], v2 offset1:2
	s_wait_dscnt 0x0
	v_add_f32_e32 v1, v4, v5
	ds_store_b32 v2, v1
.LBB114_11:
	s_or_b32 exec_lo, exec_lo, s3
	s_delay_alu instid0(SALU_CYCLE_1)
	s_mov_b32 s3, exec_lo
	s_wait_dscnt 0x0
	s_barrier_signal -1
	s_barrier_wait -1
	v_cmpx_gt_u32_e32 64, v0
	s_cbranch_execz .LBB114_13
; %bb.12:
	ds_load_2addr_stride64_b32 v[4:5], v2 offset1:1
	s_wait_dscnt 0x0
	v_add_f32_e32 v1, v4, v5
	ds_store_b32 v2, v1
.LBB114_13:
	s_or_b32 exec_lo, exec_lo, s3
	s_delay_alu instid0(SALU_CYCLE_1)
	s_mov_b32 s3, exec_lo
	s_wait_dscnt 0x0
	s_barrier_signal -1
	s_barrier_wait -1
	v_cmpx_gt_u32_e32 32, v0
	s_cbranch_execz .LBB114_15
; %bb.14:
	ds_load_2addr_b32 v[4:5], v2 offset1:32
	s_wait_dscnt 0x0
	v_add_f32_e32 v1, v4, v5
	ds_store_b32 v2, v1
.LBB114_15:
	s_or_b32 exec_lo, exec_lo, s3
	s_delay_alu instid0(SALU_CYCLE_1)
	s_mov_b32 s3, exec_lo
	s_wait_dscnt 0x0
	s_barrier_signal -1
	s_barrier_wait -1
	v_cmpx_gt_u32_e32 16, v0
	s_cbranch_execz .LBB114_17
; %bb.16:
	ds_load_2addr_b32 v[4:5], v2 offset1:16
	s_wait_dscnt 0x0
	v_add_f32_e32 v1, v4, v5
	ds_store_b32 v2, v1
.LBB114_17:
	;; [unrolled: 14-line block ×5, first 2 shown]
	s_or_b32 exec_lo, exec_lo, s3
	v_cmp_eq_u32_e32 vcc_lo, 0, v0
	s_wait_dscnt 0x0
	s_barrier_signal -1
	s_barrier_wait -1
	s_and_saveexec_b32 s3, vcc_lo
	s_cbranch_execz .LBB114_25
; %bb.24:
	v_mov_b32_e32 v2, 0
	ds_load_b64 v[0:1], v2
	s_wait_dscnt 0x0
	v_add_f32_e32 v0, v0, v1
	ds_store_b32 v2, v0
.LBB114_25:
	s_or_b32 exec_lo, exec_lo, s3
	s_wait_dscnt 0x0
	s_barrier_signal -1
	s_barrier_wait -1
	s_and_saveexec_b32 s3, vcc_lo
	s_cbranch_execz .LBB114_29
; %bb.26:
	v_mov_b32_e32 v0, 0
	s_cmp_eq_f32 s2, 0
	ds_load_b32 v1, v0
	s_cbranch_scc1 .LBB114_28
; %bb.27:
	s_lshl_b64 s[4:5], s[8:9], 2
	s_wait_kmcnt 0x0
	s_add_nc_u64 s[4:5], s[0:1], s[4:5]
	s_load_b32 s3, s[4:5], 0x0
	s_wait_dscnt 0x0
	s_wait_kmcnt 0x0
	v_fmac_f32_e64 v1, s2, s3
.LBB114_28:
	s_lshl_b64 s[2:3], s[8:9], 2
	s_wait_kmcnt 0x0
	s_add_nc_u64 s[0:1], s[0:1], s[2:3]
	s_wait_dscnt 0x0
	global_store_b32 v0, v1, s[0:1]
.LBB114_29:
	s_endpgm
	.section	.rodata,"a",@progbits
	.p2align	6, 0x0
	.amdhsa_kernel _ZN9rocsparseL29csrmvn_lrb_medium_rows_kernelILj256EllaaffEEvbT0_PT1_S3_jNS_24const_host_device_scalarIT5_EEPKS1_PKS2_PKT2_PKT3_S6_PT4_21rocsparse_index_base_b
		.amdhsa_group_segment_fixed_size 1024
		.amdhsa_private_segment_fixed_size 0
		.amdhsa_kernarg_size 104
		.amdhsa_user_sgpr_count 2
		.amdhsa_user_sgpr_dispatch_ptr 0
		.amdhsa_user_sgpr_queue_ptr 0
		.amdhsa_user_sgpr_kernarg_segment_ptr 1
		.amdhsa_user_sgpr_dispatch_id 0
		.amdhsa_user_sgpr_kernarg_preload_length 0
		.amdhsa_user_sgpr_kernarg_preload_offset 0
		.amdhsa_user_sgpr_private_segment_size 0
		.amdhsa_wavefront_size32 1
		.amdhsa_uses_dynamic_stack 0
		.amdhsa_enable_private_segment 0
		.amdhsa_system_sgpr_workgroup_id_x 1
		.amdhsa_system_sgpr_workgroup_id_y 0
		.amdhsa_system_sgpr_workgroup_id_z 0
		.amdhsa_system_sgpr_workgroup_info 0
		.amdhsa_system_vgpr_workitem_id 0
		.amdhsa_next_free_vgpr 12
		.amdhsa_next_free_sgpr 18
		.amdhsa_named_barrier_count 0
		.amdhsa_reserve_vcc 1
		.amdhsa_float_round_mode_32 0
		.amdhsa_float_round_mode_16_64 0
		.amdhsa_float_denorm_mode_32 3
		.amdhsa_float_denorm_mode_16_64 3
		.amdhsa_fp16_overflow 0
		.amdhsa_memory_ordered 1
		.amdhsa_forward_progress 1
		.amdhsa_inst_pref_size 9
		.amdhsa_round_robin_scheduling 0
		.amdhsa_exception_fp_ieee_invalid_op 0
		.amdhsa_exception_fp_denorm_src 0
		.amdhsa_exception_fp_ieee_div_zero 0
		.amdhsa_exception_fp_ieee_overflow 0
		.amdhsa_exception_fp_ieee_underflow 0
		.amdhsa_exception_fp_ieee_inexact 0
		.amdhsa_exception_int_div_zero 0
	.end_amdhsa_kernel
	.section	.text._ZN9rocsparseL29csrmvn_lrb_medium_rows_kernelILj256EllaaffEEvbT0_PT1_S3_jNS_24const_host_device_scalarIT5_EEPKS1_PKS2_PKT2_PKT3_S6_PT4_21rocsparse_index_base_b,"axG",@progbits,_ZN9rocsparseL29csrmvn_lrb_medium_rows_kernelILj256EllaaffEEvbT0_PT1_S3_jNS_24const_host_device_scalarIT5_EEPKS1_PKS2_PKT2_PKT3_S6_PT4_21rocsparse_index_base_b,comdat
.Lfunc_end114:
	.size	_ZN9rocsparseL29csrmvn_lrb_medium_rows_kernelILj256EllaaffEEvbT0_PT1_S3_jNS_24const_host_device_scalarIT5_EEPKS1_PKS2_PKT2_PKT3_S6_PT4_21rocsparse_index_base_b, .Lfunc_end114-_ZN9rocsparseL29csrmvn_lrb_medium_rows_kernelILj256EllaaffEEvbT0_PT1_S3_jNS_24const_host_device_scalarIT5_EEPKS1_PKS2_PKT2_PKT3_S6_PT4_21rocsparse_index_base_b
                                        ; -- End function
	.set _ZN9rocsparseL29csrmvn_lrb_medium_rows_kernelILj256EllaaffEEvbT0_PT1_S3_jNS_24const_host_device_scalarIT5_EEPKS1_PKS2_PKT2_PKT3_S6_PT4_21rocsparse_index_base_b.num_vgpr, 12
	.set _ZN9rocsparseL29csrmvn_lrb_medium_rows_kernelILj256EllaaffEEvbT0_PT1_S3_jNS_24const_host_device_scalarIT5_EEPKS1_PKS2_PKT2_PKT3_S6_PT4_21rocsparse_index_base_b.num_agpr, 0
	.set _ZN9rocsparseL29csrmvn_lrb_medium_rows_kernelILj256EllaaffEEvbT0_PT1_S3_jNS_24const_host_device_scalarIT5_EEPKS1_PKS2_PKT2_PKT3_S6_PT4_21rocsparse_index_base_b.numbered_sgpr, 18
	.set _ZN9rocsparseL29csrmvn_lrb_medium_rows_kernelILj256EllaaffEEvbT0_PT1_S3_jNS_24const_host_device_scalarIT5_EEPKS1_PKS2_PKT2_PKT3_S6_PT4_21rocsparse_index_base_b.num_named_barrier, 0
	.set _ZN9rocsparseL29csrmvn_lrb_medium_rows_kernelILj256EllaaffEEvbT0_PT1_S3_jNS_24const_host_device_scalarIT5_EEPKS1_PKS2_PKT2_PKT3_S6_PT4_21rocsparse_index_base_b.private_seg_size, 0
	.set _ZN9rocsparseL29csrmvn_lrb_medium_rows_kernelILj256EllaaffEEvbT0_PT1_S3_jNS_24const_host_device_scalarIT5_EEPKS1_PKS2_PKT2_PKT3_S6_PT4_21rocsparse_index_base_b.uses_vcc, 1
	.set _ZN9rocsparseL29csrmvn_lrb_medium_rows_kernelILj256EllaaffEEvbT0_PT1_S3_jNS_24const_host_device_scalarIT5_EEPKS1_PKS2_PKT2_PKT3_S6_PT4_21rocsparse_index_base_b.uses_flat_scratch, 0
	.set _ZN9rocsparseL29csrmvn_lrb_medium_rows_kernelILj256EllaaffEEvbT0_PT1_S3_jNS_24const_host_device_scalarIT5_EEPKS1_PKS2_PKT2_PKT3_S6_PT4_21rocsparse_index_base_b.has_dyn_sized_stack, 0
	.set _ZN9rocsparseL29csrmvn_lrb_medium_rows_kernelILj256EllaaffEEvbT0_PT1_S3_jNS_24const_host_device_scalarIT5_EEPKS1_PKS2_PKT2_PKT3_S6_PT4_21rocsparse_index_base_b.has_recursion, 0
	.set _ZN9rocsparseL29csrmvn_lrb_medium_rows_kernelILj256EllaaffEEvbT0_PT1_S3_jNS_24const_host_device_scalarIT5_EEPKS1_PKS2_PKT2_PKT3_S6_PT4_21rocsparse_index_base_b.has_indirect_call, 0
	.section	.AMDGPU.csdata,"",@progbits
; Kernel info:
; codeLenInByte = 1068
; TotalNumSgprs: 20
; NumVgprs: 12
; ScratchSize: 0
; MemoryBound: 0
; FloatMode: 240
; IeeeMode: 1
; LDSByteSize: 1024 bytes/workgroup (compile time only)
; SGPRBlocks: 0
; VGPRBlocks: 0
; NumSGPRsForWavesPerEU: 20
; NumVGPRsForWavesPerEU: 12
; NamedBarCnt: 0
; Occupancy: 16
; WaveLimiterHint : 1
; COMPUTE_PGM_RSRC2:SCRATCH_EN: 0
; COMPUTE_PGM_RSRC2:USER_SGPR: 2
; COMPUTE_PGM_RSRC2:TRAP_HANDLER: 0
; COMPUTE_PGM_RSRC2:TGID_X_EN: 1
; COMPUTE_PGM_RSRC2:TGID_Y_EN: 0
; COMPUTE_PGM_RSRC2:TGID_Z_EN: 0
; COMPUTE_PGM_RSRC2:TIDIG_COMP_CNT: 0
	.section	.text._ZN9rocsparseL27csrmvn_lrb_long_rows_kernelIllaaffEEvbT_PjPT0_S4_jNS_24const_host_device_scalarIT4_EEPKS1_PKS3_PKT1_PKT2_S7_PT3_21rocsparse_index_base_b,"axG",@progbits,_ZN9rocsparseL27csrmvn_lrb_long_rows_kernelIllaaffEEvbT_PjPT0_S4_jNS_24const_host_device_scalarIT4_EEPKS1_PKS3_PKT1_PKT2_S7_PT3_21rocsparse_index_base_b,comdat
	.globl	_ZN9rocsparseL27csrmvn_lrb_long_rows_kernelIllaaffEEvbT_PjPT0_S4_jNS_24const_host_device_scalarIT4_EEPKS1_PKS3_PKT1_PKT2_S7_PT3_21rocsparse_index_base_b ; -- Begin function _ZN9rocsparseL27csrmvn_lrb_long_rows_kernelIllaaffEEvbT_PjPT0_S4_jNS_24const_host_device_scalarIT4_EEPKS1_PKS3_PKT1_PKT2_S7_PT3_21rocsparse_index_base_b
	.p2align	8
	.type	_ZN9rocsparseL27csrmvn_lrb_long_rows_kernelIllaaffEEvbT_PjPT0_S4_jNS_24const_host_device_scalarIT4_EEPKS1_PKS3_PKT1_PKT2_S7_PT3_21rocsparse_index_base_b,@function
_ZN9rocsparseL27csrmvn_lrb_long_rows_kernelIllaaffEEvbT_PjPT0_S4_jNS_24const_host_device_scalarIT4_EEPKS1_PKS3_PKT1_PKT2_S7_PT3_21rocsparse_index_base_b: ; @_ZN9rocsparseL27csrmvn_lrb_long_rows_kernelIllaaffEEvbT_PjPT0_S4_jNS_24const_host_device_scalarIT4_EEPKS1_PKS3_PKT1_PKT2_S7_PT3_21rocsparse_index_base_b
; %bb.0:
	s_clause 0x2
	s_load_b64 s[18:19], s[0:1], 0x68
	s_load_b64 s[20:21], s[0:1], 0x30
	;; [unrolled: 1-line block ×3, first 2 shown]
	s_wait_kmcnt 0x0
	s_bitcmp1_b32 s19, 0
	s_cselect_b32 s2, -1, 0
	s_delay_alu instid0(SALU_CYCLE_1)
	s_and_b32 vcc_lo, exec_lo, s2
	s_xor_b32 s2, s2, -1
	s_cbranch_vccnz .LBB115_2
; %bb.1:
	s_load_b32 s20, s[20:21], 0x0
.LBB115_2:
	s_and_not1_b32 vcc_lo, exec_lo, s2
	s_cbranch_vccnz .LBB115_4
; %bb.3:
	s_load_b32 s22, s[22:23], 0x0
.LBB115_4:
	s_wait_kmcnt 0x0
	s_cmp_neq_f32 s20, 0
	s_cselect_b32 s2, -1, 0
	s_cmp_neq_f32 s22, 1.0
	s_cselect_b32 s3, -1, 0
	s_delay_alu instid0(SALU_CYCLE_1)
	s_or_b32 s2, s2, s3
	s_mov_b32 s3, 0
	s_and_not1_b32 vcc_lo, exec_lo, s2
	s_cbranch_vccnz .LBB115_38
; %bb.5:
	s_clause 0x1
	s_load_b96 s[8:10], s[0:1], 0x20
	s_load_b128 s[4:7], s[0:1], 0x10
	s_bfe_u32 s13, ttmp6, 0x4000c
	s_and_b32 s12, ttmp6, 15
	s_add_co_i32 s13, s13, 1
	s_getreg_b32 s14, hwreg(HW_REG_IB_STS2, 6, 4)
	s_mul_i32 s13, ttmp9, s13
	v_mov_b32_e32 v8, 0
	s_add_co_i32 s12, s12, s13
	s_wait_kmcnt 0x0
	s_lshl_b32 s2, -1, s10
	s_load_b64 s[8:9], s[8:9], s10 offset:0x0 scale_offset
	s_not_b32 s2, s2
	s_delay_alu instid0(SALU_CYCLE_1) | instskip(NEXT) | instid1(SALU_CYCLE_1)
	s_mul_hi_u32 s2, s2, 0x2aaaaaab
	s_lshr_b32 s2, s2, 7
	s_delay_alu instid0(SALU_CYCLE_1) | instskip(SKIP_2) | instid1(SALU_CYCLE_3)
	s_add_co_i32 s19, s2, 1
	s_not_b32 s2, s2
	s_cvt_f32_u32 s11, s19
	v_rcp_iflag_f32_e32 v1, s11
	v_nop
	s_delay_alu instid0(TRANS32_DEP_1) | instskip(SKIP_1) | instid1(SALU_CYCLE_3)
	v_readfirstlane_b32 s11, v1
	s_mul_f32 s11, s11, 0x4f7ffffe
	s_cvt_u32_f32 s11, s11
	s_delay_alu instid0(SALU_CYCLE_3) | instskip(NEXT) | instid1(SALU_CYCLE_1)
	s_mul_i32 s2, s2, s11
	s_mul_hi_u32 s2, s11, s2
	s_delay_alu instid0(SALU_CYCLE_1) | instskip(SKIP_2) | instid1(SALU_CYCLE_1)
	s_add_co_i32 s11, s11, s2
	s_cmp_eq_u32 s14, 0
	s_cselect_b32 s16, ttmp9, s12
	s_mul_hi_u32 s2, s16, s11
	s_wait_xcnt 0x0
	s_mul_i32 s10, s2, s19
	s_add_co_i32 s11, s2, 1
	s_sub_co_i32 s10, s16, s10
	s_delay_alu instid0(SALU_CYCLE_1)
	s_sub_co_i32 s12, s10, s19
	s_cmp_ge_u32 s10, s19
	s_cselect_b32 s2, s11, s2
	s_cselect_b32 s10, s12, s10
	s_add_co_i32 s11, s2, 1
	s_cmp_ge_u32 s10, s19
	s_cselect_b32 s2, s11, s2
	s_wait_kmcnt 0x0
	s_lshl_b64 s[8:9], s[8:9], 3
	s_ashr_i32 s17, s16, 31
	s_add_nc_u64 s[8:9], s[6:7], s[8:9]
	s_load_b64 s[6:7], s[8:9], s2 offset:0x0 scale_offset
	s_clause 0x1
	s_load_b64 s[10:11], s[0:1], 0x38
	s_load_b64 s[12:13], s[0:1], 0x60
	s_lshl_b64 s[14:15], s[16:17], 2
	s_wait_xcnt 0x0
	s_mul_i32 s2, s2, s19
	s_add_nc_u64 s[14:15], s[4:5], s[14:15]
	s_sub_co_i32 s2, s16, s2
	s_delay_alu instid0(SALU_CYCLE_1) | instskip(SKIP_1) | instid1(VALU_DEP_1)
	v_or_b32_e32 v1, s2, v0
	s_sub_nc_u64 s[16:17], s[16:17], s[2:3]
	v_cmp_eq_u32_e32 vcc_lo, 0, v1
	v_mov_b32_e32 v1, 0
	s_wait_kmcnt 0x0
	s_lshl_b64 s[8:9], s[6:7], 3
	s_delay_alu instid0(SALU_CYCLE_1)
	s_add_nc_u64 s[24:25], s[10:11], s[8:9]
	s_load_b128 s[8:11], s[24:25], 0x0
	s_load_b32 s21, s[14:15], 0x0
	s_and_saveexec_b32 s19, vcc_lo
	s_cbranch_execz .LBB115_9
; %bb.6:
	s_wait_xcnt 0x0
	s_lshl_b64 s[24:25], s[6:7], 2
	s_add_f32 s22, s22, -1.0
	s_add_nc_u64 s[24:25], s[12:13], s[24:25]
	s_mov_b32 s23, exec_lo
	s_load_b32 s24, s[24:25], 0x0
	v_mbcnt_lo_u32_b32 v2, s23, 0
	global_wb scope:SCOPE_DEV
	s_wait_storecnt 0x0
	global_inv scope:SCOPE_DEV
	s_wait_kmcnt 0x0
	s_mul_f32 s22, s22, s24
	s_mov_b32 s24, exec_lo
	v_cmpx_eq_u32_e32 0, v2
	s_cbranch_execz .LBB115_8
; %bb.7:
	s_bcnt1_i32_b32 s23, s23
	s_lshl_b64 s[26:27], s[16:17], 2
	s_and_b32 s23, s23, 1
	s_delay_alu instid0(SALU_CYCLE_1)
	v_dual_mov_b32 v2, 0 :: v_dual_mov_b32 v3, s23
	s_add_nc_u64 s[26:27], s[4:5], s[26:27]
	global_atomic_xor_b32 v2, v3, s[26:27] scope:SCOPE_DEV
.LBB115_8:
	s_wait_xcnt 0x0
	s_or_b32 exec_lo, exec_lo, s24
	v_mov_b32_e32 v8, s22
.LBB115_9:
	s_or_b32 exec_lo, exec_lo, s19
	s_mov_b32 s19, 0
	s_mul_u64 s[22:23], s[2:3], 0x300
	s_wait_kmcnt 0x0
	s_sub_nc_u64 s[8:9], s[8:9], s[18:19]
	s_sub_nc_u64 s[10:11], s[10:11], s[18:19]
	s_add_nc_u64 s[8:9], s[8:9], s[22:23]
	s_mov_b32 s3, exec_lo
	s_add_nc_u64 s[22:23], s[8:9], 0x300
	v_add_nc_u64_e32 v[4:5], s[8:9], v[0:1]
	v_min_i64 v[2:3], s[22:23], s[10:11]
	s_delay_alu instid0(VALU_DEP_1)
	v_cmpx_lt_i64_e64 v[4:5], v[2:3]
	s_cbranch_execz .LBB115_13
; %bb.10:
	s_clause 0x1
	s_load_b128 s[8:11], s[0:1], 0x40
	s_load_b64 s[22:23], s[0:1], 0x50
	s_wait_xcnt 0x0
	s_mov_b32 s0, s19
	s_wait_kmcnt 0x0
	v_lshl_add_u64 v[6:7], v[4:5], 3, s[8:9]
.LBB115_11:                             ; =>This Inner Loop Header: Depth=1
	global_load_b64 v[10:11], v[6:7], off
	v_add_nc_u64_e32 v[12:13], s[10:11], v[4:5]
	v_add_nc_u64_e32 v[4:5], 0x100, v[4:5]
	s_wait_xcnt 0x0
	v_add_nc_u64_e32 v[6:7], 0x800, v[6:7]
	s_delay_alu instid0(VALU_DEP_2) | instskip(SKIP_3) | instid1(VALU_DEP_1)
	v_cmp_ge_i64_e32 vcc_lo, v[4:5], v[2:3]
	s_or_b32 s0, vcc_lo, s0
	s_wait_loadcnt 0x0
	v_sub_nc_u64_e64 v[10:11], v[10:11], s[18:19]
	v_add_nc_u64_e32 v[10:11], s[22:23], v[10:11]
	global_load_i8 v1, v[12:13], off
	global_load_i8 v9, v[10:11], off
	s_wait_loadcnt 0x1
	v_cvt_f32_i32_e32 v1, v1
	s_wait_loadcnt 0x0
	v_cvt_f32_i32_e32 v9, v9
	s_delay_alu instid0(VALU_DEP_2) | instskip(NEXT) | instid1(VALU_DEP_1)
	v_mul_f32_e32 v1, s20, v1
	v_fmac_f32_e32 v8, v1, v9
	s_wait_xcnt 0x0
	s_and_not1_b32 exec_lo, exec_lo, s0
	s_cbranch_execnz .LBB115_11
; %bb.12:
	s_or_b32 exec_lo, exec_lo, s0
.LBB115_13:
	s_delay_alu instid0(SALU_CYCLE_1)
	s_or_b32 exec_lo, exec_lo, s3
	v_lshlrev_b32_e32 v1, 2, v0
	s_mov_b32 s0, exec_lo
	ds_store_b32 v1, v8
	s_wait_storecnt 0x0
	s_wait_loadcnt_dscnt 0x0
	s_barrier_signal -1
	s_barrier_wait -1
	v_cmpx_gt_u32_e32 0x80, v0
	s_cbranch_execz .LBB115_15
; %bb.14:
	ds_load_2addr_stride64_b32 v[2:3], v1 offset1:2
	s_wait_dscnt 0x0
	v_add_f32_e32 v2, v2, v3
	ds_store_b32 v1, v2
.LBB115_15:
	s_or_b32 exec_lo, exec_lo, s0
	s_delay_alu instid0(SALU_CYCLE_1)
	s_mov_b32 s0, exec_lo
	s_wait_dscnt 0x0
	s_barrier_signal -1
	s_barrier_wait -1
	v_cmpx_gt_u32_e32 64, v0
	s_cbranch_execz .LBB115_17
; %bb.16:
	ds_load_2addr_stride64_b32 v[2:3], v1 offset1:1
	s_wait_dscnt 0x0
	v_add_f32_e32 v2, v2, v3
	ds_store_b32 v1, v2
.LBB115_17:
	s_or_b32 exec_lo, exec_lo, s0
	s_delay_alu instid0(SALU_CYCLE_1)
	s_mov_b32 s0, exec_lo
	s_wait_dscnt 0x0
	s_barrier_signal -1
	s_barrier_wait -1
	v_cmpx_gt_u32_e32 32, v0
	s_cbranch_execz .LBB115_19
; %bb.18:
	ds_load_2addr_b32 v[2:3], v1 offset1:32
	s_wait_dscnt 0x0
	v_add_f32_e32 v2, v2, v3
	ds_store_b32 v1, v2
.LBB115_19:
	s_or_b32 exec_lo, exec_lo, s0
	s_delay_alu instid0(SALU_CYCLE_1)
	s_mov_b32 s0, exec_lo
	s_wait_dscnt 0x0
	s_barrier_signal -1
	s_barrier_wait -1
	v_cmpx_gt_u32_e32 16, v0
	s_cbranch_execz .LBB115_21
; %bb.20:
	ds_load_2addr_b32 v[2:3], v1 offset1:16
	s_wait_dscnt 0x0
	v_add_f32_e32 v2, v2, v3
	ds_store_b32 v1, v2
.LBB115_21:
	;; [unrolled: 14-line block ×5, first 2 shown]
	s_or_b32 exec_lo, exec_lo, s0
	v_cmp_eq_u32_e32 vcc_lo, 0, v0
	s_wait_dscnt 0x0
	s_barrier_signal -1
	s_barrier_wait -1
	s_and_saveexec_b32 s0, vcc_lo
	s_cbranch_execz .LBB115_29
; %bb.28:
	v_mov_b32_e32 v2, 0
	ds_load_b64 v[0:1], v2
	s_wait_dscnt 0x0
	v_add_f32_e32 v0, v0, v1
	ds_store_b32 v2, v0
.LBB115_29:
	s_or_b32 exec_lo, exec_lo, s0
	s_wait_dscnt 0x0
	s_barrier_signal -1
	s_barrier_wait -1
	s_and_saveexec_b32 s0, vcc_lo
	s_cbranch_execz .LBB115_38
; %bb.30:
	s_cmp_eq_u32 s2, 0
	s_cbranch_scc1 .LBB115_36
; %bb.31:
	v_mov_b32_e32 v0, 0
	s_lshl_b64 s[0:1], s[16:17], 2
	s_delay_alu instid0(SALU_CYCLE_1)
	s_add_nc_u64 s[0:1], s[4:5], s[0:1]
	s_branch .LBB115_33
.LBB115_32:                             ;   in Loop: Header=BB115_33 Depth=1
	s_wait_xcnt 0x0
	s_or_b32 exec_lo, exec_lo, s2
	s_wait_loadcnt 0x0
	v_readfirstlane_b32 s2, v1
	s_cmp_eq_u32 s2, s21
	s_cbranch_scc0 .LBB115_35
.LBB115_33:                             ; =>This Inner Loop Header: Depth=1
	v_mbcnt_lo_u32_b32 v1, exec_lo, 0
	s_delay_alu instid0(VALU_DEP_1)
	v_cmp_eq_u32_e32 vcc_lo, 0, v1
                                        ; implicit-def: $vgpr1
	s_and_saveexec_b32 s2, vcc_lo
	s_cbranch_execz .LBB115_32
; %bb.34:                               ;   in Loop: Header=BB115_33 Depth=1
	global_load_b32 v1, v0, s[0:1] scope:SCOPE_DEV
	s_branch .LBB115_32
.LBB115_35:
	v_mov_b32_e32 v0, 0
	global_load_u16 v1, v0, s[14:15]
	s_wait_loadcnt 0x0
	v_xor_b32_e32 v1, 1, v1
	global_store_b16 v0, v1, s[14:15]
.LBB115_36:
	s_mov_b32 s0, exec_lo
	s_wait_xcnt 0x0
	v_mbcnt_lo_u32_b32 v0, s0, 0
	s_delay_alu instid0(VALU_DEP_1) | instskip(SKIP_1) | instid1(SALU_CYCLE_1)
	v_cmp_eq_u32_e32 vcc_lo, 0, v0
	s_and_b32 s1, exec_lo, vcc_lo
	s_mov_b32 exec_lo, s1
	s_cbranch_execz .LBB115_38
; %bb.37:
	s_bcnt1_i32_b32 s0, s0
	s_delay_alu instid0(SALU_CYCLE_1) | instskip(SKIP_2) | instid1(SALU_CYCLE_1)
	v_cvt_f32_ubyte0_e32 v2, s0
	v_mov_b32_e32 v0, 0
	s_lshl_b64 s[0:1], s[6:7], 2
	s_add_nc_u64 s[0:1], s[12:13], s[0:1]
	ds_load_b32 v1, v0
	s_wait_dscnt 0x0
	v_mul_f32_e32 v1, v1, v2
	global_atomic_add_f32 v0, v1, s[0:1] scope:SCOPE_DEV
.LBB115_38:
	s_endpgm
	.section	.rodata,"a",@progbits
	.p2align	6, 0x0
	.amdhsa_kernel _ZN9rocsparseL27csrmvn_lrb_long_rows_kernelIllaaffEEvbT_PjPT0_S4_jNS_24const_host_device_scalarIT4_EEPKS1_PKS3_PKT1_PKT2_S7_PT3_21rocsparse_index_base_b
		.amdhsa_group_segment_fixed_size 1024
		.amdhsa_private_segment_fixed_size 0
		.amdhsa_kernarg_size 112
		.amdhsa_user_sgpr_count 2
		.amdhsa_user_sgpr_dispatch_ptr 0
		.amdhsa_user_sgpr_queue_ptr 0
		.amdhsa_user_sgpr_kernarg_segment_ptr 1
		.amdhsa_user_sgpr_dispatch_id 0
		.amdhsa_user_sgpr_kernarg_preload_length 0
		.amdhsa_user_sgpr_kernarg_preload_offset 0
		.amdhsa_user_sgpr_private_segment_size 0
		.amdhsa_wavefront_size32 1
		.amdhsa_uses_dynamic_stack 0
		.amdhsa_enable_private_segment 0
		.amdhsa_system_sgpr_workgroup_id_x 1
		.amdhsa_system_sgpr_workgroup_id_y 0
		.amdhsa_system_sgpr_workgroup_id_z 0
		.amdhsa_system_sgpr_workgroup_info 0
		.amdhsa_system_vgpr_workitem_id 0
		.amdhsa_next_free_vgpr 14
		.amdhsa_next_free_sgpr 28
		.amdhsa_named_barrier_count 0
		.amdhsa_reserve_vcc 1
		.amdhsa_float_round_mode_32 0
		.amdhsa_float_round_mode_16_64 0
		.amdhsa_float_denorm_mode_32 3
		.amdhsa_float_denorm_mode_16_64 3
		.amdhsa_fp16_overflow 0
		.amdhsa_memory_ordered 1
		.amdhsa_forward_progress 1
		.amdhsa_inst_pref_size 13
		.amdhsa_round_robin_scheduling 0
		.amdhsa_exception_fp_ieee_invalid_op 0
		.amdhsa_exception_fp_denorm_src 0
		.amdhsa_exception_fp_ieee_div_zero 0
		.amdhsa_exception_fp_ieee_overflow 0
		.amdhsa_exception_fp_ieee_underflow 0
		.amdhsa_exception_fp_ieee_inexact 0
		.amdhsa_exception_int_div_zero 0
	.end_amdhsa_kernel
	.section	.text._ZN9rocsparseL27csrmvn_lrb_long_rows_kernelIllaaffEEvbT_PjPT0_S4_jNS_24const_host_device_scalarIT4_EEPKS1_PKS3_PKT1_PKT2_S7_PT3_21rocsparse_index_base_b,"axG",@progbits,_ZN9rocsparseL27csrmvn_lrb_long_rows_kernelIllaaffEEvbT_PjPT0_S4_jNS_24const_host_device_scalarIT4_EEPKS1_PKS3_PKT1_PKT2_S7_PT3_21rocsparse_index_base_b,comdat
.Lfunc_end115:
	.size	_ZN9rocsparseL27csrmvn_lrb_long_rows_kernelIllaaffEEvbT_PjPT0_S4_jNS_24const_host_device_scalarIT4_EEPKS1_PKS3_PKT1_PKT2_S7_PT3_21rocsparse_index_base_b, .Lfunc_end115-_ZN9rocsparseL27csrmvn_lrb_long_rows_kernelIllaaffEEvbT_PjPT0_S4_jNS_24const_host_device_scalarIT4_EEPKS1_PKS3_PKT1_PKT2_S7_PT3_21rocsparse_index_base_b
                                        ; -- End function
	.set _ZN9rocsparseL27csrmvn_lrb_long_rows_kernelIllaaffEEvbT_PjPT0_S4_jNS_24const_host_device_scalarIT4_EEPKS1_PKS3_PKT1_PKT2_S7_PT3_21rocsparse_index_base_b.num_vgpr, 14
	.set _ZN9rocsparseL27csrmvn_lrb_long_rows_kernelIllaaffEEvbT_PjPT0_S4_jNS_24const_host_device_scalarIT4_EEPKS1_PKS3_PKT1_PKT2_S7_PT3_21rocsparse_index_base_b.num_agpr, 0
	.set _ZN9rocsparseL27csrmvn_lrb_long_rows_kernelIllaaffEEvbT_PjPT0_S4_jNS_24const_host_device_scalarIT4_EEPKS1_PKS3_PKT1_PKT2_S7_PT3_21rocsparse_index_base_b.numbered_sgpr, 28
	.set _ZN9rocsparseL27csrmvn_lrb_long_rows_kernelIllaaffEEvbT_PjPT0_S4_jNS_24const_host_device_scalarIT4_EEPKS1_PKS3_PKT1_PKT2_S7_PT3_21rocsparse_index_base_b.num_named_barrier, 0
	.set _ZN9rocsparseL27csrmvn_lrb_long_rows_kernelIllaaffEEvbT_PjPT0_S4_jNS_24const_host_device_scalarIT4_EEPKS1_PKS3_PKT1_PKT2_S7_PT3_21rocsparse_index_base_b.private_seg_size, 0
	.set _ZN9rocsparseL27csrmvn_lrb_long_rows_kernelIllaaffEEvbT_PjPT0_S4_jNS_24const_host_device_scalarIT4_EEPKS1_PKS3_PKT1_PKT2_S7_PT3_21rocsparse_index_base_b.uses_vcc, 1
	.set _ZN9rocsparseL27csrmvn_lrb_long_rows_kernelIllaaffEEvbT_PjPT0_S4_jNS_24const_host_device_scalarIT4_EEPKS1_PKS3_PKT1_PKT2_S7_PT3_21rocsparse_index_base_b.uses_flat_scratch, 0
	.set _ZN9rocsparseL27csrmvn_lrb_long_rows_kernelIllaaffEEvbT_PjPT0_S4_jNS_24const_host_device_scalarIT4_EEPKS1_PKS3_PKT1_PKT2_S7_PT3_21rocsparse_index_base_b.has_dyn_sized_stack, 0
	.set _ZN9rocsparseL27csrmvn_lrb_long_rows_kernelIllaaffEEvbT_PjPT0_S4_jNS_24const_host_device_scalarIT4_EEPKS1_PKS3_PKT1_PKT2_S7_PT3_21rocsparse_index_base_b.has_recursion, 0
	.set _ZN9rocsparseL27csrmvn_lrb_long_rows_kernelIllaaffEEvbT_PjPT0_S4_jNS_24const_host_device_scalarIT4_EEPKS1_PKS3_PKT1_PKT2_S7_PT3_21rocsparse_index_base_b.has_indirect_call, 0
	.section	.AMDGPU.csdata,"",@progbits
; Kernel info:
; codeLenInByte = 1548
; TotalNumSgprs: 30
; NumVgprs: 14
; ScratchSize: 0
; MemoryBound: 0
; FloatMode: 240
; IeeeMode: 1
; LDSByteSize: 1024 bytes/workgroup (compile time only)
; SGPRBlocks: 0
; VGPRBlocks: 0
; NumSGPRsForWavesPerEU: 30
; NumVGPRsForWavesPerEU: 14
; NamedBarCnt: 0
; Occupancy: 16
; WaveLimiterHint : 1
; COMPUTE_PGM_RSRC2:SCRATCH_EN: 0
; COMPUTE_PGM_RSRC2:USER_SGPR: 2
; COMPUTE_PGM_RSRC2:TRAP_HANDLER: 0
; COMPUTE_PGM_RSRC2:TGID_X_EN: 1
; COMPUTE_PGM_RSRC2:TGID_Y_EN: 0
; COMPUTE_PGM_RSRC2:TGID_Z_EN: 0
; COMPUTE_PGM_RSRC2:TIDIG_COMP_CNT: 0
	.section	.text._ZN9rocsparseL28csrmvn_lrb_short_rows_kernelIiiDF16_DF16_ffEEvbT_PT0_S3_jNS_24const_host_device_scalarIT4_EEPKS1_PKS2_PKT1_PKT2_S6_PT3_21rocsparse_index_base_b,"axG",@progbits,_ZN9rocsparseL28csrmvn_lrb_short_rows_kernelIiiDF16_DF16_ffEEvbT_PT0_S3_jNS_24const_host_device_scalarIT4_EEPKS1_PKS2_PKT1_PKT2_S6_PT3_21rocsparse_index_base_b,comdat
	.globl	_ZN9rocsparseL28csrmvn_lrb_short_rows_kernelIiiDF16_DF16_ffEEvbT_PT0_S3_jNS_24const_host_device_scalarIT4_EEPKS1_PKS2_PKT1_PKT2_S6_PT3_21rocsparse_index_base_b ; -- Begin function _ZN9rocsparseL28csrmvn_lrb_short_rows_kernelIiiDF16_DF16_ffEEvbT_PT0_S3_jNS_24const_host_device_scalarIT4_EEPKS1_PKS2_PKT1_PKT2_S6_PT3_21rocsparse_index_base_b
	.p2align	8
	.type	_ZN9rocsparseL28csrmvn_lrb_short_rows_kernelIiiDF16_DF16_ffEEvbT_PT0_S3_jNS_24const_host_device_scalarIT4_EEPKS1_PKS2_PKT1_PKT2_S6_PT3_21rocsparse_index_base_b,@function
_ZN9rocsparseL28csrmvn_lrb_short_rows_kernelIiiDF16_DF16_ffEEvbT_PT0_S3_jNS_24const_host_device_scalarIT4_EEPKS1_PKS2_PKT1_PKT2_S6_PT3_21rocsparse_index_base_b: ; @_ZN9rocsparseL28csrmvn_lrb_short_rows_kernelIiiDF16_DF16_ffEEvbT_PT0_S3_jNS_24const_host_device_scalarIT4_EEPKS1_PKS2_PKT1_PKT2_S6_PT3_21rocsparse_index_base_b
; %bb.0:
	s_clause 0x2
	s_load_b64 s[16:17], s[0:1], 0x58
	s_load_b64 s[18:19], s[0:1], 0x20
	;; [unrolled: 1-line block ×3, first 2 shown]
	s_wait_kmcnt 0x0
	s_bitcmp1_b32 s17, 0
	s_cselect_b32 s4, -1, 0
	s_delay_alu instid0(SALU_CYCLE_1)
	s_and_b32 vcc_lo, exec_lo, s4
	s_xor_b32 s4, s4, -1
	s_cbranch_vccnz .LBB116_2
; %bb.1:
	s_load_b32 s18, s[18:19], 0x0
.LBB116_2:
	s_and_not1_b32 vcc_lo, exec_lo, s4
	s_cbranch_vccnz .LBB116_4
; %bb.3:
	s_load_b32 s2, s[2:3], 0x0
.LBB116_4:
	s_wait_kmcnt 0x0
	s_cmp_neq_f32 s18, 0
	s_cselect_b32 s3, -1, 0
	s_cmp_neq_f32 s2, 1.0
	s_cselect_b32 s4, -1, 0
	s_delay_alu instid0(SALU_CYCLE_1) | instskip(NEXT) | instid1(SALU_CYCLE_1)
	s_or_b32 s3, s3, s4
	s_and_not1_b32 vcc_lo, exec_lo, s3
	s_cbranch_vccnz .LBB116_18
; %bb.5:
	s_clause 0x1
	s_load_b32 s3, s[0:1], 0x18
	s_load_b128 s[12:15], s[0:1], 0x8
	s_and_b32 s6, ttmp6, 15
	s_getreg_b32 s7, hwreg(HW_REG_IB_STS2, 6, 4)
	s_wait_kmcnt 0x0
	s_add_co_i32 s4, s3, 1
	s_clause 0x1
	s_load_b32 s17, s[14:15], s3 offset:0x0 scale_offset
	s_load_b32 s5, s[14:15], s4 offset:0x0 scale_offset
	s_wait_xcnt 0x0
	s_bfe_u32 s4, ttmp6, 0x4000c
	s_delay_alu instid0(SALU_CYCLE_1) | instskip(NEXT) | instid1(SALU_CYCLE_1)
	s_add_co_i32 s4, s4, 1
	s_mul_i32 s4, ttmp9, s4
	s_delay_alu instid0(SALU_CYCLE_1) | instskip(SKIP_4) | instid1(SALU_CYCLE_1)
	s_add_co_i32 s6, s6, s4
	s_wait_kmcnt 0x0
	s_sub_co_i32 s5, s5, s17
	s_cmp_eq_u32 s7, 0
	s_cselect_b32 s4, ttmp9, s6
	s_lshl_b32 s14, s4, 8
	s_delay_alu instid0(SALU_CYCLE_1) | instskip(NEXT) | instid1(SALU_CYCLE_1)
	s_add_co_i32 s4, s14, 0x100
	s_min_u32 s15, s5, s4
	s_cmp_gt_u32 s3, 23
	s_cbranch_scc1 .LBB116_12
; %bb.6:
	s_load_b256 s[4:11], s[0:1], 0x28
	v_bfe_u32 v1, v0, 0, s3
	v_lshl_add_u32 v5, v0, 2, 0
	s_lshl_b32 s19, 0x100, s3
	s_mov_b32 s20, 0
	s_delay_alu instid0(VALU_DEP_2)
	v_subrev_nc_u32_e32 v4, s16, v1
	s_branch .LBB116_9
.LBB116_7:                              ;   in Loop: Header=BB116_9 Depth=1
	s_or_b32 exec_lo, exec_lo, s22
	ds_store_b32 v5, v3
.LBB116_8:                              ;   in Loop: Header=BB116_9 Depth=1
	s_or_b32 exec_lo, exec_lo, s21
	v_add_nc_u32_e32 v5, 0x400, v5
	s_addk_co_i32 s20, 0x100
	s_delay_alu instid0(SALU_CYCLE_1)
	s_cmp_ge_u32 s20, s19
	s_cbranch_scc1 .LBB116_12
.LBB116_9:                              ; =>This Inner Loop Header: Depth=1
	v_add_nc_u32_e32 v2, s20, v0
	s_mov_b32 s21, exec_lo
	s_delay_alu instid0(VALU_DEP_1) | instskip(NEXT) | instid1(VALU_DEP_1)
	v_lshrrev_b32_e32 v2, s3, v2
	v_add_nc_u32_e32 v2, s14, v2
	s_delay_alu instid0(VALU_DEP_1)
	v_cmpx_gt_u32_e64 s15, v2
	s_cbranch_execz .LBB116_8
; %bb.10:                               ;   in Loop: Header=BB116_9 Depth=1
	v_add_nc_u32_e32 v2, s17, v2
	global_load_b32 v2, v2, s[12:13] scale_offset
	s_wait_loadcnt 0x0
	v_ashrrev_i32_e32 v3, 31, v2
	s_wait_kmcnt 0x0
	s_wait_xcnt 0x0
	s_delay_alu instid0(VALU_DEP_1) | instskip(SKIP_4) | instid1(VALU_DEP_1)
	v_lshl_add_u64 v[2:3], v[2:3], 2, s[4:5]
	global_load_b64 v[2:3], v[2:3], off
	s_wait_loadcnt 0x0
	s_wait_xcnt 0x0
	v_sub_nc_u32_e32 v3, v3, v2
	v_cmp_lt_u32_e32 vcc_lo, v1, v3
	v_mov_b32_e32 v3, 0
	s_and_saveexec_b32 s22, vcc_lo
	s_cbranch_execz .LBB116_7
; %bb.11:                               ;   in Loop: Header=BB116_9 Depth=1
	v_add_nc_u32_e32 v2, v4, v2
	s_clause 0x1
	global_load_b32 v3, v2, s[6:7] scale_offset
	global_load_u16 v6, v2, s[8:9] scale_offset
	s_wait_loadcnt 0x1
	s_wait_xcnt 0x0
	v_subrev_nc_u32_e32 v2, s16, v3
	s_wait_loadcnt 0x0
	v_cvt_f32_f16_e32 v3, v6
	global_load_u16 v2, v2, s[10:11] scale_offset
	v_mul_f32_e32 v3, s18, v3
	s_wait_loadcnt 0x0
	s_wait_xcnt 0x0
	v_cvt_f32_f16_e32 v2, v2
	s_delay_alu instid0(VALU_DEP_1)
	v_mul_f32_e32 v3, v3, v2
	s_branch .LBB116_7
.LBB116_12:
	s_wait_kmcnt 0x0
	s_sub_co_i32 s4, s15, s14
	s_wait_dscnt 0x0
	v_cmp_gt_u32_e32 vcc_lo, s4, v0
	s_barrier_signal -1
	s_barrier_wait -1
	s_and_saveexec_b32 s4, vcc_lo
	s_cbranch_execz .LBB116_18
; %bb.13:
	v_add3_u32 v1, s17, s14, v0
	s_load_b64 s[0:1], s[0:1], 0x50
	v_dual_lshlrev_b32 v0, s3, v0 :: v_dual_mov_b32 v4, 0
	s_mov_b32 s4, 1
	global_load_b32 v2, v1, s[12:13] scale_offset
	v_lshl_add_u32 v0, v0, 2, 0
.LBB116_14:                             ; =>This Inner Loop Header: Depth=1
	s_wait_xcnt 0x0
	ds_load_b32 v1, v0
	v_add_nc_u32_e32 v0, 4, v0
	s_lshr_b32 s5, s4, s3
	s_add_co_i32 s4, s4, 1
	s_cmp_lg_u32 s5, 0
	s_wait_dscnt 0x0
	v_add_f32_e32 v4, v4, v1
	s_cbranch_scc0 .LBB116_14
; %bb.15:
	s_wait_loadcnt 0x0
	v_ashrrev_i32_e32 v3, 31, v2
	s_cmp_neq_f32 s2, 0
	s_wait_kmcnt 0x0
	s_delay_alu instid0(VALU_DEP_1)
	v_lshl_add_u64 v[0:1], v[2:3], 2, s[0:1]
	s_cbranch_scc0 .LBB116_17
; %bb.16:
	global_load_b32 v2, v[0:1], off
	s_wait_loadcnt 0x0
	v_fmac_f32_e32 v4, s2, v2
.LBB116_17:
	global_store_b32 v[0:1], v4, off
.LBB116_18:
	s_endpgm
	.section	.rodata,"a",@progbits
	.p2align	6, 0x0
	.amdhsa_kernel _ZN9rocsparseL28csrmvn_lrb_short_rows_kernelIiiDF16_DF16_ffEEvbT_PT0_S3_jNS_24const_host_device_scalarIT4_EEPKS1_PKS2_PKT1_PKT2_S6_PT3_21rocsparse_index_base_b
		.amdhsa_group_segment_fixed_size 0
		.amdhsa_private_segment_fixed_size 0
		.amdhsa_kernarg_size 96
		.amdhsa_user_sgpr_count 2
		.amdhsa_user_sgpr_dispatch_ptr 0
		.amdhsa_user_sgpr_queue_ptr 0
		.amdhsa_user_sgpr_kernarg_segment_ptr 1
		.amdhsa_user_sgpr_dispatch_id 0
		.amdhsa_user_sgpr_kernarg_preload_length 0
		.amdhsa_user_sgpr_kernarg_preload_offset 0
		.amdhsa_user_sgpr_private_segment_size 0
		.amdhsa_wavefront_size32 1
		.amdhsa_uses_dynamic_stack 0
		.amdhsa_enable_private_segment 0
		.amdhsa_system_sgpr_workgroup_id_x 1
		.amdhsa_system_sgpr_workgroup_id_y 0
		.amdhsa_system_sgpr_workgroup_id_z 0
		.amdhsa_system_sgpr_workgroup_info 0
		.amdhsa_system_vgpr_workitem_id 0
		.amdhsa_next_free_vgpr 7
		.amdhsa_next_free_sgpr 23
		.amdhsa_named_barrier_count 0
		.amdhsa_reserve_vcc 1
		.amdhsa_float_round_mode_32 0
		.amdhsa_float_round_mode_16_64 0
		.amdhsa_float_denorm_mode_32 3
		.amdhsa_float_denorm_mode_16_64 3
		.amdhsa_fp16_overflow 0
		.amdhsa_memory_ordered 1
		.amdhsa_forward_progress 1
		.amdhsa_inst_pref_size 6
		.amdhsa_round_robin_scheduling 0
		.amdhsa_exception_fp_ieee_invalid_op 0
		.amdhsa_exception_fp_denorm_src 0
		.amdhsa_exception_fp_ieee_div_zero 0
		.amdhsa_exception_fp_ieee_overflow 0
		.amdhsa_exception_fp_ieee_underflow 0
		.amdhsa_exception_fp_ieee_inexact 0
		.amdhsa_exception_int_div_zero 0
	.end_amdhsa_kernel
	.section	.text._ZN9rocsparseL28csrmvn_lrb_short_rows_kernelIiiDF16_DF16_ffEEvbT_PT0_S3_jNS_24const_host_device_scalarIT4_EEPKS1_PKS2_PKT1_PKT2_S6_PT3_21rocsparse_index_base_b,"axG",@progbits,_ZN9rocsparseL28csrmvn_lrb_short_rows_kernelIiiDF16_DF16_ffEEvbT_PT0_S3_jNS_24const_host_device_scalarIT4_EEPKS1_PKS2_PKT1_PKT2_S6_PT3_21rocsparse_index_base_b,comdat
.Lfunc_end116:
	.size	_ZN9rocsparseL28csrmvn_lrb_short_rows_kernelIiiDF16_DF16_ffEEvbT_PT0_S3_jNS_24const_host_device_scalarIT4_EEPKS1_PKS2_PKT1_PKT2_S6_PT3_21rocsparse_index_base_b, .Lfunc_end116-_ZN9rocsparseL28csrmvn_lrb_short_rows_kernelIiiDF16_DF16_ffEEvbT_PT0_S3_jNS_24const_host_device_scalarIT4_EEPKS1_PKS2_PKT1_PKT2_S6_PT3_21rocsparse_index_base_b
                                        ; -- End function
	.set _ZN9rocsparseL28csrmvn_lrb_short_rows_kernelIiiDF16_DF16_ffEEvbT_PT0_S3_jNS_24const_host_device_scalarIT4_EEPKS1_PKS2_PKT1_PKT2_S6_PT3_21rocsparse_index_base_b.num_vgpr, 7
	.set _ZN9rocsparseL28csrmvn_lrb_short_rows_kernelIiiDF16_DF16_ffEEvbT_PT0_S3_jNS_24const_host_device_scalarIT4_EEPKS1_PKS2_PKT1_PKT2_S6_PT3_21rocsparse_index_base_b.num_agpr, 0
	.set _ZN9rocsparseL28csrmvn_lrb_short_rows_kernelIiiDF16_DF16_ffEEvbT_PT0_S3_jNS_24const_host_device_scalarIT4_EEPKS1_PKS2_PKT1_PKT2_S6_PT3_21rocsparse_index_base_b.numbered_sgpr, 23
	.set _ZN9rocsparseL28csrmvn_lrb_short_rows_kernelIiiDF16_DF16_ffEEvbT_PT0_S3_jNS_24const_host_device_scalarIT4_EEPKS1_PKS2_PKT1_PKT2_S6_PT3_21rocsparse_index_base_b.num_named_barrier, 0
	.set _ZN9rocsparseL28csrmvn_lrb_short_rows_kernelIiiDF16_DF16_ffEEvbT_PT0_S3_jNS_24const_host_device_scalarIT4_EEPKS1_PKS2_PKT1_PKT2_S6_PT3_21rocsparse_index_base_b.private_seg_size, 0
	.set _ZN9rocsparseL28csrmvn_lrb_short_rows_kernelIiiDF16_DF16_ffEEvbT_PT0_S3_jNS_24const_host_device_scalarIT4_EEPKS1_PKS2_PKT1_PKT2_S6_PT3_21rocsparse_index_base_b.uses_vcc, 1
	.set _ZN9rocsparseL28csrmvn_lrb_short_rows_kernelIiiDF16_DF16_ffEEvbT_PT0_S3_jNS_24const_host_device_scalarIT4_EEPKS1_PKS2_PKT1_PKT2_S6_PT3_21rocsparse_index_base_b.uses_flat_scratch, 0
	.set _ZN9rocsparseL28csrmvn_lrb_short_rows_kernelIiiDF16_DF16_ffEEvbT_PT0_S3_jNS_24const_host_device_scalarIT4_EEPKS1_PKS2_PKT1_PKT2_S6_PT3_21rocsparse_index_base_b.has_dyn_sized_stack, 0
	.set _ZN9rocsparseL28csrmvn_lrb_short_rows_kernelIiiDF16_DF16_ffEEvbT_PT0_S3_jNS_24const_host_device_scalarIT4_EEPKS1_PKS2_PKT1_PKT2_S6_PT3_21rocsparse_index_base_b.has_recursion, 0
	.set _ZN9rocsparseL28csrmvn_lrb_short_rows_kernelIiiDF16_DF16_ffEEvbT_PT0_S3_jNS_24const_host_device_scalarIT4_EEPKS1_PKS2_PKT1_PKT2_S6_PT3_21rocsparse_index_base_b.has_indirect_call, 0
	.section	.AMDGPU.csdata,"",@progbits
; Kernel info:
; codeLenInByte = 740
; TotalNumSgprs: 25
; NumVgprs: 7
; ScratchSize: 0
; MemoryBound: 0
; FloatMode: 240
; IeeeMode: 1
; LDSByteSize: 0 bytes/workgroup (compile time only)
; SGPRBlocks: 0
; VGPRBlocks: 0
; NumSGPRsForWavesPerEU: 25
; NumVGPRsForWavesPerEU: 7
; NamedBarCnt: 0
; Occupancy: 16
; WaveLimiterHint : 1
; COMPUTE_PGM_RSRC2:SCRATCH_EN: 0
; COMPUTE_PGM_RSRC2:USER_SGPR: 2
; COMPUTE_PGM_RSRC2:TRAP_HANDLER: 0
; COMPUTE_PGM_RSRC2:TGID_X_EN: 1
; COMPUTE_PGM_RSRC2:TGID_Y_EN: 0
; COMPUTE_PGM_RSRC2:TGID_Z_EN: 0
; COMPUTE_PGM_RSRC2:TIDIG_COMP_CNT: 0
	.section	.text._ZN9rocsparseL30csrmvn_lrb_short_rows_2_kernelIiiDF16_DF16_ffEEvbT_PT0_S3_jNS_24const_host_device_scalarIT4_EEPKS1_PKS2_PKT1_PKT2_S6_PT3_21rocsparse_index_base_b,"axG",@progbits,_ZN9rocsparseL30csrmvn_lrb_short_rows_2_kernelIiiDF16_DF16_ffEEvbT_PT0_S3_jNS_24const_host_device_scalarIT4_EEPKS1_PKS2_PKT1_PKT2_S6_PT3_21rocsparse_index_base_b,comdat
	.globl	_ZN9rocsparseL30csrmvn_lrb_short_rows_2_kernelIiiDF16_DF16_ffEEvbT_PT0_S3_jNS_24const_host_device_scalarIT4_EEPKS1_PKS2_PKT1_PKT2_S6_PT3_21rocsparse_index_base_b ; -- Begin function _ZN9rocsparseL30csrmvn_lrb_short_rows_2_kernelIiiDF16_DF16_ffEEvbT_PT0_S3_jNS_24const_host_device_scalarIT4_EEPKS1_PKS2_PKT1_PKT2_S6_PT3_21rocsparse_index_base_b
	.p2align	8
	.type	_ZN9rocsparseL30csrmvn_lrb_short_rows_2_kernelIiiDF16_DF16_ffEEvbT_PT0_S3_jNS_24const_host_device_scalarIT4_EEPKS1_PKS2_PKT1_PKT2_S6_PT3_21rocsparse_index_base_b,@function
_ZN9rocsparseL30csrmvn_lrb_short_rows_2_kernelIiiDF16_DF16_ffEEvbT_PT0_S3_jNS_24const_host_device_scalarIT4_EEPKS1_PKS2_PKT1_PKT2_S6_PT3_21rocsparse_index_base_b: ; @_ZN9rocsparseL30csrmvn_lrb_short_rows_2_kernelIiiDF16_DF16_ffEEvbT_PT0_S3_jNS_24const_host_device_scalarIT4_EEPKS1_PKS2_PKT1_PKT2_S6_PT3_21rocsparse_index_base_b
; %bb.0:
	s_clause 0x2
	s_load_b64 s[18:19], s[0:1], 0x58
	s_load_b64 s[16:17], s[0:1], 0x20
	;; [unrolled: 1-line block ×3, first 2 shown]
	s_wait_kmcnt 0x0
	s_bitcmp1_b32 s19, 0
	s_cselect_b32 s4, -1, 0
	s_delay_alu instid0(SALU_CYCLE_1)
	s_and_b32 vcc_lo, exec_lo, s4
	s_xor_b32 s4, s4, -1
	s_cbranch_vccnz .LBB117_2
; %bb.1:
	s_load_b32 s16, s[16:17], 0x0
.LBB117_2:
	s_and_not1_b32 vcc_lo, exec_lo, s4
	s_cbranch_vccnz .LBB117_4
; %bb.3:
	s_load_b32 s2, s[2:3], 0x0
.LBB117_4:
	s_wait_kmcnt 0x0
	s_cmp_neq_f32 s16, 0
	s_cselect_b32 s3, -1, 0
	s_cmp_neq_f32 s2, 1.0
	s_cselect_b32 s4, -1, 0
	s_delay_alu instid0(SALU_CYCLE_1) | instskip(NEXT) | instid1(SALU_CYCLE_1)
	s_or_b32 s3, s3, s4
	s_and_not1_b32 vcc_lo, exec_lo, s3
	s_cbranch_vccnz .LBB117_30
; %bb.5:
	s_clause 0x1
	s_load_b32 s3, s[0:1], 0x18
	s_load_b128 s[12:15], s[0:1], 0x8
	s_wait_kmcnt 0x0
	s_add_co_i32 s19, s3, 1
	s_clause 0x1
	s_load_b32 s17, s[14:15], s3 offset:0x0 scale_offset
	s_load_b32 s20, s[14:15], s19 offset:0x0 scale_offset
	s_load_b256 s[4:11], s[0:1], 0x28
	s_wait_xcnt 0x0
	s_bfe_u32 s14, ttmp6, 0x4000c
	s_and_b32 s15, ttmp6, 15
	s_add_co_i32 s14, s14, 1
	s_getreg_b32 s19, hwreg(HW_REG_IB_STS2, 6, 4)
	s_mul_i32 s21, ttmp9, s14
	s_lshr_b32 s14, 0x400, s3
	s_add_co_i32 s15, s15, s21
	v_lshrrev_b32_e32 v1, s3, v0
	v_bfe_u32 v4, v0, 0, s3
	s_wait_kmcnt 0x0
	s_sub_co_i32 s20, s20, s17
	s_cmp_eq_u32 s19, 0
	s_cselect_b32 s15, ttmp9, s15
	s_delay_alu instid0(SALU_CYCLE_1) | instskip(NEXT) | instid1(SALU_CYCLE_1)
	s_mul_i32 s15, s14, s15
	v_add_nc_u32_e32 v2, s15, v1
	v_subrev_nc_u32_e32 v1, s18, v4
	s_add_co_i32 s19, s15, s14
	s_delay_alu instid0(SALU_CYCLE_1)
	s_min_u32 s19, s20, s19
	s_mov_b32 s20, exec_lo
	v_cmpx_gt_u32_e64 s19, v2
	s_cbranch_execz .LBB117_9
; %bb.6:
	v_add_nc_u32_e32 v2, s17, v2
	global_load_b32 v2, v2, s[12:13] scale_offset
	s_wait_loadcnt 0x0
	v_ashrrev_i32_e32 v3, 31, v2
	s_delay_alu instid0(VALU_DEP_1) | instskip(SKIP_3) | instid1(VALU_DEP_1)
	v_lshl_add_u64 v[2:3], v[2:3], 2, s[4:5]
	global_load_b64 v[2:3], v[2:3], off
	s_wait_loadcnt 0x0
	v_sub_nc_u32_e32 v3, v3, v2
	v_cmp_lt_u32_e32 vcc_lo, v4, v3
	v_mov_b32_e32 v3, 0
	s_and_saveexec_b32 s21, vcc_lo
	s_cbranch_execz .LBB117_8
; %bb.7:
	v_add_nc_u32_e32 v2, v2, v1
	s_clause 0x1
	global_load_b32 v3, v2, s[6:7] scale_offset
	global_load_u16 v5, v2, s[8:9] scale_offset
	s_wait_loadcnt 0x1
	s_wait_xcnt 0x0
	v_subrev_nc_u32_e32 v2, s18, v3
	s_wait_loadcnt 0x0
	v_cvt_f32_f16_e32 v3, v5
	global_load_u16 v2, v2, s[10:11] scale_offset
	v_mul_f32_e32 v3, s16, v3
	s_wait_loadcnt 0x0
	v_cvt_f32_f16_e32 v2, v2
	s_delay_alu instid0(VALU_DEP_1)
	v_mul_f32_e32 v3, v3, v2
.LBB117_8:
	s_or_b32 exec_lo, exec_lo, s21
	v_lshlrev_b32_e32 v2, 2, v0
	ds_store_b32 v2, v3
.LBB117_9:
	s_or_b32 exec_lo, exec_lo, s20
	s_load_b64 s[0:1], s[0:1], 0x50
	v_or_b32_e32 v2, 0x100, v0
	s_mov_b32 s20, exec_lo
	s_delay_alu instid0(VALU_DEP_1) | instskip(NEXT) | instid1(VALU_DEP_1)
	v_lshrrev_b32_e32 v2, s3, v2
	v_add_nc_u32_e32 v2, s15, v2
	s_delay_alu instid0(VALU_DEP_1)
	v_cmpx_gt_u32_e64 s19, v2
	s_cbranch_execz .LBB117_13
; %bb.10:
	v_add_nc_u32_e32 v2, s17, v2
	global_load_b32 v2, v2, s[12:13] scale_offset
	s_wait_loadcnt 0x0
	v_ashrrev_i32_e32 v3, 31, v2
	s_delay_alu instid0(VALU_DEP_1) | instskip(SKIP_3) | instid1(VALU_DEP_1)
	v_lshl_add_u64 v[2:3], v[2:3], 2, s[4:5]
	global_load_b64 v[2:3], v[2:3], off
	s_wait_loadcnt 0x0
	v_sub_nc_u32_e32 v3, v3, v2
	v_cmp_lt_u32_e32 vcc_lo, v4, v3
	v_mov_b32_e32 v3, 0
	s_and_saveexec_b32 s21, vcc_lo
	s_cbranch_execz .LBB117_12
; %bb.11:
	v_add_nc_u32_e32 v2, v2, v1
	s_clause 0x1
	global_load_b32 v3, v2, s[6:7] scale_offset
	global_load_u16 v5, v2, s[8:9] scale_offset
	s_wait_loadcnt 0x1
	s_wait_xcnt 0x0
	v_subrev_nc_u32_e32 v2, s18, v3
	s_wait_loadcnt 0x0
	v_cvt_f32_f16_e32 v3, v5
	global_load_u16 v2, v2, s[10:11] scale_offset
	v_mul_f32_e32 v3, s16, v3
	s_wait_loadcnt 0x0
	v_cvt_f32_f16_e32 v2, v2
	s_delay_alu instid0(VALU_DEP_1)
	v_mul_f32_e32 v3, v3, v2
.LBB117_12:
	s_or_b32 exec_lo, exec_lo, s21
	v_lshlrev_b32_e32 v2, 2, v0
	ds_store_b32 v2, v3 offset:1024
.LBB117_13:
	s_or_b32 exec_lo, exec_lo, s20
	v_or_b32_e32 v2, 0x200, v0
	s_mov_b32 s20, exec_lo
	s_delay_alu instid0(VALU_DEP_1) | instskip(NEXT) | instid1(VALU_DEP_1)
	v_lshrrev_b32_e32 v2, s3, v2
	v_add_nc_u32_e32 v2, s15, v2
	s_delay_alu instid0(VALU_DEP_1)
	v_cmpx_gt_u32_e64 s19, v2
	s_cbranch_execz .LBB117_17
; %bb.14:
	v_add_nc_u32_e32 v2, s17, v2
	global_load_b32 v2, v2, s[12:13] scale_offset
	s_wait_loadcnt 0x0
	v_ashrrev_i32_e32 v3, 31, v2
	s_delay_alu instid0(VALU_DEP_1) | instskip(SKIP_3) | instid1(VALU_DEP_1)
	v_lshl_add_u64 v[2:3], v[2:3], 2, s[4:5]
	global_load_b64 v[2:3], v[2:3], off
	s_wait_loadcnt 0x0
	v_sub_nc_u32_e32 v3, v3, v2
	v_cmp_lt_u32_e32 vcc_lo, v4, v3
	v_mov_b32_e32 v3, 0
	s_and_saveexec_b32 s21, vcc_lo
	s_cbranch_execz .LBB117_16
; %bb.15:
	v_add_nc_u32_e32 v2, v2, v1
	s_clause 0x1
	global_load_b32 v3, v2, s[6:7] scale_offset
	global_load_u16 v5, v2, s[8:9] scale_offset
	s_wait_loadcnt 0x1
	s_wait_xcnt 0x0
	v_subrev_nc_u32_e32 v2, s18, v3
	s_wait_loadcnt 0x0
	v_cvt_f32_f16_e32 v3, v5
	global_load_u16 v2, v2, s[10:11] scale_offset
	v_mul_f32_e32 v3, s16, v3
	s_wait_loadcnt 0x0
	v_cvt_f32_f16_e32 v2, v2
	s_delay_alu instid0(VALU_DEP_1)
	v_mul_f32_e32 v3, v3, v2
.LBB117_16:
	s_or_b32 exec_lo, exec_lo, s21
	v_lshlrev_b32_e32 v2, 2, v0
	ds_store_b32 v2, v3 offset:2048
.LBB117_17:
	s_or_b32 exec_lo, exec_lo, s20
	v_or_b32_e32 v2, 0x300, v0
	s_mov_b32 s20, exec_lo
	s_delay_alu instid0(VALU_DEP_1) | instskip(NEXT) | instid1(VALU_DEP_1)
	v_lshrrev_b32_e32 v2, s3, v2
	v_add_nc_u32_e32 v2, s15, v2
	s_delay_alu instid0(VALU_DEP_1)
	v_cmpx_gt_u32_e64 s19, v2
	s_cbranch_execz .LBB117_21
; %bb.18:
	v_add_nc_u32_e32 v2, s17, v2
	global_load_b32 v2, v2, s[12:13] scale_offset
	s_wait_loadcnt 0x0
	v_ashrrev_i32_e32 v3, 31, v2
	s_delay_alu instid0(VALU_DEP_1) | instskip(SKIP_3) | instid1(VALU_DEP_1)
	v_lshl_add_u64 v[2:3], v[2:3], 2, s[4:5]
	global_load_b64 v[2:3], v[2:3], off
	s_wait_loadcnt 0x0
	v_sub_nc_u32_e32 v3, v3, v2
	v_cmp_lt_u32_e32 vcc_lo, v4, v3
	v_mov_b32_e32 v3, 0
	s_and_saveexec_b32 s4, vcc_lo
	s_cbranch_execz .LBB117_20
; %bb.19:
	v_add_nc_u32_e32 v1, v2, v1
	s_clause 0x1
	global_load_b32 v2, v1, s[6:7] scale_offset
	global_load_u16 v3, v1, s[8:9] scale_offset
	s_wait_loadcnt 0x1
	s_wait_xcnt 0x0
	v_subrev_nc_u32_e32 v1, s18, v2
	s_wait_loadcnt 0x0
	v_cvt_f32_f16_e32 v2, v3
	global_load_u16 v1, v1, s[10:11] scale_offset
	v_mul_f32_e32 v2, s16, v2
	s_wait_loadcnt 0x0
	v_cvt_f32_f16_e32 v1, v1
	s_delay_alu instid0(VALU_DEP_1)
	v_mul_f32_e32 v3, v2, v1
.LBB117_20:
	s_or_b32 exec_lo, exec_lo, s4
	v_lshlrev_b32_e32 v1, 2, v0
	ds_store_b32 v1, v3 offset:3072
.LBB117_21:
	s_or_b32 exec_lo, exec_lo, s20
	s_cmp_lt_u32 s3, 11
	s_wait_dscnt 0x0
	s_barrier_signal -1
	s_barrier_wait -1
	s_cbranch_scc0 .LBB117_30
; %bb.22:
	s_sub_co_i32 s4, s19, s15
	s_add_co_i32 s17, s17, s15
	s_cmp_neq_f32 s2, 0
	s_mov_b32 s5, 0
	s_cselect_b32 s6, -1, 0
	s_branch .LBB117_25
.LBB117_23:                             ;   in Loop: Header=BB117_25 Depth=1
	global_store_b32 v[2:3], v1, off
.LBB117_24:                             ;   in Loop: Header=BB117_25 Depth=1
	s_wait_xcnt 0x0
	s_or_b32 exec_lo, exec_lo, s7
	s_addk_co_i32 s5, 0x100
	s_delay_alu instid0(SALU_CYCLE_1)
	s_cmp_lt_u32 s5, s14
	s_cbranch_scc0 .LBB117_30
.LBB117_25:                             ; =>This Loop Header: Depth=1
                                        ;     Child Loop BB117_27 Depth 2
	v_add_nc_u32_e32 v1, s5, v0
	s_mov_b32 s7, exec_lo
	s_delay_alu instid0(VALU_DEP_1)
	v_cmpx_gt_u32_e64 s4, v1
	s_cbranch_execz .LBB117_24
; %bb.26:                               ;   in Loop: Header=BB117_25 Depth=1
	v_dual_add_nc_u32 v2, s17, v1 :: v_dual_lshlrev_b32 v1, s3, v1
	s_mov_b32 s8, 1
	global_load_b32 v2, v2, s[12:13] scale_offset
	v_dual_lshlrev_b32 v3, 2, v1 :: v_dual_mov_b32 v1, 0
.LBB117_27:                             ;   Parent Loop BB117_25 Depth=1
                                        ; =>  This Inner Loop Header: Depth=2
	ds_load_b32 v4, v3
	v_add_nc_u32_e32 v3, 4, v3
	s_lshr_b32 s9, s8, s3
	s_add_co_i32 s8, s8, 1
	s_cmp_lg_u32 s9, 0
	s_wait_dscnt 0x0
	v_add_f32_e32 v1, v1, v4
	s_cbranch_scc0 .LBB117_27
; %bb.28:                               ;   in Loop: Header=BB117_25 Depth=1
	s_wait_loadcnt 0x0
	v_ashrrev_i32_e32 v3, 31, v2
	s_and_b32 vcc_lo, exec_lo, s6
	s_wait_kmcnt 0x0
	s_wait_xcnt 0x0
	s_delay_alu instid0(VALU_DEP_1)
	v_lshl_add_u64 v[2:3], v[2:3], 2, s[0:1]
	s_cbranch_vccz .LBB117_23
; %bb.29:                               ;   in Loop: Header=BB117_25 Depth=1
	global_load_b32 v4, v[2:3], off
	s_wait_loadcnt 0x0
	v_fmac_f32_e32 v1, s2, v4
	s_branch .LBB117_23
.LBB117_30:
	s_endpgm
	.section	.rodata,"a",@progbits
	.p2align	6, 0x0
	.amdhsa_kernel _ZN9rocsparseL30csrmvn_lrb_short_rows_2_kernelIiiDF16_DF16_ffEEvbT_PT0_S3_jNS_24const_host_device_scalarIT4_EEPKS1_PKS2_PKT1_PKT2_S6_PT3_21rocsparse_index_base_b
		.amdhsa_group_segment_fixed_size 4096
		.amdhsa_private_segment_fixed_size 0
		.amdhsa_kernarg_size 96
		.amdhsa_user_sgpr_count 2
		.amdhsa_user_sgpr_dispatch_ptr 0
		.amdhsa_user_sgpr_queue_ptr 0
		.amdhsa_user_sgpr_kernarg_segment_ptr 1
		.amdhsa_user_sgpr_dispatch_id 0
		.amdhsa_user_sgpr_kernarg_preload_length 0
		.amdhsa_user_sgpr_kernarg_preload_offset 0
		.amdhsa_user_sgpr_private_segment_size 0
		.amdhsa_wavefront_size32 1
		.amdhsa_uses_dynamic_stack 0
		.amdhsa_enable_private_segment 0
		.amdhsa_system_sgpr_workgroup_id_x 1
		.amdhsa_system_sgpr_workgroup_id_y 0
		.amdhsa_system_sgpr_workgroup_id_z 0
		.amdhsa_system_sgpr_workgroup_info 0
		.amdhsa_system_vgpr_workitem_id 0
		.amdhsa_next_free_vgpr 6
		.amdhsa_next_free_sgpr 22
		.amdhsa_named_barrier_count 0
		.amdhsa_reserve_vcc 1
		.amdhsa_float_round_mode_32 0
		.amdhsa_float_round_mode_16_64 0
		.amdhsa_float_denorm_mode_32 3
		.amdhsa_float_denorm_mode_16_64 3
		.amdhsa_fp16_overflow 0
		.amdhsa_memory_ordered 1
		.amdhsa_forward_progress 1
		.amdhsa_inst_pref_size 11
		.amdhsa_round_robin_scheduling 0
		.amdhsa_exception_fp_ieee_invalid_op 0
		.amdhsa_exception_fp_denorm_src 0
		.amdhsa_exception_fp_ieee_div_zero 0
		.amdhsa_exception_fp_ieee_overflow 0
		.amdhsa_exception_fp_ieee_underflow 0
		.amdhsa_exception_fp_ieee_inexact 0
		.amdhsa_exception_int_div_zero 0
	.end_amdhsa_kernel
	.section	.text._ZN9rocsparseL30csrmvn_lrb_short_rows_2_kernelIiiDF16_DF16_ffEEvbT_PT0_S3_jNS_24const_host_device_scalarIT4_EEPKS1_PKS2_PKT1_PKT2_S6_PT3_21rocsparse_index_base_b,"axG",@progbits,_ZN9rocsparseL30csrmvn_lrb_short_rows_2_kernelIiiDF16_DF16_ffEEvbT_PT0_S3_jNS_24const_host_device_scalarIT4_EEPKS1_PKS2_PKT1_PKT2_S6_PT3_21rocsparse_index_base_b,comdat
.Lfunc_end117:
	.size	_ZN9rocsparseL30csrmvn_lrb_short_rows_2_kernelIiiDF16_DF16_ffEEvbT_PT0_S3_jNS_24const_host_device_scalarIT4_EEPKS1_PKS2_PKT1_PKT2_S6_PT3_21rocsparse_index_base_b, .Lfunc_end117-_ZN9rocsparseL30csrmvn_lrb_short_rows_2_kernelIiiDF16_DF16_ffEEvbT_PT0_S3_jNS_24const_host_device_scalarIT4_EEPKS1_PKS2_PKT1_PKT2_S6_PT3_21rocsparse_index_base_b
                                        ; -- End function
	.set _ZN9rocsparseL30csrmvn_lrb_short_rows_2_kernelIiiDF16_DF16_ffEEvbT_PT0_S3_jNS_24const_host_device_scalarIT4_EEPKS1_PKS2_PKT1_PKT2_S6_PT3_21rocsparse_index_base_b.num_vgpr, 6
	.set _ZN9rocsparseL30csrmvn_lrb_short_rows_2_kernelIiiDF16_DF16_ffEEvbT_PT0_S3_jNS_24const_host_device_scalarIT4_EEPKS1_PKS2_PKT1_PKT2_S6_PT3_21rocsparse_index_base_b.num_agpr, 0
	.set _ZN9rocsparseL30csrmvn_lrb_short_rows_2_kernelIiiDF16_DF16_ffEEvbT_PT0_S3_jNS_24const_host_device_scalarIT4_EEPKS1_PKS2_PKT1_PKT2_S6_PT3_21rocsparse_index_base_b.numbered_sgpr, 22
	.set _ZN9rocsparseL30csrmvn_lrb_short_rows_2_kernelIiiDF16_DF16_ffEEvbT_PT0_S3_jNS_24const_host_device_scalarIT4_EEPKS1_PKS2_PKT1_PKT2_S6_PT3_21rocsparse_index_base_b.num_named_barrier, 0
	.set _ZN9rocsparseL30csrmvn_lrb_short_rows_2_kernelIiiDF16_DF16_ffEEvbT_PT0_S3_jNS_24const_host_device_scalarIT4_EEPKS1_PKS2_PKT1_PKT2_S6_PT3_21rocsparse_index_base_b.private_seg_size, 0
	.set _ZN9rocsparseL30csrmvn_lrb_short_rows_2_kernelIiiDF16_DF16_ffEEvbT_PT0_S3_jNS_24const_host_device_scalarIT4_EEPKS1_PKS2_PKT1_PKT2_S6_PT3_21rocsparse_index_base_b.uses_vcc, 1
	.set _ZN9rocsparseL30csrmvn_lrb_short_rows_2_kernelIiiDF16_DF16_ffEEvbT_PT0_S3_jNS_24const_host_device_scalarIT4_EEPKS1_PKS2_PKT1_PKT2_S6_PT3_21rocsparse_index_base_b.uses_flat_scratch, 0
	.set _ZN9rocsparseL30csrmvn_lrb_short_rows_2_kernelIiiDF16_DF16_ffEEvbT_PT0_S3_jNS_24const_host_device_scalarIT4_EEPKS1_PKS2_PKT1_PKT2_S6_PT3_21rocsparse_index_base_b.has_dyn_sized_stack, 0
	.set _ZN9rocsparseL30csrmvn_lrb_short_rows_2_kernelIiiDF16_DF16_ffEEvbT_PT0_S3_jNS_24const_host_device_scalarIT4_EEPKS1_PKS2_PKT1_PKT2_S6_PT3_21rocsparse_index_base_b.has_recursion, 0
	.set _ZN9rocsparseL30csrmvn_lrb_short_rows_2_kernelIiiDF16_DF16_ffEEvbT_PT0_S3_jNS_24const_host_device_scalarIT4_EEPKS1_PKS2_PKT1_PKT2_S6_PT3_21rocsparse_index_base_b.has_indirect_call, 0
	.section	.AMDGPU.csdata,"",@progbits
; Kernel info:
; codeLenInByte = 1360
; TotalNumSgprs: 24
; NumVgprs: 6
; ScratchSize: 0
; MemoryBound: 0
; FloatMode: 240
; IeeeMode: 1
; LDSByteSize: 4096 bytes/workgroup (compile time only)
; SGPRBlocks: 0
; VGPRBlocks: 0
; NumSGPRsForWavesPerEU: 24
; NumVGPRsForWavesPerEU: 6
; NamedBarCnt: 0
; Occupancy: 16
; WaveLimiterHint : 1
; COMPUTE_PGM_RSRC2:SCRATCH_EN: 0
; COMPUTE_PGM_RSRC2:USER_SGPR: 2
; COMPUTE_PGM_RSRC2:TRAP_HANDLER: 0
; COMPUTE_PGM_RSRC2:TGID_X_EN: 1
; COMPUTE_PGM_RSRC2:TGID_Y_EN: 0
; COMPUTE_PGM_RSRC2:TGID_Z_EN: 0
; COMPUTE_PGM_RSRC2:TIDIG_COMP_CNT: 0
	.section	.text._ZN9rocsparseL41csrmvn_lrb_medium_rows_warp_reduce_kernelILj256ELj32EiiDF16_DF16_ffEEvbT1_lPT2_S3_jNS_24const_host_device_scalarIT6_EEPKS1_PKS2_PKT3_PKT4_S6_PT5_21rocsparse_index_base_b,"axG",@progbits,_ZN9rocsparseL41csrmvn_lrb_medium_rows_warp_reduce_kernelILj256ELj32EiiDF16_DF16_ffEEvbT1_lPT2_S3_jNS_24const_host_device_scalarIT6_EEPKS1_PKS2_PKT3_PKT4_S6_PT5_21rocsparse_index_base_b,comdat
	.globl	_ZN9rocsparseL41csrmvn_lrb_medium_rows_warp_reduce_kernelILj256ELj32EiiDF16_DF16_ffEEvbT1_lPT2_S3_jNS_24const_host_device_scalarIT6_EEPKS1_PKS2_PKT3_PKT4_S6_PT5_21rocsparse_index_base_b ; -- Begin function _ZN9rocsparseL41csrmvn_lrb_medium_rows_warp_reduce_kernelILj256ELj32EiiDF16_DF16_ffEEvbT1_lPT2_S3_jNS_24const_host_device_scalarIT6_EEPKS1_PKS2_PKT3_PKT4_S6_PT5_21rocsparse_index_base_b
	.p2align	8
	.type	_ZN9rocsparseL41csrmvn_lrb_medium_rows_warp_reduce_kernelILj256ELj32EiiDF16_DF16_ffEEvbT1_lPT2_S3_jNS_24const_host_device_scalarIT6_EEPKS1_PKS2_PKT3_PKT4_S6_PT5_21rocsparse_index_base_b,@function
_ZN9rocsparseL41csrmvn_lrb_medium_rows_warp_reduce_kernelILj256ELj32EiiDF16_DF16_ffEEvbT1_lPT2_S3_jNS_24const_host_device_scalarIT6_EEPKS1_PKS2_PKT3_PKT4_S6_PT5_21rocsparse_index_base_b: ; @_ZN9rocsparseL41csrmvn_lrb_medium_rows_warp_reduce_kernelILj256ELj32EiiDF16_DF16_ffEEvbT1_lPT2_S3_jNS_24const_host_device_scalarIT6_EEPKS1_PKS2_PKT3_PKT4_S6_PT5_21rocsparse_index_base_b
; %bb.0:
	s_clause 0x2
	s_load_b64 s[8:9], s[0:1], 0x60
	s_load_b64 s[10:11], s[0:1], 0x28
	;; [unrolled: 1-line block ×3, first 2 shown]
	s_wait_kmcnt 0x0
	s_bitcmp1_b32 s9, 0
	s_cselect_b32 s4, -1, 0
	s_delay_alu instid0(SALU_CYCLE_1)
	s_and_b32 vcc_lo, exec_lo, s4
	s_xor_b32 s4, s4, -1
	s_cbranch_vccnz .LBB118_2
; %bb.1:
	s_load_b32 s10, s[10:11], 0x0
.LBB118_2:
	s_and_not1_b32 vcc_lo, exec_lo, s4
	s_cbranch_vccnz .LBB118_4
; %bb.3:
	s_load_b32 s2, s[2:3], 0x0
.LBB118_4:
	s_wait_kmcnt 0x0
	s_cmp_neq_f32 s10, 0
	s_cselect_b32 s3, -1, 0
	s_cmp_neq_f32 s2, 1.0
	s_cselect_b32 s4, -1, 0
	s_delay_alu instid0(SALU_CYCLE_1) | instskip(NEXT) | instid1(SALU_CYCLE_1)
	s_or_b32 s3, s3, s4
	s_and_not1_b32 vcc_lo, exec_lo, s3
	s_cbranch_vccnz .LBB118_14
; %bb.5:
	s_bfe_u32 s3, ttmp6, 0x4000c
	s_load_b64 s[4:5], s[0:1], 0x8
	s_add_co_i32 s3, s3, 1
	s_and_b32 s6, ttmp6, 15
	s_mul_i32 s3, ttmp9, s3
	s_getreg_b32 s7, hwreg(HW_REG_IB_STS2, 6, 4)
	v_lshrrev_b32_e32 v1, 5, v0
	s_add_co_i32 s6, s6, s3
	s_cmp_eq_u32 s7, 0
	s_cselect_b32 s3, ttmp9, s6
	s_delay_alu instid0(VALU_DEP_1) | instid1(SALU_CYCLE_1)
	v_lshl_or_b32 v2, s3, 3, v1
	s_mov_b32 s3, exec_lo
	s_delay_alu instid0(VALU_DEP_1) | instskip(SKIP_1) | instid1(VALU_DEP_1)
	v_ashrrev_i32_e32 v3, 31, v2
	s_wait_kmcnt 0x0
	v_cmpx_gt_i64_e64 s[4:5], v[2:3]
	s_cbranch_execz .LBB118_14
; %bb.6:
	s_clause 0x1
	s_load_b128 s[4:7], s[0:1], 0x10
	s_load_b32 s3, s[0:1], 0x20
	s_wait_kmcnt 0x0
	s_load_b32 s3, s[6:7], s3 offset:0x0 scale_offset
	s_wait_kmcnt 0x0
	v_add_nc_u32_e32 v1, s3, v2
	s_mov_b32 s3, exec_lo
	global_load_b32 v2, v1, s[4:5] scale_offset
	s_wait_xcnt 0x0
	s_load_b64 s[4:5], s[0:1], 0x30
	s_wait_loadcnt 0x0
	v_ashrrev_i32_e32 v3, 31, v2
	s_wait_kmcnt 0x0
	s_delay_alu instid0(VALU_DEP_1) | instskip(SKIP_2) | instid1(VALU_DEP_1)
	v_lshl_add_u64 v[4:5], v[2:3], 2, s[4:5]
	global_load_b64 v[6:7], v[4:5], off
	v_and_b32_e32 v0, 31, v0
	v_subrev_nc_u32_e32 v1, s8, v0
	s_wait_loadcnt 0x0
	v_subrev_nc_u32_e32 v4, s8, v7
	s_delay_alu instid0(VALU_DEP_2) | instskip(NEXT) | instid1(VALU_DEP_1)
	v_dual_add_nc_u32 v5, v6, v1 :: v_dual_mov_b32 v1, 0
	v_cmpx_lt_i32_e64 v5, v4
	s_cbranch_execz .LBB118_10
; %bb.7:
	s_clause 0x1
	s_load_b128 s[4:7], s[0:1], 0x38
	s_load_b64 s[12:13], s[0:1], 0x48
	v_mov_b32_e32 v1, 0
	s_mov_b32 s9, 0
.LBB118_8:                              ; =>This Inner Loop Header: Depth=1
	s_wait_kmcnt 0x0
	s_clause 0x1
	global_load_b32 v6, v5, s[4:5] scale_offset
	global_load_u16 v7, v5, s[6:7] scale_offset
	s_wait_loadcnt 0x1
	v_subrev_nc_u32_e32 v6, s8, v6
	s_wait_loadcnt 0x0
	v_cvt_f32_f16_e32 v7, v7
	v_add_nc_u32_e32 v5, 32, v5
	global_load_u16 v6, v6, s[12:13] scale_offset
	v_mul_f32_e32 v7, s10, v7
	v_cmp_ge_i32_e32 vcc_lo, v5, v4
	s_or_b32 s9, vcc_lo, s9
	s_wait_loadcnt 0x0
	s_delay_alu instid0(VALU_DEP_2)
	v_fma_mix_f32 v1, v7, v6, v1 op_sel_hi:[0,1,0]
	s_and_not1_b32 exec_lo, exec_lo, s9
	s_cbranch_execnz .LBB118_8
; %bb.9:
	s_or_b32 exec_lo, exec_lo, s9
.LBB118_10:
	s_delay_alu instid0(SALU_CYCLE_1) | instskip(SKIP_2) | instid1(VALU_DEP_1)
	s_or_b32 exec_lo, exec_lo, s3
	v_mbcnt_lo_u32_b32 v4, -1, 0
	s_load_b64 s[0:1], s[0:1], 0x58
	v_xor_b32_e32 v6, 8, v4
	v_xor_b32_e32 v5, 16, v4
	s_delay_alu instid0(VALU_DEP_1) | instskip(SKIP_1) | instid1(VALU_DEP_4)
	v_cmp_gt_i32_e32 vcc_lo, 32, v5
	v_cndmask_b32_e32 v5, v4, v5, vcc_lo
	v_cmp_gt_i32_e32 vcc_lo, 32, v6
	v_cndmask_b32_e32 v6, v4, v6, vcc_lo
	s_delay_alu instid0(VALU_DEP_1)
	v_dual_lshlrev_b32 v6, 2, v6 :: v_dual_lshlrev_b32 v5, 2, v5
	ds_bpermute_b32 v5, v5, v1
	s_wait_dscnt 0x0
	v_add_f32_e32 v1, v1, v5
	ds_bpermute_b32 v5, v6, v1
	v_xor_b32_e32 v6, 4, v4
	s_delay_alu instid0(VALU_DEP_1) | instskip(SKIP_2) | instid1(VALU_DEP_1)
	v_cmp_gt_i32_e32 vcc_lo, 32, v6
	s_wait_dscnt 0x0
	v_dual_cndmask_b32 v6, v4, v6 :: v_dual_add_f32 v1, v1, v5
	v_lshlrev_b32_e32 v6, 2, v6
	ds_bpermute_b32 v5, v6, v1
	s_wait_dscnt 0x0
	v_dual_add_f32 v1, v1, v5 :: v_dual_bitop2_b32 v6, 2, v4 bitop3:0x14
	s_delay_alu instid0(VALU_DEP_1) | instskip(SKIP_1) | instid1(VALU_DEP_1)
	v_cmp_gt_i32_e32 vcc_lo, 32, v6
	v_cndmask_b32_e32 v6, v4, v6, vcc_lo
	v_lshlrev_b32_e32 v6, 2, v6
	ds_bpermute_b32 v5, v6, v1
	v_xor_b32_e32 v6, 1, v4
	s_delay_alu instid0(VALU_DEP_1) | instskip(SKIP_3) | instid1(VALU_DEP_2)
	v_cmp_gt_i32_e32 vcc_lo, 32, v6
	v_cndmask_b32_e32 v4, v4, v6, vcc_lo
	v_cmp_eq_u32_e32 vcc_lo, 31, v0
	s_wait_dscnt 0x0
	v_dual_add_f32 v1, v1, v5 :: v_dual_lshlrev_b32 v4, 2, v4
	ds_bpermute_b32 v4, v4, v1
	s_and_b32 exec_lo, exec_lo, vcc_lo
	s_cbranch_execz .LBB118_14
; %bb.11:
	s_wait_dscnt 0x0
	v_add_f32_e32 v4, v1, v4
	s_wait_kmcnt 0x0
	v_lshl_add_u64 v[0:1], v[2:3], 2, s[0:1]
	s_cmp_eq_f32 s2, 0
	s_cbranch_scc1 .LBB118_13
; %bb.12:
	global_load_b32 v2, v[0:1], off
	s_wait_loadcnt 0x0
	v_fmac_f32_e32 v4, s2, v2
.LBB118_13:
	global_store_b32 v[0:1], v4, off
.LBB118_14:
	s_endpgm
	.section	.rodata,"a",@progbits
	.p2align	6, 0x0
	.amdhsa_kernel _ZN9rocsparseL41csrmvn_lrb_medium_rows_warp_reduce_kernelILj256ELj32EiiDF16_DF16_ffEEvbT1_lPT2_S3_jNS_24const_host_device_scalarIT6_EEPKS1_PKS2_PKT3_PKT4_S6_PT5_21rocsparse_index_base_b
		.amdhsa_group_segment_fixed_size 0
		.amdhsa_private_segment_fixed_size 0
		.amdhsa_kernarg_size 104
		.amdhsa_user_sgpr_count 2
		.amdhsa_user_sgpr_dispatch_ptr 0
		.amdhsa_user_sgpr_queue_ptr 0
		.amdhsa_user_sgpr_kernarg_segment_ptr 1
		.amdhsa_user_sgpr_dispatch_id 0
		.amdhsa_user_sgpr_kernarg_preload_length 0
		.amdhsa_user_sgpr_kernarg_preload_offset 0
		.amdhsa_user_sgpr_private_segment_size 0
		.amdhsa_wavefront_size32 1
		.amdhsa_uses_dynamic_stack 0
		.amdhsa_enable_private_segment 0
		.amdhsa_system_sgpr_workgroup_id_x 1
		.amdhsa_system_sgpr_workgroup_id_y 0
		.amdhsa_system_sgpr_workgroup_id_z 0
		.amdhsa_system_sgpr_workgroup_info 0
		.amdhsa_system_vgpr_workitem_id 0
		.amdhsa_next_free_vgpr 8
		.amdhsa_next_free_sgpr 14
		.amdhsa_named_barrier_count 0
		.amdhsa_reserve_vcc 1
		.amdhsa_float_round_mode_32 0
		.amdhsa_float_round_mode_16_64 0
		.amdhsa_float_denorm_mode_32 3
		.amdhsa_float_denorm_mode_16_64 3
		.amdhsa_fp16_overflow 0
		.amdhsa_memory_ordered 1
		.amdhsa_forward_progress 1
		.amdhsa_inst_pref_size 6
		.amdhsa_round_robin_scheduling 0
		.amdhsa_exception_fp_ieee_invalid_op 0
		.amdhsa_exception_fp_denorm_src 0
		.amdhsa_exception_fp_ieee_div_zero 0
		.amdhsa_exception_fp_ieee_overflow 0
		.amdhsa_exception_fp_ieee_underflow 0
		.amdhsa_exception_fp_ieee_inexact 0
		.amdhsa_exception_int_div_zero 0
	.end_amdhsa_kernel
	.section	.text._ZN9rocsparseL41csrmvn_lrb_medium_rows_warp_reduce_kernelILj256ELj32EiiDF16_DF16_ffEEvbT1_lPT2_S3_jNS_24const_host_device_scalarIT6_EEPKS1_PKS2_PKT3_PKT4_S6_PT5_21rocsparse_index_base_b,"axG",@progbits,_ZN9rocsparseL41csrmvn_lrb_medium_rows_warp_reduce_kernelILj256ELj32EiiDF16_DF16_ffEEvbT1_lPT2_S3_jNS_24const_host_device_scalarIT6_EEPKS1_PKS2_PKT3_PKT4_S6_PT5_21rocsparse_index_base_b,comdat
.Lfunc_end118:
	.size	_ZN9rocsparseL41csrmvn_lrb_medium_rows_warp_reduce_kernelILj256ELj32EiiDF16_DF16_ffEEvbT1_lPT2_S3_jNS_24const_host_device_scalarIT6_EEPKS1_PKS2_PKT3_PKT4_S6_PT5_21rocsparse_index_base_b, .Lfunc_end118-_ZN9rocsparseL41csrmvn_lrb_medium_rows_warp_reduce_kernelILj256ELj32EiiDF16_DF16_ffEEvbT1_lPT2_S3_jNS_24const_host_device_scalarIT6_EEPKS1_PKS2_PKT3_PKT4_S6_PT5_21rocsparse_index_base_b
                                        ; -- End function
	.set _ZN9rocsparseL41csrmvn_lrb_medium_rows_warp_reduce_kernelILj256ELj32EiiDF16_DF16_ffEEvbT1_lPT2_S3_jNS_24const_host_device_scalarIT6_EEPKS1_PKS2_PKT3_PKT4_S6_PT5_21rocsparse_index_base_b.num_vgpr, 8
	.set _ZN9rocsparseL41csrmvn_lrb_medium_rows_warp_reduce_kernelILj256ELj32EiiDF16_DF16_ffEEvbT1_lPT2_S3_jNS_24const_host_device_scalarIT6_EEPKS1_PKS2_PKT3_PKT4_S6_PT5_21rocsparse_index_base_b.num_agpr, 0
	.set _ZN9rocsparseL41csrmvn_lrb_medium_rows_warp_reduce_kernelILj256ELj32EiiDF16_DF16_ffEEvbT1_lPT2_S3_jNS_24const_host_device_scalarIT6_EEPKS1_PKS2_PKT3_PKT4_S6_PT5_21rocsparse_index_base_b.numbered_sgpr, 14
	.set _ZN9rocsparseL41csrmvn_lrb_medium_rows_warp_reduce_kernelILj256ELj32EiiDF16_DF16_ffEEvbT1_lPT2_S3_jNS_24const_host_device_scalarIT6_EEPKS1_PKS2_PKT3_PKT4_S6_PT5_21rocsparse_index_base_b.num_named_barrier, 0
	.set _ZN9rocsparseL41csrmvn_lrb_medium_rows_warp_reduce_kernelILj256ELj32EiiDF16_DF16_ffEEvbT1_lPT2_S3_jNS_24const_host_device_scalarIT6_EEPKS1_PKS2_PKT3_PKT4_S6_PT5_21rocsparse_index_base_b.private_seg_size, 0
	.set _ZN9rocsparseL41csrmvn_lrb_medium_rows_warp_reduce_kernelILj256ELj32EiiDF16_DF16_ffEEvbT1_lPT2_S3_jNS_24const_host_device_scalarIT6_EEPKS1_PKS2_PKT3_PKT4_S6_PT5_21rocsparse_index_base_b.uses_vcc, 1
	.set _ZN9rocsparseL41csrmvn_lrb_medium_rows_warp_reduce_kernelILj256ELj32EiiDF16_DF16_ffEEvbT1_lPT2_S3_jNS_24const_host_device_scalarIT6_EEPKS1_PKS2_PKT3_PKT4_S6_PT5_21rocsparse_index_base_b.uses_flat_scratch, 0
	.set _ZN9rocsparseL41csrmvn_lrb_medium_rows_warp_reduce_kernelILj256ELj32EiiDF16_DF16_ffEEvbT1_lPT2_S3_jNS_24const_host_device_scalarIT6_EEPKS1_PKS2_PKT3_PKT4_S6_PT5_21rocsparse_index_base_b.has_dyn_sized_stack, 0
	.set _ZN9rocsparseL41csrmvn_lrb_medium_rows_warp_reduce_kernelILj256ELj32EiiDF16_DF16_ffEEvbT1_lPT2_S3_jNS_24const_host_device_scalarIT6_EEPKS1_PKS2_PKT3_PKT4_S6_PT5_21rocsparse_index_base_b.has_recursion, 0
	.set _ZN9rocsparseL41csrmvn_lrb_medium_rows_warp_reduce_kernelILj256ELj32EiiDF16_DF16_ffEEvbT1_lPT2_S3_jNS_24const_host_device_scalarIT6_EEPKS1_PKS2_PKT3_PKT4_S6_PT5_21rocsparse_index_base_b.has_indirect_call, 0
	.section	.AMDGPU.csdata,"",@progbits
; Kernel info:
; codeLenInByte = 764
; TotalNumSgprs: 16
; NumVgprs: 8
; ScratchSize: 0
; MemoryBound: 0
; FloatMode: 240
; IeeeMode: 1
; LDSByteSize: 0 bytes/workgroup (compile time only)
; SGPRBlocks: 0
; VGPRBlocks: 0
; NumSGPRsForWavesPerEU: 16
; NumVGPRsForWavesPerEU: 8
; NamedBarCnt: 0
; Occupancy: 16
; WaveLimiterHint : 1
; COMPUTE_PGM_RSRC2:SCRATCH_EN: 0
; COMPUTE_PGM_RSRC2:USER_SGPR: 2
; COMPUTE_PGM_RSRC2:TRAP_HANDLER: 0
; COMPUTE_PGM_RSRC2:TGID_X_EN: 1
; COMPUTE_PGM_RSRC2:TGID_Y_EN: 0
; COMPUTE_PGM_RSRC2:TGID_Z_EN: 0
; COMPUTE_PGM_RSRC2:TIDIG_COMP_CNT: 0
	.section	.text._ZN9rocsparseL41csrmvn_lrb_medium_rows_warp_reduce_kernelILj256ELj64EiiDF16_DF16_ffEEvbT1_lPT2_S3_jNS_24const_host_device_scalarIT6_EEPKS1_PKS2_PKT3_PKT4_S6_PT5_21rocsparse_index_base_b,"axG",@progbits,_ZN9rocsparseL41csrmvn_lrb_medium_rows_warp_reduce_kernelILj256ELj64EiiDF16_DF16_ffEEvbT1_lPT2_S3_jNS_24const_host_device_scalarIT6_EEPKS1_PKS2_PKT3_PKT4_S6_PT5_21rocsparse_index_base_b,comdat
	.globl	_ZN9rocsparseL41csrmvn_lrb_medium_rows_warp_reduce_kernelILj256ELj64EiiDF16_DF16_ffEEvbT1_lPT2_S3_jNS_24const_host_device_scalarIT6_EEPKS1_PKS2_PKT3_PKT4_S6_PT5_21rocsparse_index_base_b ; -- Begin function _ZN9rocsparseL41csrmvn_lrb_medium_rows_warp_reduce_kernelILj256ELj64EiiDF16_DF16_ffEEvbT1_lPT2_S3_jNS_24const_host_device_scalarIT6_EEPKS1_PKS2_PKT3_PKT4_S6_PT5_21rocsparse_index_base_b
	.p2align	8
	.type	_ZN9rocsparseL41csrmvn_lrb_medium_rows_warp_reduce_kernelILj256ELj64EiiDF16_DF16_ffEEvbT1_lPT2_S3_jNS_24const_host_device_scalarIT6_EEPKS1_PKS2_PKT3_PKT4_S6_PT5_21rocsparse_index_base_b,@function
_ZN9rocsparseL41csrmvn_lrb_medium_rows_warp_reduce_kernelILj256ELj64EiiDF16_DF16_ffEEvbT1_lPT2_S3_jNS_24const_host_device_scalarIT6_EEPKS1_PKS2_PKT3_PKT4_S6_PT5_21rocsparse_index_base_b: ; @_ZN9rocsparseL41csrmvn_lrb_medium_rows_warp_reduce_kernelILj256ELj64EiiDF16_DF16_ffEEvbT1_lPT2_S3_jNS_24const_host_device_scalarIT6_EEPKS1_PKS2_PKT3_PKT4_S6_PT5_21rocsparse_index_base_b
; %bb.0:
	s_clause 0x2
	s_load_b64 s[8:9], s[0:1], 0x60
	s_load_b64 s[10:11], s[0:1], 0x28
	;; [unrolled: 1-line block ×3, first 2 shown]
	s_wait_kmcnt 0x0
	s_bitcmp1_b32 s9, 0
	s_cselect_b32 s4, -1, 0
	s_delay_alu instid0(SALU_CYCLE_1)
	s_and_b32 vcc_lo, exec_lo, s4
	s_xor_b32 s4, s4, -1
	s_cbranch_vccnz .LBB119_2
; %bb.1:
	s_load_b32 s10, s[10:11], 0x0
.LBB119_2:
	s_and_not1_b32 vcc_lo, exec_lo, s4
	s_cbranch_vccnz .LBB119_4
; %bb.3:
	s_load_b32 s2, s[2:3], 0x0
.LBB119_4:
	s_wait_kmcnt 0x0
	s_cmp_neq_f32 s10, 0
	s_cselect_b32 s3, -1, 0
	s_cmp_neq_f32 s2, 1.0
	s_cselect_b32 s4, -1, 0
	s_delay_alu instid0(SALU_CYCLE_1) | instskip(NEXT) | instid1(SALU_CYCLE_1)
	s_or_b32 s3, s3, s4
	s_and_not1_b32 vcc_lo, exec_lo, s3
	s_cbranch_vccnz .LBB119_14
; %bb.5:
	s_bfe_u32 s3, ttmp6, 0x4000c
	s_load_b64 s[4:5], s[0:1], 0x8
	s_add_co_i32 s3, s3, 1
	s_and_b32 s6, ttmp6, 15
	s_mul_i32 s3, ttmp9, s3
	s_getreg_b32 s7, hwreg(HW_REG_IB_STS2, 6, 4)
	v_lshrrev_b32_e32 v1, 6, v0
	s_add_co_i32 s6, s6, s3
	s_cmp_eq_u32 s7, 0
	s_cselect_b32 s3, ttmp9, s6
	s_delay_alu instid0(VALU_DEP_1) | instid1(SALU_CYCLE_1)
	v_lshl_or_b32 v2, s3, 2, v1
	s_mov_b32 s3, exec_lo
	s_delay_alu instid0(VALU_DEP_1) | instskip(SKIP_1) | instid1(VALU_DEP_1)
	v_ashrrev_i32_e32 v3, 31, v2
	s_wait_kmcnt 0x0
	v_cmpx_gt_i64_e64 s[4:5], v[2:3]
	s_cbranch_execz .LBB119_14
; %bb.6:
	s_clause 0x1
	s_load_b128 s[4:7], s[0:1], 0x10
	s_load_b32 s3, s[0:1], 0x20
	s_wait_kmcnt 0x0
	s_load_b32 s3, s[6:7], s3 offset:0x0 scale_offset
	s_wait_kmcnt 0x0
	v_add_nc_u32_e32 v1, s3, v2
	s_mov_b32 s3, exec_lo
	global_load_b32 v2, v1, s[4:5] scale_offset
	s_wait_xcnt 0x0
	s_load_b64 s[4:5], s[0:1], 0x30
	s_wait_loadcnt 0x0
	v_ashrrev_i32_e32 v3, 31, v2
	s_wait_kmcnt 0x0
	s_delay_alu instid0(VALU_DEP_1) | instskip(SKIP_2) | instid1(VALU_DEP_1)
	v_lshl_add_u64 v[4:5], v[2:3], 2, s[4:5]
	global_load_b64 v[6:7], v[4:5], off
	v_and_b32_e32 v0, 63, v0
	v_subrev_nc_u32_e32 v1, s8, v0
	s_wait_loadcnt 0x0
	v_subrev_nc_u32_e32 v4, s8, v7
	s_delay_alu instid0(VALU_DEP_2) | instskip(NEXT) | instid1(VALU_DEP_1)
	v_dual_add_nc_u32 v5, v6, v1 :: v_dual_mov_b32 v1, 0
	v_cmpx_lt_i32_e64 v5, v4
	s_cbranch_execz .LBB119_10
; %bb.7:
	s_clause 0x1
	s_load_b128 s[4:7], s[0:1], 0x38
	s_load_b64 s[12:13], s[0:1], 0x48
	v_mov_b32_e32 v1, 0
	s_mov_b32 s9, 0
.LBB119_8:                              ; =>This Inner Loop Header: Depth=1
	s_wait_kmcnt 0x0
	s_clause 0x1
	global_load_b32 v6, v5, s[4:5] scale_offset
	global_load_u16 v7, v5, s[6:7] scale_offset
	s_wait_loadcnt 0x1
	v_subrev_nc_u32_e32 v6, s8, v6
	s_wait_loadcnt 0x0
	v_cvt_f32_f16_e32 v7, v7
	v_add_nc_u32_e32 v5, 64, v5
	global_load_u16 v6, v6, s[12:13] scale_offset
	v_mul_f32_e32 v7, s10, v7
	v_cmp_ge_i32_e32 vcc_lo, v5, v4
	s_or_b32 s9, vcc_lo, s9
	s_wait_loadcnt 0x0
	s_delay_alu instid0(VALU_DEP_2)
	v_fma_mix_f32 v1, v7, v6, v1 op_sel_hi:[0,1,0]
	s_and_not1_b32 exec_lo, exec_lo, s9
	s_cbranch_execnz .LBB119_8
; %bb.9:
	s_or_b32 exec_lo, exec_lo, s9
.LBB119_10:
	s_delay_alu instid0(SALU_CYCLE_1) | instskip(SKIP_2) | instid1(VALU_DEP_1)
	s_or_b32 exec_lo, exec_lo, s3
	v_mbcnt_lo_u32_b32 v4, -1, 0
	s_load_b64 s[0:1], s[0:1], 0x58
	v_xor_b32_e32 v6, 16, v4
	v_or_b32_e32 v5, 32, v4
	s_delay_alu instid0(VALU_DEP_1) | instskip(SKIP_1) | instid1(VALU_DEP_4)
	v_cmp_gt_i32_e32 vcc_lo, 32, v5
	v_cndmask_b32_e32 v5, v4, v5, vcc_lo
	v_cmp_gt_i32_e32 vcc_lo, 32, v6
	v_cndmask_b32_e32 v6, v4, v6, vcc_lo
	s_delay_alu instid0(VALU_DEP_1)
	v_dual_lshlrev_b32 v6, 2, v6 :: v_dual_lshlrev_b32 v5, 2, v5
	ds_bpermute_b32 v5, v5, v1
	s_wait_dscnt 0x0
	v_add_f32_e32 v1, v1, v5
	ds_bpermute_b32 v5, v6, v1
	v_xor_b32_e32 v6, 8, v4
	s_delay_alu instid0(VALU_DEP_1) | instskip(SKIP_2) | instid1(VALU_DEP_1)
	v_cmp_gt_i32_e32 vcc_lo, 32, v6
	s_wait_dscnt 0x0
	v_dual_cndmask_b32 v6, v4, v6 :: v_dual_add_f32 v1, v1, v5
	v_lshlrev_b32_e32 v6, 2, v6
	ds_bpermute_b32 v5, v6, v1
	s_wait_dscnt 0x0
	v_dual_add_f32 v1, v1, v5 :: v_dual_bitop2_b32 v6, 4, v4 bitop3:0x14
	s_delay_alu instid0(VALU_DEP_1) | instskip(SKIP_1) | instid1(VALU_DEP_1)
	v_cmp_gt_i32_e32 vcc_lo, 32, v6
	v_cndmask_b32_e32 v6, v4, v6, vcc_lo
	v_lshlrev_b32_e32 v6, 2, v6
	ds_bpermute_b32 v5, v6, v1
	v_xor_b32_e32 v6, 2, v4
	s_delay_alu instid0(VALU_DEP_1) | instskip(SKIP_2) | instid1(VALU_DEP_1)
	v_cmp_gt_i32_e32 vcc_lo, 32, v6
	v_cndmask_b32_e32 v6, v4, v6, vcc_lo
	s_wait_dscnt 0x0
	v_dual_add_f32 v1, v1, v5 :: v_dual_lshlrev_b32 v6, 2, v6
	ds_bpermute_b32 v5, v6, v1
	v_xor_b32_e32 v6, 1, v4
	s_delay_alu instid0(VALU_DEP_1) | instskip(SKIP_3) | instid1(VALU_DEP_2)
	v_cmp_gt_i32_e32 vcc_lo, 32, v6
	v_cndmask_b32_e32 v4, v4, v6, vcc_lo
	v_cmp_eq_u32_e32 vcc_lo, 63, v0
	s_wait_dscnt 0x0
	v_dual_add_f32 v1, v1, v5 :: v_dual_lshlrev_b32 v4, 2, v4
	ds_bpermute_b32 v4, v4, v1
	s_and_b32 exec_lo, exec_lo, vcc_lo
	s_cbranch_execz .LBB119_14
; %bb.11:
	s_wait_dscnt 0x0
	v_add_f32_e32 v4, v1, v4
	s_wait_kmcnt 0x0
	v_lshl_add_u64 v[0:1], v[2:3], 2, s[0:1]
	s_cmp_eq_f32 s2, 0
	s_cbranch_scc1 .LBB119_13
; %bb.12:
	global_load_b32 v2, v[0:1], off
	s_wait_loadcnt 0x0
	v_fmac_f32_e32 v4, s2, v2
.LBB119_13:
	global_store_b32 v[0:1], v4, off
.LBB119_14:
	s_endpgm
	.section	.rodata,"a",@progbits
	.p2align	6, 0x0
	.amdhsa_kernel _ZN9rocsparseL41csrmvn_lrb_medium_rows_warp_reduce_kernelILj256ELj64EiiDF16_DF16_ffEEvbT1_lPT2_S3_jNS_24const_host_device_scalarIT6_EEPKS1_PKS2_PKT3_PKT4_S6_PT5_21rocsparse_index_base_b
		.amdhsa_group_segment_fixed_size 0
		.amdhsa_private_segment_fixed_size 0
		.amdhsa_kernarg_size 104
		.amdhsa_user_sgpr_count 2
		.amdhsa_user_sgpr_dispatch_ptr 0
		.amdhsa_user_sgpr_queue_ptr 0
		.amdhsa_user_sgpr_kernarg_segment_ptr 1
		.amdhsa_user_sgpr_dispatch_id 0
		.amdhsa_user_sgpr_kernarg_preload_length 0
		.amdhsa_user_sgpr_kernarg_preload_offset 0
		.amdhsa_user_sgpr_private_segment_size 0
		.amdhsa_wavefront_size32 1
		.amdhsa_uses_dynamic_stack 0
		.amdhsa_enable_private_segment 0
		.amdhsa_system_sgpr_workgroup_id_x 1
		.amdhsa_system_sgpr_workgroup_id_y 0
		.amdhsa_system_sgpr_workgroup_id_z 0
		.amdhsa_system_sgpr_workgroup_info 0
		.amdhsa_system_vgpr_workitem_id 0
		.amdhsa_next_free_vgpr 8
		.amdhsa_next_free_sgpr 14
		.amdhsa_named_barrier_count 0
		.amdhsa_reserve_vcc 1
		.amdhsa_float_round_mode_32 0
		.amdhsa_float_round_mode_16_64 0
		.amdhsa_float_denorm_mode_32 3
		.amdhsa_float_denorm_mode_16_64 3
		.amdhsa_fp16_overflow 0
		.amdhsa_memory_ordered 1
		.amdhsa_forward_progress 1
		.amdhsa_inst_pref_size 7
		.amdhsa_round_robin_scheduling 0
		.amdhsa_exception_fp_ieee_invalid_op 0
		.amdhsa_exception_fp_denorm_src 0
		.amdhsa_exception_fp_ieee_div_zero 0
		.amdhsa_exception_fp_ieee_overflow 0
		.amdhsa_exception_fp_ieee_underflow 0
		.amdhsa_exception_fp_ieee_inexact 0
		.amdhsa_exception_int_div_zero 0
	.end_amdhsa_kernel
	.section	.text._ZN9rocsparseL41csrmvn_lrb_medium_rows_warp_reduce_kernelILj256ELj64EiiDF16_DF16_ffEEvbT1_lPT2_S3_jNS_24const_host_device_scalarIT6_EEPKS1_PKS2_PKT3_PKT4_S6_PT5_21rocsparse_index_base_b,"axG",@progbits,_ZN9rocsparseL41csrmvn_lrb_medium_rows_warp_reduce_kernelILj256ELj64EiiDF16_DF16_ffEEvbT1_lPT2_S3_jNS_24const_host_device_scalarIT6_EEPKS1_PKS2_PKT3_PKT4_S6_PT5_21rocsparse_index_base_b,comdat
.Lfunc_end119:
	.size	_ZN9rocsparseL41csrmvn_lrb_medium_rows_warp_reduce_kernelILj256ELj64EiiDF16_DF16_ffEEvbT1_lPT2_S3_jNS_24const_host_device_scalarIT6_EEPKS1_PKS2_PKT3_PKT4_S6_PT5_21rocsparse_index_base_b, .Lfunc_end119-_ZN9rocsparseL41csrmvn_lrb_medium_rows_warp_reduce_kernelILj256ELj64EiiDF16_DF16_ffEEvbT1_lPT2_S3_jNS_24const_host_device_scalarIT6_EEPKS1_PKS2_PKT3_PKT4_S6_PT5_21rocsparse_index_base_b
                                        ; -- End function
	.set _ZN9rocsparseL41csrmvn_lrb_medium_rows_warp_reduce_kernelILj256ELj64EiiDF16_DF16_ffEEvbT1_lPT2_S3_jNS_24const_host_device_scalarIT6_EEPKS1_PKS2_PKT3_PKT4_S6_PT5_21rocsparse_index_base_b.num_vgpr, 8
	.set _ZN9rocsparseL41csrmvn_lrb_medium_rows_warp_reduce_kernelILj256ELj64EiiDF16_DF16_ffEEvbT1_lPT2_S3_jNS_24const_host_device_scalarIT6_EEPKS1_PKS2_PKT3_PKT4_S6_PT5_21rocsparse_index_base_b.num_agpr, 0
	.set _ZN9rocsparseL41csrmvn_lrb_medium_rows_warp_reduce_kernelILj256ELj64EiiDF16_DF16_ffEEvbT1_lPT2_S3_jNS_24const_host_device_scalarIT6_EEPKS1_PKS2_PKT3_PKT4_S6_PT5_21rocsparse_index_base_b.numbered_sgpr, 14
	.set _ZN9rocsparseL41csrmvn_lrb_medium_rows_warp_reduce_kernelILj256ELj64EiiDF16_DF16_ffEEvbT1_lPT2_S3_jNS_24const_host_device_scalarIT6_EEPKS1_PKS2_PKT3_PKT4_S6_PT5_21rocsparse_index_base_b.num_named_barrier, 0
	.set _ZN9rocsparseL41csrmvn_lrb_medium_rows_warp_reduce_kernelILj256ELj64EiiDF16_DF16_ffEEvbT1_lPT2_S3_jNS_24const_host_device_scalarIT6_EEPKS1_PKS2_PKT3_PKT4_S6_PT5_21rocsparse_index_base_b.private_seg_size, 0
	.set _ZN9rocsparseL41csrmvn_lrb_medium_rows_warp_reduce_kernelILj256ELj64EiiDF16_DF16_ffEEvbT1_lPT2_S3_jNS_24const_host_device_scalarIT6_EEPKS1_PKS2_PKT3_PKT4_S6_PT5_21rocsparse_index_base_b.uses_vcc, 1
	.set _ZN9rocsparseL41csrmvn_lrb_medium_rows_warp_reduce_kernelILj256ELj64EiiDF16_DF16_ffEEvbT1_lPT2_S3_jNS_24const_host_device_scalarIT6_EEPKS1_PKS2_PKT3_PKT4_S6_PT5_21rocsparse_index_base_b.uses_flat_scratch, 0
	.set _ZN9rocsparseL41csrmvn_lrb_medium_rows_warp_reduce_kernelILj256ELj64EiiDF16_DF16_ffEEvbT1_lPT2_S3_jNS_24const_host_device_scalarIT6_EEPKS1_PKS2_PKT3_PKT4_S6_PT5_21rocsparse_index_base_b.has_dyn_sized_stack, 0
	.set _ZN9rocsparseL41csrmvn_lrb_medium_rows_warp_reduce_kernelILj256ELj64EiiDF16_DF16_ffEEvbT1_lPT2_S3_jNS_24const_host_device_scalarIT6_EEPKS1_PKS2_PKT3_PKT4_S6_PT5_21rocsparse_index_base_b.has_recursion, 0
	.set _ZN9rocsparseL41csrmvn_lrb_medium_rows_warp_reduce_kernelILj256ELj64EiiDF16_DF16_ffEEvbT1_lPT2_S3_jNS_24const_host_device_scalarIT6_EEPKS1_PKS2_PKT3_PKT4_S6_PT5_21rocsparse_index_base_b.has_indirect_call, 0
	.section	.AMDGPU.csdata,"",@progbits
; Kernel info:
; codeLenInByte = 800
; TotalNumSgprs: 16
; NumVgprs: 8
; ScratchSize: 0
; MemoryBound: 0
; FloatMode: 240
; IeeeMode: 1
; LDSByteSize: 0 bytes/workgroup (compile time only)
; SGPRBlocks: 0
; VGPRBlocks: 0
; NumSGPRsForWavesPerEU: 16
; NumVGPRsForWavesPerEU: 8
; NamedBarCnt: 0
; Occupancy: 16
; WaveLimiterHint : 1
; COMPUTE_PGM_RSRC2:SCRATCH_EN: 0
; COMPUTE_PGM_RSRC2:USER_SGPR: 2
; COMPUTE_PGM_RSRC2:TRAP_HANDLER: 0
; COMPUTE_PGM_RSRC2:TGID_X_EN: 1
; COMPUTE_PGM_RSRC2:TGID_Y_EN: 0
; COMPUTE_PGM_RSRC2:TGID_Z_EN: 0
; COMPUTE_PGM_RSRC2:TIDIG_COMP_CNT: 0
	.section	.text._ZN9rocsparseL29csrmvn_lrb_medium_rows_kernelILj256EiiDF16_DF16_ffEEvbT0_PT1_S3_jNS_24const_host_device_scalarIT5_EEPKS1_PKS2_PKT2_PKT3_S6_PT4_21rocsparse_index_base_b,"axG",@progbits,_ZN9rocsparseL29csrmvn_lrb_medium_rows_kernelILj256EiiDF16_DF16_ffEEvbT0_PT1_S3_jNS_24const_host_device_scalarIT5_EEPKS1_PKS2_PKT2_PKT3_S6_PT4_21rocsparse_index_base_b,comdat
	.globl	_ZN9rocsparseL29csrmvn_lrb_medium_rows_kernelILj256EiiDF16_DF16_ffEEvbT0_PT1_S3_jNS_24const_host_device_scalarIT5_EEPKS1_PKS2_PKT2_PKT3_S6_PT4_21rocsparse_index_base_b ; -- Begin function _ZN9rocsparseL29csrmvn_lrb_medium_rows_kernelILj256EiiDF16_DF16_ffEEvbT0_PT1_S3_jNS_24const_host_device_scalarIT5_EEPKS1_PKS2_PKT2_PKT3_S6_PT4_21rocsparse_index_base_b
	.p2align	8
	.type	_ZN9rocsparseL29csrmvn_lrb_medium_rows_kernelILj256EiiDF16_DF16_ffEEvbT0_PT1_S3_jNS_24const_host_device_scalarIT5_EEPKS1_PKS2_PKT2_PKT3_S6_PT4_21rocsparse_index_base_b,@function
_ZN9rocsparseL29csrmvn_lrb_medium_rows_kernelILj256EiiDF16_DF16_ffEEvbT0_PT1_S3_jNS_24const_host_device_scalarIT5_EEPKS1_PKS2_PKT2_PKT3_S6_PT4_21rocsparse_index_base_b: ; @_ZN9rocsparseL29csrmvn_lrb_medium_rows_kernelILj256EiiDF16_DF16_ffEEvbT0_PT1_S3_jNS_24const_host_device_scalarIT5_EEPKS1_PKS2_PKT2_PKT3_S6_PT4_21rocsparse_index_base_b
; %bb.0:
	s_clause 0x2
	s_load_b64 s[10:11], s[0:1], 0x58
	s_load_b64 s[12:13], s[0:1], 0x20
	;; [unrolled: 1-line block ×3, first 2 shown]
	s_wait_kmcnt 0x0
	s_bitcmp1_b32 s11, 0
	s_cselect_b32 s4, -1, 0
	s_delay_alu instid0(SALU_CYCLE_1)
	s_and_b32 vcc_lo, exec_lo, s4
	s_xor_b32 s4, s4, -1
	s_cbranch_vccnz .LBB120_2
; %bb.1:
	s_load_b32 s12, s[12:13], 0x0
.LBB120_2:
	s_and_not1_b32 vcc_lo, exec_lo, s4
	s_cbranch_vccnz .LBB120_4
; %bb.3:
	s_load_b32 s2, s[2:3], 0x0
.LBB120_4:
	s_wait_kmcnt 0x0
	s_cmp_neq_f32 s12, 0
	s_cselect_b32 s3, -1, 0
	s_cmp_neq_f32 s2, 1.0
	s_cselect_b32 s4, -1, 0
	s_delay_alu instid0(SALU_CYCLE_1) | instskip(NEXT) | instid1(SALU_CYCLE_1)
	s_or_b32 s3, s3, s4
	s_and_not1_b32 vcc_lo, exec_lo, s3
	s_cbranch_vccnz .LBB120_29
; %bb.5:
	s_clause 0x1
	s_load_b128 s[4:7], s[0:1], 0x8
	s_load_b32 s3, s[0:1], 0x18
	s_getreg_b32 s8, hwreg(HW_REG_IB_STS2, 6, 4)
	v_subrev_nc_u32_e32 v1, s10, v0
	v_mov_b32_e32 v2, 0
	s_wait_kmcnt 0x0
	s_load_b32 s3, s[6:7], s3 offset:0x0 scale_offset
	s_wait_xcnt 0x0
	s_bfe_u32 s6, ttmp6, 0x4000c
	s_and_b32 s7, ttmp6, 15
	s_add_co_i32 s6, s6, 1
	s_delay_alu instid0(SALU_CYCLE_1) | instskip(NEXT) | instid1(SALU_CYCLE_1)
	s_mul_i32 s6, ttmp9, s6
	s_add_co_i32 s7, s7, s6
	s_cmp_eq_u32 s8, 0
	s_cselect_b32 s6, ttmp9, s7
	s_wait_kmcnt 0x0
	s_add_co_i32 s6, s3, s6
	s_mov_b32 s3, exec_lo
	s_ashr_i32 s7, s6, 31
	s_delay_alu instid0(SALU_CYCLE_1) | instskip(NEXT) | instid1(SALU_CYCLE_1)
	s_lshl_b64 s[6:7], s[6:7], 2
	s_add_nc_u64 s[4:5], s[4:5], s[6:7]
	s_load_b32 s6, s[4:5], 0x0
	s_load_b64 s[14:15], s[0:1], 0x28
	s_wait_kmcnt 0x0
	s_ashr_i32 s7, s6, 31
	s_delay_alu instid0(SALU_CYCLE_1) | instskip(NEXT) | instid1(SALU_CYCLE_1)
	s_lshl_b64 s[8:9], s[6:7], 2
	s_add_nc_u64 s[4:5], s[14:15], s[8:9]
	s_load_b64 s[6:7], s[4:5], 0x0
	s_wait_kmcnt 0x0
	v_add_nc_u32_e32 v1, s6, v1
	s_sub_co_i32 s11, s7, s10
	s_delay_alu instid0(VALU_DEP_1) | instid1(SALU_CYCLE_1)
	v_cmpx_gt_i32_e64 s11, v1
	s_cbranch_execz .LBB120_9
; %bb.6:
	s_clause 0x1
	s_load_b128 s[4:7], s[0:1], 0x30
	s_load_b64 s[14:15], s[0:1], 0x40
	v_mov_b32_e32 v2, 0
	s_mov_b32 s13, 0
.LBB120_7:                              ; =>This Inner Loop Header: Depth=1
	s_wait_kmcnt 0x0
	s_clause 0x1
	global_load_b32 v3, v1, s[4:5] scale_offset
	global_load_u16 v4, v1, s[6:7] scale_offset
	s_wait_loadcnt 0x1
	v_subrev_nc_u32_e32 v3, s10, v3
	s_wait_loadcnt 0x0
	v_cvt_f32_f16_e32 v4, v4
	v_add_nc_u32_e32 v1, 0x100, v1
	global_load_u16 v3, v3, s[14:15] scale_offset
	v_mul_f32_e32 v4, s12, v4
	v_cmp_le_i32_e32 vcc_lo, s11, v1
	s_or_b32 s13, vcc_lo, s13
	s_wait_loadcnt 0x0
	s_delay_alu instid0(VALU_DEP_2)
	v_fma_mix_f32 v2, v4, v3, v2 op_sel_hi:[0,1,0]
	s_and_not1_b32 exec_lo, exec_lo, s13
	s_cbranch_execnz .LBB120_7
; %bb.8:
	s_or_b32 exec_lo, exec_lo, s13
.LBB120_9:
	s_delay_alu instid0(SALU_CYCLE_1)
	s_or_b32 exec_lo, exec_lo, s3
	s_load_b64 s[0:1], s[0:1], 0x50
	v_lshlrev_b32_e32 v1, 2, v0
	s_mov_b32 s3, exec_lo
	ds_store_b32 v1, v2
	s_wait_dscnt 0x0
	s_barrier_signal -1
	s_barrier_wait -1
	v_cmpx_gt_u32_e32 0x80, v0
	s_cbranch_execz .LBB120_11
; %bb.10:
	ds_load_2addr_stride64_b32 v[2:3], v1 offset1:2
	s_wait_dscnt 0x0
	v_add_f32_e32 v2, v2, v3
	ds_store_b32 v1, v2
.LBB120_11:
	s_or_b32 exec_lo, exec_lo, s3
	s_delay_alu instid0(SALU_CYCLE_1)
	s_mov_b32 s3, exec_lo
	s_wait_dscnt 0x0
	s_barrier_signal -1
	s_barrier_wait -1
	v_cmpx_gt_u32_e32 64, v0
	s_cbranch_execz .LBB120_13
; %bb.12:
	ds_load_2addr_stride64_b32 v[2:3], v1 offset1:1
	s_wait_dscnt 0x0
	v_add_f32_e32 v2, v2, v3
	ds_store_b32 v1, v2
.LBB120_13:
	s_or_b32 exec_lo, exec_lo, s3
	s_delay_alu instid0(SALU_CYCLE_1)
	s_mov_b32 s3, exec_lo
	s_wait_dscnt 0x0
	s_barrier_signal -1
	s_barrier_wait -1
	v_cmpx_gt_u32_e32 32, v0
	s_cbranch_execz .LBB120_15
; %bb.14:
	ds_load_2addr_b32 v[2:3], v1 offset1:32
	s_wait_dscnt 0x0
	v_add_f32_e32 v2, v2, v3
	ds_store_b32 v1, v2
.LBB120_15:
	s_or_b32 exec_lo, exec_lo, s3
	s_delay_alu instid0(SALU_CYCLE_1)
	s_mov_b32 s3, exec_lo
	s_wait_dscnt 0x0
	s_barrier_signal -1
	s_barrier_wait -1
	v_cmpx_gt_u32_e32 16, v0
	s_cbranch_execz .LBB120_17
; %bb.16:
	ds_load_2addr_b32 v[2:3], v1 offset1:16
	s_wait_dscnt 0x0
	v_add_f32_e32 v2, v2, v3
	ds_store_b32 v1, v2
.LBB120_17:
	;; [unrolled: 14-line block ×5, first 2 shown]
	s_or_b32 exec_lo, exec_lo, s3
	v_cmp_eq_u32_e32 vcc_lo, 0, v0
	s_wait_dscnt 0x0
	s_barrier_signal -1
	s_barrier_wait -1
	s_and_saveexec_b32 s3, vcc_lo
	s_cbranch_execz .LBB120_25
; %bb.24:
	v_mov_b32_e32 v2, 0
	ds_load_b64 v[0:1], v2
	s_wait_dscnt 0x0
	v_add_f32_e32 v0, v0, v1
	ds_store_b32 v2, v0
.LBB120_25:
	s_or_b32 exec_lo, exec_lo, s3
	s_wait_dscnt 0x0
	s_barrier_signal -1
	s_barrier_wait -1
	s_and_saveexec_b32 s3, vcc_lo
	s_cbranch_execz .LBB120_29
; %bb.26:
	v_mov_b32_e32 v0, 0
	s_cmp_eq_f32 s2, 0
	ds_load_b32 v1, v0
	s_cbranch_scc1 .LBB120_28
; %bb.27:
	s_wait_kmcnt 0x0
	s_add_nc_u64 s[4:5], s[0:1], s[8:9]
	s_load_b32 s3, s[4:5], 0x0
	s_wait_dscnt 0x0
	s_wait_kmcnt 0x0
	v_fmac_f32_e64 v1, s2, s3
.LBB120_28:
	s_wait_kmcnt 0x0
	s_add_nc_u64 s[0:1], s[0:1], s[8:9]
	s_wait_dscnt 0x0
	global_store_b32 v0, v1, s[0:1]
.LBB120_29:
	s_endpgm
	.section	.rodata,"a",@progbits
	.p2align	6, 0x0
	.amdhsa_kernel _ZN9rocsparseL29csrmvn_lrb_medium_rows_kernelILj256EiiDF16_DF16_ffEEvbT0_PT1_S3_jNS_24const_host_device_scalarIT5_EEPKS1_PKS2_PKT2_PKT3_S6_PT4_21rocsparse_index_base_b
		.amdhsa_group_segment_fixed_size 1024
		.amdhsa_private_segment_fixed_size 0
		.amdhsa_kernarg_size 96
		.amdhsa_user_sgpr_count 2
		.amdhsa_user_sgpr_dispatch_ptr 0
		.amdhsa_user_sgpr_queue_ptr 0
		.amdhsa_user_sgpr_kernarg_segment_ptr 1
		.amdhsa_user_sgpr_dispatch_id 0
		.amdhsa_user_sgpr_kernarg_preload_length 0
		.amdhsa_user_sgpr_kernarg_preload_offset 0
		.amdhsa_user_sgpr_private_segment_size 0
		.amdhsa_wavefront_size32 1
		.amdhsa_uses_dynamic_stack 0
		.amdhsa_enable_private_segment 0
		.amdhsa_system_sgpr_workgroup_id_x 1
		.amdhsa_system_sgpr_workgroup_id_y 0
		.amdhsa_system_sgpr_workgroup_id_z 0
		.amdhsa_system_sgpr_workgroup_info 0
		.amdhsa_system_vgpr_workitem_id 0
		.amdhsa_next_free_vgpr 5
		.amdhsa_next_free_sgpr 16
		.amdhsa_named_barrier_count 0
		.amdhsa_reserve_vcc 1
		.amdhsa_float_round_mode_32 0
		.amdhsa_float_round_mode_16_64 0
		.amdhsa_float_denorm_mode_32 3
		.amdhsa_float_denorm_mode_16_64 3
		.amdhsa_fp16_overflow 0
		.amdhsa_memory_ordered 1
		.amdhsa_forward_progress 1
		.amdhsa_inst_pref_size 8
		.amdhsa_round_robin_scheduling 0
		.amdhsa_exception_fp_ieee_invalid_op 0
		.amdhsa_exception_fp_denorm_src 0
		.amdhsa_exception_fp_ieee_div_zero 0
		.amdhsa_exception_fp_ieee_overflow 0
		.amdhsa_exception_fp_ieee_underflow 0
		.amdhsa_exception_fp_ieee_inexact 0
		.amdhsa_exception_int_div_zero 0
	.end_amdhsa_kernel
	.section	.text._ZN9rocsparseL29csrmvn_lrb_medium_rows_kernelILj256EiiDF16_DF16_ffEEvbT0_PT1_S3_jNS_24const_host_device_scalarIT5_EEPKS1_PKS2_PKT2_PKT3_S6_PT4_21rocsparse_index_base_b,"axG",@progbits,_ZN9rocsparseL29csrmvn_lrb_medium_rows_kernelILj256EiiDF16_DF16_ffEEvbT0_PT1_S3_jNS_24const_host_device_scalarIT5_EEPKS1_PKS2_PKT2_PKT3_S6_PT4_21rocsparse_index_base_b,comdat
.Lfunc_end120:
	.size	_ZN9rocsparseL29csrmvn_lrb_medium_rows_kernelILj256EiiDF16_DF16_ffEEvbT0_PT1_S3_jNS_24const_host_device_scalarIT5_EEPKS1_PKS2_PKT2_PKT3_S6_PT4_21rocsparse_index_base_b, .Lfunc_end120-_ZN9rocsparseL29csrmvn_lrb_medium_rows_kernelILj256EiiDF16_DF16_ffEEvbT0_PT1_S3_jNS_24const_host_device_scalarIT5_EEPKS1_PKS2_PKT2_PKT3_S6_PT4_21rocsparse_index_base_b
                                        ; -- End function
	.set _ZN9rocsparseL29csrmvn_lrb_medium_rows_kernelILj256EiiDF16_DF16_ffEEvbT0_PT1_S3_jNS_24const_host_device_scalarIT5_EEPKS1_PKS2_PKT2_PKT3_S6_PT4_21rocsparse_index_base_b.num_vgpr, 5
	.set _ZN9rocsparseL29csrmvn_lrb_medium_rows_kernelILj256EiiDF16_DF16_ffEEvbT0_PT1_S3_jNS_24const_host_device_scalarIT5_EEPKS1_PKS2_PKT2_PKT3_S6_PT4_21rocsparse_index_base_b.num_agpr, 0
	.set _ZN9rocsparseL29csrmvn_lrb_medium_rows_kernelILj256EiiDF16_DF16_ffEEvbT0_PT1_S3_jNS_24const_host_device_scalarIT5_EEPKS1_PKS2_PKT2_PKT3_S6_PT4_21rocsparse_index_base_b.numbered_sgpr, 16
	.set _ZN9rocsparseL29csrmvn_lrb_medium_rows_kernelILj256EiiDF16_DF16_ffEEvbT0_PT1_S3_jNS_24const_host_device_scalarIT5_EEPKS1_PKS2_PKT2_PKT3_S6_PT4_21rocsparse_index_base_b.num_named_barrier, 0
	.set _ZN9rocsparseL29csrmvn_lrb_medium_rows_kernelILj256EiiDF16_DF16_ffEEvbT0_PT1_S3_jNS_24const_host_device_scalarIT5_EEPKS1_PKS2_PKT2_PKT3_S6_PT4_21rocsparse_index_base_b.private_seg_size, 0
	.set _ZN9rocsparseL29csrmvn_lrb_medium_rows_kernelILj256EiiDF16_DF16_ffEEvbT0_PT1_S3_jNS_24const_host_device_scalarIT5_EEPKS1_PKS2_PKT2_PKT3_S6_PT4_21rocsparse_index_base_b.uses_vcc, 1
	.set _ZN9rocsparseL29csrmvn_lrb_medium_rows_kernelILj256EiiDF16_DF16_ffEEvbT0_PT1_S3_jNS_24const_host_device_scalarIT5_EEPKS1_PKS2_PKT2_PKT3_S6_PT4_21rocsparse_index_base_b.uses_flat_scratch, 0
	.set _ZN9rocsparseL29csrmvn_lrb_medium_rows_kernelILj256EiiDF16_DF16_ffEEvbT0_PT1_S3_jNS_24const_host_device_scalarIT5_EEPKS1_PKS2_PKT2_PKT3_S6_PT4_21rocsparse_index_base_b.has_dyn_sized_stack, 0
	.set _ZN9rocsparseL29csrmvn_lrb_medium_rows_kernelILj256EiiDF16_DF16_ffEEvbT0_PT1_S3_jNS_24const_host_device_scalarIT5_EEPKS1_PKS2_PKT2_PKT3_S6_PT4_21rocsparse_index_base_b.has_recursion, 0
	.set _ZN9rocsparseL29csrmvn_lrb_medium_rows_kernelILj256EiiDF16_DF16_ffEEvbT0_PT1_S3_jNS_24const_host_device_scalarIT5_EEPKS1_PKS2_PKT2_PKT3_S6_PT4_21rocsparse_index_base_b.has_indirect_call, 0
	.section	.AMDGPU.csdata,"",@progbits
; Kernel info:
; codeLenInByte = 1012
; TotalNumSgprs: 18
; NumVgprs: 5
; ScratchSize: 0
; MemoryBound: 0
; FloatMode: 240
; IeeeMode: 1
; LDSByteSize: 1024 bytes/workgroup (compile time only)
; SGPRBlocks: 0
; VGPRBlocks: 0
; NumSGPRsForWavesPerEU: 18
; NumVGPRsForWavesPerEU: 5
; NamedBarCnt: 0
; Occupancy: 16
; WaveLimiterHint : 1
; COMPUTE_PGM_RSRC2:SCRATCH_EN: 0
; COMPUTE_PGM_RSRC2:USER_SGPR: 2
; COMPUTE_PGM_RSRC2:TRAP_HANDLER: 0
; COMPUTE_PGM_RSRC2:TGID_X_EN: 1
; COMPUTE_PGM_RSRC2:TGID_Y_EN: 0
; COMPUTE_PGM_RSRC2:TGID_Z_EN: 0
; COMPUTE_PGM_RSRC2:TIDIG_COMP_CNT: 0
	.section	.text._ZN9rocsparseL27csrmvn_lrb_long_rows_kernelIiiDF16_DF16_ffEEvbT_PjPT0_S4_jNS_24const_host_device_scalarIT4_EEPKS1_PKS3_PKT1_PKT2_S7_PT3_21rocsparse_index_base_b,"axG",@progbits,_ZN9rocsparseL27csrmvn_lrb_long_rows_kernelIiiDF16_DF16_ffEEvbT_PjPT0_S4_jNS_24const_host_device_scalarIT4_EEPKS1_PKS3_PKT1_PKT2_S7_PT3_21rocsparse_index_base_b,comdat
	.globl	_ZN9rocsparseL27csrmvn_lrb_long_rows_kernelIiiDF16_DF16_ffEEvbT_PjPT0_S4_jNS_24const_host_device_scalarIT4_EEPKS1_PKS3_PKT1_PKT2_S7_PT3_21rocsparse_index_base_b ; -- Begin function _ZN9rocsparseL27csrmvn_lrb_long_rows_kernelIiiDF16_DF16_ffEEvbT_PjPT0_S4_jNS_24const_host_device_scalarIT4_EEPKS1_PKS3_PKT1_PKT2_S7_PT3_21rocsparse_index_base_b
	.p2align	8
	.type	_ZN9rocsparseL27csrmvn_lrb_long_rows_kernelIiiDF16_DF16_ffEEvbT_PjPT0_S4_jNS_24const_host_device_scalarIT4_EEPKS1_PKS3_PKT1_PKT2_S7_PT3_21rocsparse_index_base_b,@function
_ZN9rocsparseL27csrmvn_lrb_long_rows_kernelIiiDF16_DF16_ffEEvbT_PjPT0_S4_jNS_24const_host_device_scalarIT4_EEPKS1_PKS3_PKT1_PKT2_S7_PT3_21rocsparse_index_base_b: ; @_ZN9rocsparseL27csrmvn_lrb_long_rows_kernelIiiDF16_DF16_ffEEvbT_PjPT0_S4_jNS_24const_host_device_scalarIT4_EEPKS1_PKS3_PKT1_PKT2_S7_PT3_21rocsparse_index_base_b
; %bb.0:
	s_clause 0x2
	s_load_b64 s[16:17], s[0:1], 0x60
	s_load_b64 s[18:19], s[0:1], 0x28
	;; [unrolled: 1-line block ×3, first 2 shown]
	s_wait_kmcnt 0x0
	s_bitcmp1_b32 s17, 0
	s_cselect_b32 s2, -1, 0
	s_delay_alu instid0(SALU_CYCLE_1)
	s_and_b32 vcc_lo, exec_lo, s2
	s_xor_b32 s2, s2, -1
	s_cbranch_vccnz .LBB121_2
; %bb.1:
	s_load_b32 s18, s[18:19], 0x0
.LBB121_2:
	s_and_not1_b32 vcc_lo, exec_lo, s2
	s_cbranch_vccnz .LBB121_4
; %bb.3:
	s_load_b32 s8, s[8:9], 0x0
.LBB121_4:
	s_wait_kmcnt 0x0
	s_cmp_neq_f32 s18, 0
	s_cselect_b32 s2, -1, 0
	s_cmp_neq_f32 s8, 1.0
	s_cselect_b32 s3, -1, 0
	s_delay_alu instid0(SALU_CYCLE_1) | instskip(NEXT) | instid1(SALU_CYCLE_1)
	s_or_b32 s2, s2, s3
	s_and_not1_b32 vcc_lo, exec_lo, s2
	s_cbranch_vccnz .LBB121_38
; %bb.5:
	s_load_b96 s[4:6], s[0:1], 0x18
	s_bfe_u32 s10, ttmp6, 0x4000c
	s_and_b32 s7, ttmp6, 15
	s_add_co_i32 s10, s10, 1
	s_getreg_b32 s11, hwreg(HW_REG_IB_STS2, 6, 4)
	s_mul_i32 s10, ttmp9, s10
	v_mov_b32_e32 v2, 0
	s_add_co_i32 s7, s7, s10
	s_wait_kmcnt 0x0
	s_lshl_b32 s2, -1, s6
	s_load_b32 s10, s[4:5], s6 offset:0x0 scale_offset
	s_not_b32 s2, s2
	s_delay_alu instid0(SALU_CYCLE_1) | instskip(NEXT) | instid1(SALU_CYCLE_1)
	s_mul_hi_u32 s2, s2, 0x2aaaaaab
	s_lshr_b32 s2, s2, 7
	s_delay_alu instid0(SALU_CYCLE_1) | instskip(SKIP_2) | instid1(SALU_CYCLE_3)
	s_add_co_i32 s9, s2, 1
	s_not_b32 s2, s2
	s_cvt_f32_u32 s3, s9
	v_rcp_iflag_f32_e32 v1, s3
	v_nop
	s_delay_alu instid0(TRANS32_DEP_1) | instskip(SKIP_1) | instid1(SALU_CYCLE_3)
	v_readfirstlane_b32 s3, v1
	s_mul_f32 s3, s3, 0x4f7ffffe
	s_cvt_u32_f32 s3, s3
	s_delay_alu instid0(SALU_CYCLE_3) | instskip(NEXT) | instid1(SALU_CYCLE_1)
	s_mul_i32 s2, s2, s3
	s_mul_hi_u32 s2, s3, s2
	s_delay_alu instid0(SALU_CYCLE_1)
	s_add_co_i32 s3, s3, s2
	s_cmp_eq_u32 s11, 0
	s_cselect_b32 s20, ttmp9, s7
	s_wait_xcnt 0x0
	s_load_b128 s[4:7], s[0:1], 0x8
	s_mul_hi_u32 s2, s20, s3
	s_delay_alu instid0(SALU_CYCLE_1) | instskip(SKIP_2) | instid1(SALU_CYCLE_1)
	s_mul_i32 s3, s2, s9
	s_add_co_i32 s11, s2, 1
	s_sub_co_i32 s3, s20, s3
	s_sub_co_i32 s12, s3, s9
	s_cmp_ge_u32 s3, s9
	s_cselect_b32 s2, s11, s2
	s_cselect_b32 s3, s12, s3
	s_add_co_i32 s11, s2, 1
	s_cmp_ge_u32 s3, s9
	s_cselect_b32 s19, s11, s2
	s_ashr_i32 s21, s20, 31
	s_wait_kmcnt 0x0
	s_add_co_i32 s2, s19, s10
	s_delay_alu instid0(SALU_CYCLE_1) | instskip(NEXT) | instid1(SALU_CYCLE_1)
	s_ashr_i32 s3, s2, 31
	s_lshl_b64 s[2:3], s[2:3], 2
	s_delay_alu instid0(SALU_CYCLE_1)
	s_add_nc_u64 s[6:7], s[6:7], s[2:3]
	s_load_b32 s10, s[6:7], 0x0
	s_clause 0x1
	s_load_b64 s[12:13], s[0:1], 0x30
	s_load_b64 s[2:3], s[0:1], 0x58
	s_wait_kmcnt 0x0
	s_ashr_i32 s11, s10, 31
	s_delay_alu instid0(SALU_CYCLE_1)
	s_lshl_b64 s[6:7], s[10:11], 2
	s_lshl_b64 s[10:11], s[20:21], 2
	s_add_nc_u64 s[14:15], s[12:13], s[6:7]
	s_add_nc_u64 s[12:13], s[4:5], s[10:11]
	s_load_b64 s[10:11], s[14:15], 0x0
	s_load_b32 s17, s[12:13], 0x0
	s_wait_xcnt 0x0
	s_mul_i32 s14, s19, s9
	s_mov_b32 s9, exec_lo
	s_sub_co_i32 s15, s20, s14
	s_delay_alu instid0(SALU_CYCLE_1) | instskip(NEXT) | instid1(VALU_DEP_1)
	v_or_b32_e32 v1, s15, v0
	v_cmpx_eq_u32_e32 0, v1
	s_cbranch_execz .LBB121_9
; %bb.6:
	s_add_nc_u64 s[20:21], s[2:3], s[6:7]
	s_add_f32 s8, s8, -1.0
	s_load_b32 s20, s[20:21], 0x0
	s_mov_b32 s19, exec_lo
	global_wb scope:SCOPE_DEV
	s_wait_storecnt 0x0
	global_inv scope:SCOPE_DEV
	v_mbcnt_lo_u32_b32 v1, s19, 0
	s_wait_kmcnt 0x0
	s_mul_f32 s8, s8, s20
	s_mov_b32 s20, exec_lo
	s_delay_alu instid0(VALU_DEP_1)
	v_cmpx_eq_u32_e32 0, v1
	s_cbranch_execz .LBB121_8
; %bb.7:
	s_bcnt1_i32_b32 s19, s19
	s_delay_alu instid0(SALU_CYCLE_1) | instskip(NEXT) | instid1(SALU_CYCLE_1)
	s_and_b32 s19, s19, 1
	v_dual_mov_b32 v1, s14 :: v_dual_mov_b32 v2, s19
	global_atomic_xor_b32 v1, v2, s[4:5] scale_offset scope:SCOPE_DEV
.LBB121_8:
	s_wait_xcnt 0x0
	s_or_b32 exec_lo, exec_lo, s20
	v_mov_b32_e32 v2, s8
.LBB121_9:
	s_or_b32 exec_lo, exec_lo, s9
	s_mul_i32 s8, s15, 0x300
	s_wait_kmcnt 0x0
	s_sub_co_i32 s9, s11, s16
	s_sub_co_i32 s8, s8, s16
	s_mov_b32 s19, exec_lo
	s_add_co_i32 s8, s8, s10
	s_delay_alu instid0(SALU_CYCLE_1) | instskip(SKIP_1) | instid1(SALU_CYCLE_1)
	v_add_nc_u32_e32 v1, s8, v0
	s_addk_co_i32 s8, 0x300
	s_min_i32 s22, s8, s9
	s_delay_alu instid0(VALU_DEP_1) | instid1(SALU_CYCLE_1)
	v_cmpx_gt_i32_e64 s22, v1
	s_cbranch_execz .LBB121_13
; %bb.10:
	s_clause 0x1
	s_load_b64 s[20:21], s[0:1], 0x48
	s_load_b128 s[8:11], s[0:1], 0x38
	s_wait_xcnt 0x0
	s_mov_b32 s0, 0
.LBB121_11:                             ; =>This Inner Loop Header: Depth=1
	s_wait_kmcnt 0x0
	s_clause 0x1
	global_load_b32 v3, v1, s[8:9] scale_offset
	global_load_u16 v4, v1, s[10:11] scale_offset
	s_wait_loadcnt 0x1
	v_subrev_nc_u32_e32 v3, s16, v3
	s_wait_loadcnt 0x0
	v_cvt_f32_f16_e32 v4, v4
	s_wait_xcnt 0x0
	v_add_nc_u32_e32 v1, 0x100, v1
	global_load_u16 v3, v3, s[20:21] scale_offset
	v_mul_f32_e32 v4, s18, v4
	v_cmp_le_i32_e32 vcc_lo, s22, v1
	s_or_b32 s0, vcc_lo, s0
	s_wait_loadcnt 0x0
	s_delay_alu instid0(VALU_DEP_2)
	v_fma_mix_f32 v2, v4, v3, v2 op_sel_hi:[0,1,0]
	s_wait_xcnt 0x0
	s_and_not1_b32 exec_lo, exec_lo, s0
	s_cbranch_execnz .LBB121_11
; %bb.12:
	s_or_b32 exec_lo, exec_lo, s0
.LBB121_13:
	s_delay_alu instid0(SALU_CYCLE_1)
	s_or_b32 exec_lo, exec_lo, s19
	v_lshlrev_b32_e32 v1, 2, v0
	s_mov_b32 s0, exec_lo
	ds_store_b32 v1, v2
	s_wait_storecnt 0x0
	s_wait_loadcnt_dscnt 0x0
	s_barrier_signal -1
	s_barrier_wait -1
	v_cmpx_gt_u32_e32 0x80, v0
	s_cbranch_execz .LBB121_15
; %bb.14:
	ds_load_2addr_stride64_b32 v[2:3], v1 offset1:2
	s_wait_dscnt 0x0
	v_add_f32_e32 v2, v2, v3
	ds_store_b32 v1, v2
.LBB121_15:
	s_or_b32 exec_lo, exec_lo, s0
	s_delay_alu instid0(SALU_CYCLE_1)
	s_mov_b32 s0, exec_lo
	s_wait_dscnt 0x0
	s_barrier_signal -1
	s_barrier_wait -1
	v_cmpx_gt_u32_e32 64, v0
	s_cbranch_execz .LBB121_17
; %bb.16:
	ds_load_2addr_stride64_b32 v[2:3], v1 offset1:1
	s_wait_dscnt 0x0
	v_add_f32_e32 v2, v2, v3
	ds_store_b32 v1, v2
.LBB121_17:
	s_or_b32 exec_lo, exec_lo, s0
	s_delay_alu instid0(SALU_CYCLE_1)
	s_mov_b32 s0, exec_lo
	s_wait_dscnt 0x0
	s_barrier_signal -1
	s_barrier_wait -1
	v_cmpx_gt_u32_e32 32, v0
	s_cbranch_execz .LBB121_19
; %bb.18:
	ds_load_2addr_b32 v[2:3], v1 offset1:32
	s_wait_dscnt 0x0
	v_add_f32_e32 v2, v2, v3
	ds_store_b32 v1, v2
.LBB121_19:
	s_or_b32 exec_lo, exec_lo, s0
	s_delay_alu instid0(SALU_CYCLE_1)
	s_mov_b32 s0, exec_lo
	s_wait_dscnt 0x0
	s_barrier_signal -1
	s_barrier_wait -1
	v_cmpx_gt_u32_e32 16, v0
	s_cbranch_execz .LBB121_21
; %bb.20:
	ds_load_2addr_b32 v[2:3], v1 offset1:16
	s_wait_dscnt 0x0
	v_add_f32_e32 v2, v2, v3
	ds_store_b32 v1, v2
.LBB121_21:
	;; [unrolled: 14-line block ×5, first 2 shown]
	s_or_b32 exec_lo, exec_lo, s0
	v_cmp_eq_u32_e32 vcc_lo, 0, v0
	s_wait_dscnt 0x0
	s_barrier_signal -1
	s_barrier_wait -1
	s_and_saveexec_b32 s0, vcc_lo
	s_cbranch_execz .LBB121_29
; %bb.28:
	v_mov_b32_e32 v2, 0
	ds_load_b64 v[0:1], v2
	s_wait_dscnt 0x0
	v_add_f32_e32 v0, v0, v1
	ds_store_b32 v2, v0
.LBB121_29:
	s_or_b32 exec_lo, exec_lo, s0
	s_wait_dscnt 0x0
	s_barrier_signal -1
	s_barrier_wait -1
	s_and_saveexec_b32 s0, vcc_lo
	s_cbranch_execz .LBB121_38
; %bb.30:
	s_cmp_eq_u32 s15, 0
	s_cbranch_scc1 .LBB121_36
; %bb.31:
	s_ashr_i32 s15, s14, 31
	v_mov_b32_e32 v0, 0
	s_lshl_b64 s[0:1], s[14:15], 2
	s_delay_alu instid0(SALU_CYCLE_1)
	s_add_nc_u64 s[0:1], s[4:5], s[0:1]
	s_branch .LBB121_33
.LBB121_32:                             ;   in Loop: Header=BB121_33 Depth=1
	s_wait_xcnt 0x0
	s_or_b32 exec_lo, exec_lo, s4
	s_wait_loadcnt 0x0
	v_readfirstlane_b32 s4, v1
	s_cmp_eq_u32 s4, s17
	s_cbranch_scc0 .LBB121_35
.LBB121_33:                             ; =>This Inner Loop Header: Depth=1
	v_mbcnt_lo_u32_b32 v1, exec_lo, 0
	s_delay_alu instid0(VALU_DEP_1)
	v_cmp_eq_u32_e32 vcc_lo, 0, v1
                                        ; implicit-def: $vgpr1
	s_and_saveexec_b32 s4, vcc_lo
	s_cbranch_execz .LBB121_32
; %bb.34:                               ;   in Loop: Header=BB121_33 Depth=1
	global_load_b32 v1, v0, s[0:1] scope:SCOPE_DEV
	s_branch .LBB121_32
.LBB121_35:
	v_mov_b32_e32 v0, 0
	global_load_u16 v1, v0, s[12:13]
	s_wait_loadcnt 0x0
	v_xor_b32_e32 v1, 1, v1
	global_store_b16 v0, v1, s[12:13]
.LBB121_36:
	s_mov_b32 s0, exec_lo
	s_wait_xcnt 0x0
	v_mbcnt_lo_u32_b32 v0, s0, 0
	s_delay_alu instid0(VALU_DEP_1) | instskip(SKIP_1) | instid1(SALU_CYCLE_1)
	v_cmp_eq_u32_e32 vcc_lo, 0, v0
	s_and_b32 s1, exec_lo, vcc_lo
	s_mov_b32 exec_lo, s1
	s_cbranch_execz .LBB121_38
; %bb.37:
	s_bcnt1_i32_b32 s0, s0
	s_delay_alu instid0(SALU_CYCLE_1)
	v_cvt_f32_ubyte0_e32 v2, s0
	v_mov_b32_e32 v0, 0
	s_add_nc_u64 s[0:1], s[2:3], s[6:7]
	ds_load_b32 v1, v0
	s_wait_dscnt 0x0
	v_mul_f32_e32 v1, v1, v2
	global_atomic_add_f32 v0, v1, s[0:1] scope:SCOPE_DEV
.LBB121_38:
	s_endpgm
	.section	.rodata,"a",@progbits
	.p2align	6, 0x0
	.amdhsa_kernel _ZN9rocsparseL27csrmvn_lrb_long_rows_kernelIiiDF16_DF16_ffEEvbT_PjPT0_S4_jNS_24const_host_device_scalarIT4_EEPKS1_PKS3_PKT1_PKT2_S7_PT3_21rocsparse_index_base_b
		.amdhsa_group_segment_fixed_size 1024
		.amdhsa_private_segment_fixed_size 0
		.amdhsa_kernarg_size 104
		.amdhsa_user_sgpr_count 2
		.amdhsa_user_sgpr_dispatch_ptr 0
		.amdhsa_user_sgpr_queue_ptr 0
		.amdhsa_user_sgpr_kernarg_segment_ptr 1
		.amdhsa_user_sgpr_dispatch_id 0
		.amdhsa_user_sgpr_kernarg_preload_length 0
		.amdhsa_user_sgpr_kernarg_preload_offset 0
		.amdhsa_user_sgpr_private_segment_size 0
		.amdhsa_wavefront_size32 1
		.amdhsa_uses_dynamic_stack 0
		.amdhsa_enable_private_segment 0
		.amdhsa_system_sgpr_workgroup_id_x 1
		.amdhsa_system_sgpr_workgroup_id_y 0
		.amdhsa_system_sgpr_workgroup_id_z 0
		.amdhsa_system_sgpr_workgroup_info 0
		.amdhsa_system_vgpr_workitem_id 0
		.amdhsa_next_free_vgpr 5
		.amdhsa_next_free_sgpr 23
		.amdhsa_named_barrier_count 0
		.amdhsa_reserve_vcc 1
		.amdhsa_float_round_mode_32 0
		.amdhsa_float_round_mode_16_64 0
		.amdhsa_float_denorm_mode_32 3
		.amdhsa_float_denorm_mode_16_64 3
		.amdhsa_fp16_overflow 0
		.amdhsa_memory_ordered 1
		.amdhsa_forward_progress 1
		.amdhsa_inst_pref_size 12
		.amdhsa_round_robin_scheduling 0
		.amdhsa_exception_fp_ieee_invalid_op 0
		.amdhsa_exception_fp_denorm_src 0
		.amdhsa_exception_fp_ieee_div_zero 0
		.amdhsa_exception_fp_ieee_overflow 0
		.amdhsa_exception_fp_ieee_underflow 0
		.amdhsa_exception_fp_ieee_inexact 0
		.amdhsa_exception_int_div_zero 0
	.end_amdhsa_kernel
	.section	.text._ZN9rocsparseL27csrmvn_lrb_long_rows_kernelIiiDF16_DF16_ffEEvbT_PjPT0_S4_jNS_24const_host_device_scalarIT4_EEPKS1_PKS3_PKT1_PKT2_S7_PT3_21rocsparse_index_base_b,"axG",@progbits,_ZN9rocsparseL27csrmvn_lrb_long_rows_kernelIiiDF16_DF16_ffEEvbT_PjPT0_S4_jNS_24const_host_device_scalarIT4_EEPKS1_PKS3_PKT1_PKT2_S7_PT3_21rocsparse_index_base_b,comdat
.Lfunc_end121:
	.size	_ZN9rocsparseL27csrmvn_lrb_long_rows_kernelIiiDF16_DF16_ffEEvbT_PjPT0_S4_jNS_24const_host_device_scalarIT4_EEPKS1_PKS3_PKT1_PKT2_S7_PT3_21rocsparse_index_base_b, .Lfunc_end121-_ZN9rocsparseL27csrmvn_lrb_long_rows_kernelIiiDF16_DF16_ffEEvbT_PjPT0_S4_jNS_24const_host_device_scalarIT4_EEPKS1_PKS3_PKT1_PKT2_S7_PT3_21rocsparse_index_base_b
                                        ; -- End function
	.set _ZN9rocsparseL27csrmvn_lrb_long_rows_kernelIiiDF16_DF16_ffEEvbT_PjPT0_S4_jNS_24const_host_device_scalarIT4_EEPKS1_PKS3_PKT1_PKT2_S7_PT3_21rocsparse_index_base_b.num_vgpr, 5
	.set _ZN9rocsparseL27csrmvn_lrb_long_rows_kernelIiiDF16_DF16_ffEEvbT_PjPT0_S4_jNS_24const_host_device_scalarIT4_EEPKS1_PKS3_PKT1_PKT2_S7_PT3_21rocsparse_index_base_b.num_agpr, 0
	.set _ZN9rocsparseL27csrmvn_lrb_long_rows_kernelIiiDF16_DF16_ffEEvbT_PjPT0_S4_jNS_24const_host_device_scalarIT4_EEPKS1_PKS3_PKT1_PKT2_S7_PT3_21rocsparse_index_base_b.numbered_sgpr, 23
	.set _ZN9rocsparseL27csrmvn_lrb_long_rows_kernelIiiDF16_DF16_ffEEvbT_PjPT0_S4_jNS_24const_host_device_scalarIT4_EEPKS1_PKS3_PKT1_PKT2_S7_PT3_21rocsparse_index_base_b.num_named_barrier, 0
	.set _ZN9rocsparseL27csrmvn_lrb_long_rows_kernelIiiDF16_DF16_ffEEvbT_PjPT0_S4_jNS_24const_host_device_scalarIT4_EEPKS1_PKS3_PKT1_PKT2_S7_PT3_21rocsparse_index_base_b.private_seg_size, 0
	.set _ZN9rocsparseL27csrmvn_lrb_long_rows_kernelIiiDF16_DF16_ffEEvbT_PjPT0_S4_jNS_24const_host_device_scalarIT4_EEPKS1_PKS3_PKT1_PKT2_S7_PT3_21rocsparse_index_base_b.uses_vcc, 1
	.set _ZN9rocsparseL27csrmvn_lrb_long_rows_kernelIiiDF16_DF16_ffEEvbT_PjPT0_S4_jNS_24const_host_device_scalarIT4_EEPKS1_PKS3_PKT1_PKT2_S7_PT3_21rocsparse_index_base_b.uses_flat_scratch, 0
	.set _ZN9rocsparseL27csrmvn_lrb_long_rows_kernelIiiDF16_DF16_ffEEvbT_PjPT0_S4_jNS_24const_host_device_scalarIT4_EEPKS1_PKS3_PKT1_PKT2_S7_PT3_21rocsparse_index_base_b.has_dyn_sized_stack, 0
	.set _ZN9rocsparseL27csrmvn_lrb_long_rows_kernelIiiDF16_DF16_ffEEvbT_PjPT0_S4_jNS_24const_host_device_scalarIT4_EEPKS1_PKS3_PKT1_PKT2_S7_PT3_21rocsparse_index_base_b.has_recursion, 0
	.set _ZN9rocsparseL27csrmvn_lrb_long_rows_kernelIiiDF16_DF16_ffEEvbT_PjPT0_S4_jNS_24const_host_device_scalarIT4_EEPKS1_PKS3_PKT1_PKT2_S7_PT3_21rocsparse_index_base_b.has_indirect_call, 0
	.section	.AMDGPU.csdata,"",@progbits
; Kernel info:
; codeLenInByte = 1504
; TotalNumSgprs: 25
; NumVgprs: 5
; ScratchSize: 0
; MemoryBound: 0
; FloatMode: 240
; IeeeMode: 1
; LDSByteSize: 1024 bytes/workgroup (compile time only)
; SGPRBlocks: 0
; VGPRBlocks: 0
; NumSGPRsForWavesPerEU: 25
; NumVGPRsForWavesPerEU: 5
; NamedBarCnt: 0
; Occupancy: 16
; WaveLimiterHint : 1
; COMPUTE_PGM_RSRC2:SCRATCH_EN: 0
; COMPUTE_PGM_RSRC2:USER_SGPR: 2
; COMPUTE_PGM_RSRC2:TRAP_HANDLER: 0
; COMPUTE_PGM_RSRC2:TGID_X_EN: 1
; COMPUTE_PGM_RSRC2:TGID_Y_EN: 0
; COMPUTE_PGM_RSRC2:TGID_Z_EN: 0
; COMPUTE_PGM_RSRC2:TIDIG_COMP_CNT: 0
	.section	.text._ZN9rocsparseL28csrmvn_lrb_short_rows_kernelIliDF16_DF16_ffEEvbT_PT0_S3_jNS_24const_host_device_scalarIT4_EEPKS1_PKS2_PKT1_PKT2_S6_PT3_21rocsparse_index_base_b,"axG",@progbits,_ZN9rocsparseL28csrmvn_lrb_short_rows_kernelIliDF16_DF16_ffEEvbT_PT0_S3_jNS_24const_host_device_scalarIT4_EEPKS1_PKS2_PKT1_PKT2_S6_PT3_21rocsparse_index_base_b,comdat
	.globl	_ZN9rocsparseL28csrmvn_lrb_short_rows_kernelIliDF16_DF16_ffEEvbT_PT0_S3_jNS_24const_host_device_scalarIT4_EEPKS1_PKS2_PKT1_PKT2_S6_PT3_21rocsparse_index_base_b ; -- Begin function _ZN9rocsparseL28csrmvn_lrb_short_rows_kernelIliDF16_DF16_ffEEvbT_PT0_S3_jNS_24const_host_device_scalarIT4_EEPKS1_PKS2_PKT1_PKT2_S6_PT3_21rocsparse_index_base_b
	.p2align	8
	.type	_ZN9rocsparseL28csrmvn_lrb_short_rows_kernelIliDF16_DF16_ffEEvbT_PT0_S3_jNS_24const_host_device_scalarIT4_EEPKS1_PKS2_PKT1_PKT2_S6_PT3_21rocsparse_index_base_b,@function
_ZN9rocsparseL28csrmvn_lrb_short_rows_kernelIliDF16_DF16_ffEEvbT_PT0_S3_jNS_24const_host_device_scalarIT4_EEPKS1_PKS2_PKT1_PKT2_S6_PT3_21rocsparse_index_base_b: ; @_ZN9rocsparseL28csrmvn_lrb_short_rows_kernelIliDF16_DF16_ffEEvbT_PT0_S3_jNS_24const_host_device_scalarIT4_EEPKS1_PKS2_PKT1_PKT2_S6_PT3_21rocsparse_index_base_b
; %bb.0:
	s_clause 0x2
	s_load_b64 s[16:17], s[0:1], 0x60
	s_load_b64 s[18:19], s[0:1], 0x28
	s_load_b64 s[2:3], s[0:1], 0x50
	s_wait_kmcnt 0x0
	s_bitcmp1_b32 s17, 0
	s_cselect_b32 s4, -1, 0
	s_delay_alu instid0(SALU_CYCLE_1)
	s_and_b32 vcc_lo, exec_lo, s4
	s_xor_b32 s4, s4, -1
	s_cbranch_vccnz .LBB122_2
; %bb.1:
	s_load_b32 s18, s[18:19], 0x0
.LBB122_2:
	s_and_not1_b32 vcc_lo, exec_lo, s4
	s_cbranch_vccnz .LBB122_4
; %bb.3:
	s_load_b32 s2, s[2:3], 0x0
.LBB122_4:
	s_wait_kmcnt 0x0
	s_cmp_neq_f32 s18, 0
	s_cselect_b32 s3, -1, 0
	s_cmp_neq_f32 s2, 1.0
	s_cselect_b32 s4, -1, 0
	s_delay_alu instid0(SALU_CYCLE_1) | instskip(NEXT) | instid1(SALU_CYCLE_1)
	s_or_b32 s3, s3, s4
	s_and_not1_b32 vcc_lo, exec_lo, s3
	s_cbranch_vccnz .LBB122_18
; %bb.5:
	s_clause 0x1
	s_load_b32 s3, s[0:1], 0x20
	s_load_b128 s[12:15], s[0:1], 0x10
	s_and_b32 s6, ttmp6, 15
	s_getreg_b32 s7, hwreg(HW_REG_IB_STS2, 6, 4)
	s_wait_kmcnt 0x0
	s_add_co_i32 s4, s3, 1
	s_clause 0x1
	s_load_b32 s19, s[14:15], s3 offset:0x0 scale_offset
	s_load_b32 s5, s[14:15], s4 offset:0x0 scale_offset
	s_wait_xcnt 0x0
	s_bfe_u32 s4, ttmp6, 0x4000c
	s_delay_alu instid0(SALU_CYCLE_1) | instskip(NEXT) | instid1(SALU_CYCLE_1)
	s_add_co_i32 s4, s4, 1
	s_mul_i32 s4, ttmp9, s4
	s_delay_alu instid0(SALU_CYCLE_1) | instskip(SKIP_4) | instid1(SALU_CYCLE_1)
	s_add_co_i32 s6, s6, s4
	s_wait_kmcnt 0x0
	s_sub_co_i32 s5, s5, s19
	s_cmp_eq_u32 s7, 0
	s_cselect_b32 s4, ttmp9, s6
	s_lshl_b32 s14, s4, 8
	s_delay_alu instid0(SALU_CYCLE_1) | instskip(NEXT) | instid1(SALU_CYCLE_1)
	s_add_co_i32 s4, s14, 0x100
	s_min_u32 s15, s5, s4
	s_cmp_gt_u32 s3, 23
	s_cbranch_scc1 .LBB122_12
; %bb.6:
	s_load_b256 s[4:11], s[0:1], 0x30
	v_bfe_u32 v6, v0, 0, s3
	v_mov_b32_e32 v7, 0
	v_lshl_add_u32 v1, v0, 2, 0
	s_mov_b32 s17, 0
	s_lshl_b32 s20, 0x100, s3
	s_mov_b32 s21, s17
	s_branch .LBB122_9
.LBB122_7:                              ;   in Loop: Header=BB122_9 Depth=1
	s_or_b32 exec_lo, exec_lo, s23
	ds_store_b32 v1, v4
.LBB122_8:                              ;   in Loop: Header=BB122_9 Depth=1
	s_or_b32 exec_lo, exec_lo, s22
	v_add_nc_u32_e32 v1, 0x400, v1
	s_addk_co_i32 s21, 0x100
	s_delay_alu instid0(SALU_CYCLE_1)
	s_cmp_ge_u32 s21, s20
	s_cbranch_scc1 .LBB122_12
.LBB122_9:                              ; =>This Inner Loop Header: Depth=1
	v_add_nc_u32_e32 v2, s21, v0
	s_mov_b32 s22, exec_lo
	s_delay_alu instid0(VALU_DEP_1) | instskip(NEXT) | instid1(VALU_DEP_1)
	v_lshrrev_b32_e32 v2, s3, v2
	v_add_nc_u32_e32 v2, s14, v2
	s_delay_alu instid0(VALU_DEP_1)
	v_cmpx_gt_u32_e64 s15, v2
	s_cbranch_execz .LBB122_8
; %bb.10:                               ;   in Loop: Header=BB122_9 Depth=1
	v_add_nc_u32_e32 v2, s19, v2
	global_load_b32 v2, v2, s[12:13] scale_offset
	s_wait_loadcnt 0x0
	v_ashrrev_i32_e32 v3, 31, v2
	s_wait_kmcnt 0x0
	s_wait_xcnt 0x0
	s_delay_alu instid0(VALU_DEP_1) | instskip(SKIP_3) | instid1(VALU_DEP_1)
	v_lshl_add_u64 v[2:3], v[2:3], 3, s[4:5]
	global_load_b128 v[2:5], v[2:3], off
	s_wait_loadcnt 0x0
	v_sub_nc_u64_e32 v[4:5], v[4:5], v[2:3]
	v_cmp_gt_i64_e32 vcc_lo, v[4:5], v[6:7]
	v_mov_b32_e32 v4, 0
	s_wait_xcnt 0x0
	s_and_saveexec_b32 s23, vcc_lo
	s_cbranch_execz .LBB122_7
; %bb.11:                               ;   in Loop: Header=BB122_9 Depth=1
	v_sub_nc_u64_e64 v[2:3], v[2:3], s[16:17]
	s_delay_alu instid0(VALU_DEP_1) | instskip(NEXT) | instid1(VALU_DEP_1)
	v_add_nc_u64_e32 v[2:3], v[2:3], v[6:7]
	v_lshl_add_u64 v[4:5], v[2:3], 2, s[6:7]
	v_lshl_add_u64 v[2:3], v[2:3], 1, s[8:9]
	global_load_b32 v4, v[4:5], off
	global_load_u16 v2, v[2:3], off
	s_wait_loadcnt 0x1
	s_wait_xcnt 0x0
	v_subrev_nc_u32_e32 v3, s16, v4
	s_wait_loadcnt 0x0
	v_cvt_f32_f16_e32 v2, v2
	global_load_u16 v3, v3, s[10:11] scale_offset
	v_mul_f32_e32 v2, s18, v2
	s_wait_loadcnt 0x0
	s_wait_xcnt 0x0
	v_cvt_f32_f16_e32 v3, v3
	s_delay_alu instid0(VALU_DEP_1)
	v_mul_f32_e32 v4, v2, v3
	s_branch .LBB122_7
.LBB122_12:
	s_wait_kmcnt 0x0
	s_sub_co_i32 s4, s15, s14
	s_wait_dscnt 0x0
	v_cmp_gt_u32_e32 vcc_lo, s4, v0
	s_barrier_signal -1
	s_barrier_wait -1
	s_and_saveexec_b32 s4, vcc_lo
	s_cbranch_execz .LBB122_18
; %bb.13:
	v_add3_u32 v1, s19, s14, v0
	s_load_b64 s[0:1], s[0:1], 0x58
	v_dual_lshlrev_b32 v0, s3, v0 :: v_dual_mov_b32 v4, 0
	s_mov_b32 s4, 1
	global_load_b32 v2, v1, s[12:13] scale_offset
	v_lshl_add_u32 v0, v0, 2, 0
.LBB122_14:                             ; =>This Inner Loop Header: Depth=1
	s_wait_xcnt 0x0
	ds_load_b32 v1, v0
	v_add_nc_u32_e32 v0, 4, v0
	s_lshr_b32 s5, s4, s3
	s_add_co_i32 s4, s4, 1
	s_cmp_lg_u32 s5, 0
	s_wait_dscnt 0x0
	v_add_f32_e32 v4, v4, v1
	s_cbranch_scc0 .LBB122_14
; %bb.15:
	s_wait_loadcnt 0x0
	v_ashrrev_i32_e32 v3, 31, v2
	s_cmp_neq_f32 s2, 0
	s_wait_kmcnt 0x0
	s_delay_alu instid0(VALU_DEP_1)
	v_lshl_add_u64 v[0:1], v[2:3], 2, s[0:1]
	s_cbranch_scc0 .LBB122_17
; %bb.16:
	global_load_b32 v2, v[0:1], off
	s_wait_loadcnt 0x0
	v_fmac_f32_e32 v4, s2, v2
.LBB122_17:
	global_store_b32 v[0:1], v4, off
.LBB122_18:
	s_endpgm
	.section	.rodata,"a",@progbits
	.p2align	6, 0x0
	.amdhsa_kernel _ZN9rocsparseL28csrmvn_lrb_short_rows_kernelIliDF16_DF16_ffEEvbT_PT0_S3_jNS_24const_host_device_scalarIT4_EEPKS1_PKS2_PKT1_PKT2_S6_PT3_21rocsparse_index_base_b
		.amdhsa_group_segment_fixed_size 0
		.amdhsa_private_segment_fixed_size 0
		.amdhsa_kernarg_size 104
		.amdhsa_user_sgpr_count 2
		.amdhsa_user_sgpr_dispatch_ptr 0
		.amdhsa_user_sgpr_queue_ptr 0
		.amdhsa_user_sgpr_kernarg_segment_ptr 1
		.amdhsa_user_sgpr_dispatch_id 0
		.amdhsa_user_sgpr_kernarg_preload_length 0
		.amdhsa_user_sgpr_kernarg_preload_offset 0
		.amdhsa_user_sgpr_private_segment_size 0
		.amdhsa_wavefront_size32 1
		.amdhsa_uses_dynamic_stack 0
		.amdhsa_enable_private_segment 0
		.amdhsa_system_sgpr_workgroup_id_x 1
		.amdhsa_system_sgpr_workgroup_id_y 0
		.amdhsa_system_sgpr_workgroup_id_z 0
		.amdhsa_system_sgpr_workgroup_info 0
		.amdhsa_system_vgpr_workitem_id 0
		.amdhsa_next_free_vgpr 8
		.amdhsa_next_free_sgpr 24
		.amdhsa_named_barrier_count 0
		.amdhsa_reserve_vcc 1
		.amdhsa_float_round_mode_32 0
		.amdhsa_float_round_mode_16_64 0
		.amdhsa_float_denorm_mode_32 3
		.amdhsa_float_denorm_mode_16_64 3
		.amdhsa_fp16_overflow 0
		.amdhsa_memory_ordered 1
		.amdhsa_forward_progress 1
		.amdhsa_inst_pref_size 6
		.amdhsa_round_robin_scheduling 0
		.amdhsa_exception_fp_ieee_invalid_op 0
		.amdhsa_exception_fp_denorm_src 0
		.amdhsa_exception_fp_ieee_div_zero 0
		.amdhsa_exception_fp_ieee_overflow 0
		.amdhsa_exception_fp_ieee_underflow 0
		.amdhsa_exception_fp_ieee_inexact 0
		.amdhsa_exception_int_div_zero 0
	.end_amdhsa_kernel
	.section	.text._ZN9rocsparseL28csrmvn_lrb_short_rows_kernelIliDF16_DF16_ffEEvbT_PT0_S3_jNS_24const_host_device_scalarIT4_EEPKS1_PKS2_PKT1_PKT2_S6_PT3_21rocsparse_index_base_b,"axG",@progbits,_ZN9rocsparseL28csrmvn_lrb_short_rows_kernelIliDF16_DF16_ffEEvbT_PT0_S3_jNS_24const_host_device_scalarIT4_EEPKS1_PKS2_PKT1_PKT2_S6_PT3_21rocsparse_index_base_b,comdat
.Lfunc_end122:
	.size	_ZN9rocsparseL28csrmvn_lrb_short_rows_kernelIliDF16_DF16_ffEEvbT_PT0_S3_jNS_24const_host_device_scalarIT4_EEPKS1_PKS2_PKT1_PKT2_S6_PT3_21rocsparse_index_base_b, .Lfunc_end122-_ZN9rocsparseL28csrmvn_lrb_short_rows_kernelIliDF16_DF16_ffEEvbT_PT0_S3_jNS_24const_host_device_scalarIT4_EEPKS1_PKS2_PKT1_PKT2_S6_PT3_21rocsparse_index_base_b
                                        ; -- End function
	.set _ZN9rocsparseL28csrmvn_lrb_short_rows_kernelIliDF16_DF16_ffEEvbT_PT0_S3_jNS_24const_host_device_scalarIT4_EEPKS1_PKS2_PKT1_PKT2_S6_PT3_21rocsparse_index_base_b.num_vgpr, 8
	.set _ZN9rocsparseL28csrmvn_lrb_short_rows_kernelIliDF16_DF16_ffEEvbT_PT0_S3_jNS_24const_host_device_scalarIT4_EEPKS1_PKS2_PKT1_PKT2_S6_PT3_21rocsparse_index_base_b.num_agpr, 0
	.set _ZN9rocsparseL28csrmvn_lrb_short_rows_kernelIliDF16_DF16_ffEEvbT_PT0_S3_jNS_24const_host_device_scalarIT4_EEPKS1_PKS2_PKT1_PKT2_S6_PT3_21rocsparse_index_base_b.numbered_sgpr, 24
	.set _ZN9rocsparseL28csrmvn_lrb_short_rows_kernelIliDF16_DF16_ffEEvbT_PT0_S3_jNS_24const_host_device_scalarIT4_EEPKS1_PKS2_PKT1_PKT2_S6_PT3_21rocsparse_index_base_b.num_named_barrier, 0
	.set _ZN9rocsparseL28csrmvn_lrb_short_rows_kernelIliDF16_DF16_ffEEvbT_PT0_S3_jNS_24const_host_device_scalarIT4_EEPKS1_PKS2_PKT1_PKT2_S6_PT3_21rocsparse_index_base_b.private_seg_size, 0
	.set _ZN9rocsparseL28csrmvn_lrb_short_rows_kernelIliDF16_DF16_ffEEvbT_PT0_S3_jNS_24const_host_device_scalarIT4_EEPKS1_PKS2_PKT1_PKT2_S6_PT3_21rocsparse_index_base_b.uses_vcc, 1
	.set _ZN9rocsparseL28csrmvn_lrb_short_rows_kernelIliDF16_DF16_ffEEvbT_PT0_S3_jNS_24const_host_device_scalarIT4_EEPKS1_PKS2_PKT1_PKT2_S6_PT3_21rocsparse_index_base_b.uses_flat_scratch, 0
	.set _ZN9rocsparseL28csrmvn_lrb_short_rows_kernelIliDF16_DF16_ffEEvbT_PT0_S3_jNS_24const_host_device_scalarIT4_EEPKS1_PKS2_PKT1_PKT2_S6_PT3_21rocsparse_index_base_b.has_dyn_sized_stack, 0
	.set _ZN9rocsparseL28csrmvn_lrb_short_rows_kernelIliDF16_DF16_ffEEvbT_PT0_S3_jNS_24const_host_device_scalarIT4_EEPKS1_PKS2_PKT1_PKT2_S6_PT3_21rocsparse_index_base_b.has_recursion, 0
	.set _ZN9rocsparseL28csrmvn_lrb_short_rows_kernelIliDF16_DF16_ffEEvbT_PT0_S3_jNS_24const_host_device_scalarIT4_EEPKS1_PKS2_PKT1_PKT2_S6_PT3_21rocsparse_index_base_b.has_indirect_call, 0
	.section	.AMDGPU.csdata,"",@progbits
; Kernel info:
; codeLenInByte = 764
; TotalNumSgprs: 26
; NumVgprs: 8
; ScratchSize: 0
; MemoryBound: 0
; FloatMode: 240
; IeeeMode: 1
; LDSByteSize: 0 bytes/workgroup (compile time only)
; SGPRBlocks: 0
; VGPRBlocks: 0
; NumSGPRsForWavesPerEU: 26
; NumVGPRsForWavesPerEU: 8
; NamedBarCnt: 0
; Occupancy: 16
; WaveLimiterHint : 1
; COMPUTE_PGM_RSRC2:SCRATCH_EN: 0
; COMPUTE_PGM_RSRC2:USER_SGPR: 2
; COMPUTE_PGM_RSRC2:TRAP_HANDLER: 0
; COMPUTE_PGM_RSRC2:TGID_X_EN: 1
; COMPUTE_PGM_RSRC2:TGID_Y_EN: 0
; COMPUTE_PGM_RSRC2:TGID_Z_EN: 0
; COMPUTE_PGM_RSRC2:TIDIG_COMP_CNT: 0
	.section	.text._ZN9rocsparseL30csrmvn_lrb_short_rows_2_kernelIliDF16_DF16_ffEEvbT_PT0_S3_jNS_24const_host_device_scalarIT4_EEPKS1_PKS2_PKT1_PKT2_S6_PT3_21rocsparse_index_base_b,"axG",@progbits,_ZN9rocsparseL30csrmvn_lrb_short_rows_2_kernelIliDF16_DF16_ffEEvbT_PT0_S3_jNS_24const_host_device_scalarIT4_EEPKS1_PKS2_PKT1_PKT2_S6_PT3_21rocsparse_index_base_b,comdat
	.globl	_ZN9rocsparseL30csrmvn_lrb_short_rows_2_kernelIliDF16_DF16_ffEEvbT_PT0_S3_jNS_24const_host_device_scalarIT4_EEPKS1_PKS2_PKT1_PKT2_S6_PT3_21rocsparse_index_base_b ; -- Begin function _ZN9rocsparseL30csrmvn_lrb_short_rows_2_kernelIliDF16_DF16_ffEEvbT_PT0_S3_jNS_24const_host_device_scalarIT4_EEPKS1_PKS2_PKT1_PKT2_S6_PT3_21rocsparse_index_base_b
	.p2align	8
	.type	_ZN9rocsparseL30csrmvn_lrb_short_rows_2_kernelIliDF16_DF16_ffEEvbT_PT0_S3_jNS_24const_host_device_scalarIT4_EEPKS1_PKS2_PKT1_PKT2_S6_PT3_21rocsparse_index_base_b,@function
_ZN9rocsparseL30csrmvn_lrb_short_rows_2_kernelIliDF16_DF16_ffEEvbT_PT0_S3_jNS_24const_host_device_scalarIT4_EEPKS1_PKS2_PKT1_PKT2_S6_PT3_21rocsparse_index_base_b: ; @_ZN9rocsparseL30csrmvn_lrb_short_rows_2_kernelIliDF16_DF16_ffEEvbT_PT0_S3_jNS_24const_host_device_scalarIT4_EEPKS1_PKS2_PKT1_PKT2_S6_PT3_21rocsparse_index_base_b
; %bb.0:
	s_clause 0x2
	s_load_b64 s[18:19], s[0:1], 0x60
	s_load_b64 s[16:17], s[0:1], 0x28
	;; [unrolled: 1-line block ×3, first 2 shown]
	s_wait_kmcnt 0x0
	s_bitcmp1_b32 s19, 0
	s_cselect_b32 s4, -1, 0
	s_delay_alu instid0(SALU_CYCLE_1)
	s_and_b32 vcc_lo, exec_lo, s4
	s_xor_b32 s4, s4, -1
	s_cbranch_vccnz .LBB123_2
; %bb.1:
	s_load_b32 s16, s[16:17], 0x0
.LBB123_2:
	s_and_not1_b32 vcc_lo, exec_lo, s4
	s_cbranch_vccnz .LBB123_4
; %bb.3:
	s_load_b32 s2, s[2:3], 0x0
.LBB123_4:
	s_wait_kmcnt 0x0
	s_cmp_neq_f32 s16, 0
	s_mov_b32 s19, 0
	s_cselect_b32 s3, -1, 0
	s_cmp_neq_f32 s2, 1.0
	s_cselect_b32 s4, -1, 0
	s_delay_alu instid0(SALU_CYCLE_1) | instskip(NEXT) | instid1(SALU_CYCLE_1)
	s_or_b32 s3, s3, s4
	s_and_not1_b32 vcc_lo, exec_lo, s3
	s_cbranch_vccnz .LBB123_30
; %bb.5:
	s_clause 0x1
	s_load_b32 s3, s[0:1], 0x20
	s_load_b128 s[12:15], s[0:1], 0x10
	s_getreg_b32 s21, hwreg(HW_REG_IB_STS2, 6, 4)
	s_wait_kmcnt 0x0
	v_dual_mov_b32 v7, 0 :: v_dual_lshrrev_b32 v1, s3, v0
	s_add_co_i32 s4, s3, 1
	s_clause 0x1
	s_load_b32 s17, s[14:15], s3 offset:0x0 scale_offset
	s_load_b32 s20, s[14:15], s4 offset:0x0 scale_offset
	s_wait_xcnt 0x0
	s_bfe_u32 s14, ttmp6, 0x4000c
	s_load_b256 s[4:11], s[0:1], 0x30
	s_add_co_i32 s14, s14, 1
	s_and_b32 s15, ttmp6, 15
	s_mul_i32 s14, ttmp9, s14
	v_bfe_u32 v6, v0, 0, s3
	s_add_co_i32 s15, s15, s14
	s_lshr_b32 s14, 0x400, s3
	s_wait_kmcnt 0x0
	s_sub_co_i32 s20, s20, s17
	s_cmp_eq_u32 s21, 0
	s_cselect_b32 s15, ttmp9, s15
	s_delay_alu instid0(SALU_CYCLE_1) | instskip(NEXT) | instid1(SALU_CYCLE_1)
	s_mul_i32 s15, s14, s15
	v_add_nc_u32_e32 v1, s15, v1
	s_add_co_i32 s21, s15, s14
	s_delay_alu instid0(SALU_CYCLE_1) | instskip(SKIP_1) | instid1(VALU_DEP_1)
	s_min_u32 s20, s20, s21
	s_mov_b32 s21, exec_lo
	v_cmpx_gt_u32_e64 s20, v1
	s_cbranch_execz .LBB123_9
; %bb.6:
	v_add_nc_u32_e32 v1, s17, v1
	s_mov_b32 s22, exec_lo
	global_load_b32 v2, v1, s[12:13] scale_offset
	s_wait_loadcnt 0x0
	v_dual_mov_b32 v1, v7 :: v_dual_ashrrev_i32 v3, 31, v2
	s_delay_alu instid0(VALU_DEP_1) | instskip(SKIP_3) | instid1(VALU_DEP_1)
	v_lshl_add_u64 v[2:3], v[2:3], 3, s[4:5]
	global_load_b128 v[2:5], v[2:3], off
	s_wait_loadcnt 0x0
	v_sub_nc_u64_e32 v[4:5], v[4:5], v[2:3]
	v_cmpx_gt_i64_e64 v[4:5], v[6:7]
	s_cbranch_execz .LBB123_8
; %bb.7:
	v_sub_nc_u64_e64 v[2:3], v[2:3], s[18:19]
	s_delay_alu instid0(VALU_DEP_1) | instskip(NEXT) | instid1(VALU_DEP_1)
	v_add_nc_u64_e32 v[2:3], v[2:3], v[6:7]
	v_lshl_add_u64 v[4:5], v[2:3], 2, s[6:7]
	v_lshl_add_u64 v[2:3], v[2:3], 1, s[8:9]
	global_load_b32 v1, v[4:5], off
	global_load_u16 v2, v[2:3], off
	s_wait_loadcnt 0x1
	v_subrev_nc_u32_e32 v1, s18, v1
	s_wait_loadcnt 0x0
	v_cvt_f32_f16_e32 v2, v2
	global_load_u16 v1, v1, s[10:11] scale_offset
	v_mul_f32_e32 v2, s16, v2
	s_wait_loadcnt 0x0
	v_cvt_f32_f16_e32 v1, v1
	s_delay_alu instid0(VALU_DEP_1)
	v_mul_f32_e32 v1, v2, v1
.LBB123_8:
	s_or_b32 exec_lo, exec_lo, s22
	v_lshlrev_b32_e32 v2, 2, v0
	ds_store_b32 v2, v1
.LBB123_9:
	s_or_b32 exec_lo, exec_lo, s21
	s_load_b64 s[0:1], s[0:1], 0x58
	v_or_b32_e32 v1, 0x100, v0
	s_mov_b32 s21, exec_lo
	s_delay_alu instid0(VALU_DEP_1) | instskip(NEXT) | instid1(VALU_DEP_1)
	v_lshrrev_b32_e32 v1, s3, v1
	v_add_nc_u32_e32 v1, s15, v1
	s_delay_alu instid0(VALU_DEP_1)
	v_cmpx_gt_u32_e64 s20, v1
	s_cbranch_execz .LBB123_13
; %bb.10:
	v_add_nc_u32_e32 v1, s17, v1
	s_mov_b32 s22, exec_lo
	global_load_b32 v2, v1, s[12:13] scale_offset
	s_wait_loadcnt 0x0
	v_dual_mov_b32 v1, 0 :: v_dual_ashrrev_i32 v3, 31, v2
	s_delay_alu instid0(VALU_DEP_1) | instskip(SKIP_3) | instid1(VALU_DEP_1)
	v_lshl_add_u64 v[2:3], v[2:3], 3, s[4:5]
	global_load_b128 v[2:5], v[2:3], off
	s_wait_loadcnt 0x0
	v_sub_nc_u64_e32 v[4:5], v[4:5], v[2:3]
	v_cmpx_gt_i64_e64 v[4:5], v[6:7]
	s_cbranch_execz .LBB123_12
; %bb.11:
	v_sub_nc_u64_e64 v[2:3], v[2:3], s[18:19]
	s_delay_alu instid0(VALU_DEP_1) | instskip(NEXT) | instid1(VALU_DEP_1)
	v_add_nc_u64_e32 v[2:3], v[2:3], v[6:7]
	v_lshl_add_u64 v[4:5], v[2:3], 2, s[6:7]
	v_lshl_add_u64 v[2:3], v[2:3], 1, s[8:9]
	global_load_b32 v1, v[4:5], off
	global_load_u16 v2, v[2:3], off
	s_wait_loadcnt 0x1
	v_subrev_nc_u32_e32 v1, s18, v1
	s_wait_loadcnt 0x0
	v_cvt_f32_f16_e32 v2, v2
	global_load_u16 v1, v1, s[10:11] scale_offset
	v_mul_f32_e32 v2, s16, v2
	s_wait_loadcnt 0x0
	v_cvt_f32_f16_e32 v1, v1
	s_delay_alu instid0(VALU_DEP_1)
	v_mul_f32_e32 v1, v2, v1
.LBB123_12:
	s_or_b32 exec_lo, exec_lo, s22
	v_lshlrev_b32_e32 v2, 2, v0
	ds_store_b32 v2, v1 offset:1024
.LBB123_13:
	s_or_b32 exec_lo, exec_lo, s21
	v_or_b32_e32 v1, 0x200, v0
	s_mov_b32 s21, exec_lo
	s_delay_alu instid0(VALU_DEP_1) | instskip(NEXT) | instid1(VALU_DEP_1)
	v_lshrrev_b32_e32 v1, s3, v1
	v_add_nc_u32_e32 v1, s15, v1
	s_delay_alu instid0(VALU_DEP_1)
	v_cmpx_gt_u32_e64 s20, v1
	s_cbranch_execz .LBB123_17
; %bb.14:
	v_add_nc_u32_e32 v1, s17, v1
	s_mov_b32 s22, exec_lo
	global_load_b32 v2, v1, s[12:13] scale_offset
	s_wait_loadcnt 0x0
	v_dual_mov_b32 v1, 0 :: v_dual_ashrrev_i32 v3, 31, v2
	s_delay_alu instid0(VALU_DEP_1) | instskip(SKIP_3) | instid1(VALU_DEP_1)
	v_lshl_add_u64 v[2:3], v[2:3], 3, s[4:5]
	global_load_b128 v[2:5], v[2:3], off
	s_wait_loadcnt 0x0
	v_sub_nc_u64_e32 v[4:5], v[4:5], v[2:3]
	v_cmpx_gt_i64_e64 v[4:5], v[6:7]
	s_cbranch_execz .LBB123_16
; %bb.15:
	v_sub_nc_u64_e64 v[2:3], v[2:3], s[18:19]
	s_delay_alu instid0(VALU_DEP_1) | instskip(NEXT) | instid1(VALU_DEP_1)
	v_add_nc_u64_e32 v[2:3], v[2:3], v[6:7]
	v_lshl_add_u64 v[4:5], v[2:3], 2, s[6:7]
	v_lshl_add_u64 v[2:3], v[2:3], 1, s[8:9]
	global_load_b32 v1, v[4:5], off
	global_load_u16 v2, v[2:3], off
	s_wait_loadcnt 0x1
	v_subrev_nc_u32_e32 v1, s18, v1
	s_wait_loadcnt 0x0
	v_cvt_f32_f16_e32 v2, v2
	global_load_u16 v1, v1, s[10:11] scale_offset
	v_mul_f32_e32 v2, s16, v2
	s_wait_loadcnt 0x0
	v_cvt_f32_f16_e32 v1, v1
	s_delay_alu instid0(VALU_DEP_1)
	v_mul_f32_e32 v1, v2, v1
.LBB123_16:
	s_or_b32 exec_lo, exec_lo, s22
	v_lshlrev_b32_e32 v2, 2, v0
	ds_store_b32 v2, v1 offset:2048
.LBB123_17:
	s_or_b32 exec_lo, exec_lo, s21
	v_or_b32_e32 v1, 0x300, v0
	s_mov_b32 s21, exec_lo
	s_delay_alu instid0(VALU_DEP_1) | instskip(NEXT) | instid1(VALU_DEP_1)
	v_lshrrev_b32_e32 v1, s3, v1
	v_add_nc_u32_e32 v1, s15, v1
	s_delay_alu instid0(VALU_DEP_1)
	v_cmpx_gt_u32_e64 s20, v1
	s_cbranch_execz .LBB123_21
; %bb.18:
	v_add_nc_u32_e32 v1, s17, v1
	global_load_b32 v2, v1, s[12:13] scale_offset
	s_wait_loadcnt 0x0
	v_dual_mov_b32 v1, 0 :: v_dual_ashrrev_i32 v3, 31, v2
	s_delay_alu instid0(VALU_DEP_1) | instskip(SKIP_4) | instid1(VALU_DEP_1)
	v_lshl_add_u64 v[2:3], v[2:3], 3, s[4:5]
	s_mov_b32 s4, exec_lo
	global_load_b128 v[2:5], v[2:3], off
	s_wait_loadcnt 0x0
	v_sub_nc_u64_e32 v[4:5], v[4:5], v[2:3]
	v_cmpx_gt_i64_e64 v[4:5], v[6:7]
	s_cbranch_execz .LBB123_20
; %bb.19:
	v_sub_nc_u64_e64 v[2:3], v[2:3], s[18:19]
	s_delay_alu instid0(VALU_DEP_1) | instskip(NEXT) | instid1(VALU_DEP_1)
	v_add_nc_u64_e32 v[2:3], v[2:3], v[6:7]
	v_lshl_add_u64 v[4:5], v[2:3], 2, s[6:7]
	v_lshl_add_u64 v[2:3], v[2:3], 1, s[8:9]
	global_load_b32 v1, v[4:5], off
	global_load_u16 v2, v[2:3], off
	s_wait_loadcnt 0x1
	v_subrev_nc_u32_e32 v1, s18, v1
	s_wait_loadcnt 0x0
	v_cvt_f32_f16_e32 v2, v2
	global_load_u16 v1, v1, s[10:11] scale_offset
	v_mul_f32_e32 v2, s16, v2
	s_wait_loadcnt 0x0
	v_cvt_f32_f16_e32 v1, v1
	s_delay_alu instid0(VALU_DEP_1)
	v_mul_f32_e32 v1, v2, v1
.LBB123_20:
	s_or_b32 exec_lo, exec_lo, s4
	v_lshlrev_b32_e32 v2, 2, v0
	ds_store_b32 v2, v1 offset:3072
.LBB123_21:
	s_or_b32 exec_lo, exec_lo, s21
	s_cmp_lt_u32 s3, 11
	s_wait_dscnt 0x0
	s_barrier_signal -1
	s_barrier_wait -1
	s_cbranch_scc0 .LBB123_30
; %bb.22:
	s_sub_co_i32 s4, s20, s15
	s_add_co_i32 s17, s17, s15
	s_cmp_neq_f32 s2, 0
	s_mov_b32 s5, 0
	s_cselect_b32 s6, -1, 0
	s_branch .LBB123_25
.LBB123_23:                             ;   in Loop: Header=BB123_25 Depth=1
	global_store_b32 v[2:3], v1, off
.LBB123_24:                             ;   in Loop: Header=BB123_25 Depth=1
	s_wait_xcnt 0x0
	s_or_b32 exec_lo, exec_lo, s7
	s_addk_co_i32 s5, 0x100
	s_delay_alu instid0(SALU_CYCLE_1)
	s_cmp_lt_u32 s5, s14
	s_cbranch_scc0 .LBB123_30
.LBB123_25:                             ; =>This Loop Header: Depth=1
                                        ;     Child Loop BB123_27 Depth 2
	v_add_nc_u32_e32 v1, s5, v0
	s_mov_b32 s7, exec_lo
	s_delay_alu instid0(VALU_DEP_1)
	v_cmpx_gt_u32_e64 s4, v1
	s_cbranch_execz .LBB123_24
; %bb.26:                               ;   in Loop: Header=BB123_25 Depth=1
	v_dual_add_nc_u32 v2, s17, v1 :: v_dual_lshlrev_b32 v1, s3, v1
	s_mov_b32 s8, 1
	global_load_b32 v2, v2, s[12:13] scale_offset
	v_dual_lshlrev_b32 v3, 2, v1 :: v_dual_mov_b32 v1, 0
.LBB123_27:                             ;   Parent Loop BB123_25 Depth=1
                                        ; =>  This Inner Loop Header: Depth=2
	ds_load_b32 v4, v3
	v_add_nc_u32_e32 v3, 4, v3
	s_lshr_b32 s9, s8, s3
	s_add_co_i32 s8, s8, 1
	s_cmp_lg_u32 s9, 0
	s_wait_dscnt 0x0
	v_add_f32_e32 v1, v1, v4
	s_cbranch_scc0 .LBB123_27
; %bb.28:                               ;   in Loop: Header=BB123_25 Depth=1
	s_wait_loadcnt 0x0
	v_ashrrev_i32_e32 v3, 31, v2
	s_and_b32 vcc_lo, exec_lo, s6
	s_wait_kmcnt 0x0
	s_wait_xcnt 0x0
	s_delay_alu instid0(VALU_DEP_1)
	v_lshl_add_u64 v[2:3], v[2:3], 2, s[0:1]
	s_cbranch_vccz .LBB123_23
; %bb.29:                               ;   in Loop: Header=BB123_25 Depth=1
	global_load_b32 v4, v[2:3], off
	s_wait_loadcnt 0x0
	v_fmac_f32_e32 v1, s2, v4
	s_branch .LBB123_23
.LBB123_30:
	s_endpgm
	.section	.rodata,"a",@progbits
	.p2align	6, 0x0
	.amdhsa_kernel _ZN9rocsparseL30csrmvn_lrb_short_rows_2_kernelIliDF16_DF16_ffEEvbT_PT0_S3_jNS_24const_host_device_scalarIT4_EEPKS1_PKS2_PKT1_PKT2_S6_PT3_21rocsparse_index_base_b
		.amdhsa_group_segment_fixed_size 4096
		.amdhsa_private_segment_fixed_size 0
		.amdhsa_kernarg_size 104
		.amdhsa_user_sgpr_count 2
		.amdhsa_user_sgpr_dispatch_ptr 0
		.amdhsa_user_sgpr_queue_ptr 0
		.amdhsa_user_sgpr_kernarg_segment_ptr 1
		.amdhsa_user_sgpr_dispatch_id 0
		.amdhsa_user_sgpr_kernarg_preload_length 0
		.amdhsa_user_sgpr_kernarg_preload_offset 0
		.amdhsa_user_sgpr_private_segment_size 0
		.amdhsa_wavefront_size32 1
		.amdhsa_uses_dynamic_stack 0
		.amdhsa_enable_private_segment 0
		.amdhsa_system_sgpr_workgroup_id_x 1
		.amdhsa_system_sgpr_workgroup_id_y 0
		.amdhsa_system_sgpr_workgroup_id_z 0
		.amdhsa_system_sgpr_workgroup_info 0
		.amdhsa_system_vgpr_workitem_id 0
		.amdhsa_next_free_vgpr 8
		.amdhsa_next_free_sgpr 23
		.amdhsa_named_barrier_count 0
		.amdhsa_reserve_vcc 1
		.amdhsa_float_round_mode_32 0
		.amdhsa_float_round_mode_16_64 0
		.amdhsa_float_denorm_mode_32 3
		.amdhsa_float_denorm_mode_16_64 3
		.amdhsa_fp16_overflow 0
		.amdhsa_memory_ordered 1
		.amdhsa_forward_progress 1
		.amdhsa_inst_pref_size 12
		.amdhsa_round_robin_scheduling 0
		.amdhsa_exception_fp_ieee_invalid_op 0
		.amdhsa_exception_fp_denorm_src 0
		.amdhsa_exception_fp_ieee_div_zero 0
		.amdhsa_exception_fp_ieee_overflow 0
		.amdhsa_exception_fp_ieee_underflow 0
		.amdhsa_exception_fp_ieee_inexact 0
		.amdhsa_exception_int_div_zero 0
	.end_amdhsa_kernel
	.section	.text._ZN9rocsparseL30csrmvn_lrb_short_rows_2_kernelIliDF16_DF16_ffEEvbT_PT0_S3_jNS_24const_host_device_scalarIT4_EEPKS1_PKS2_PKT1_PKT2_S6_PT3_21rocsparse_index_base_b,"axG",@progbits,_ZN9rocsparseL30csrmvn_lrb_short_rows_2_kernelIliDF16_DF16_ffEEvbT_PT0_S3_jNS_24const_host_device_scalarIT4_EEPKS1_PKS2_PKT1_PKT2_S6_PT3_21rocsparse_index_base_b,comdat
.Lfunc_end123:
	.size	_ZN9rocsparseL30csrmvn_lrb_short_rows_2_kernelIliDF16_DF16_ffEEvbT_PT0_S3_jNS_24const_host_device_scalarIT4_EEPKS1_PKS2_PKT1_PKT2_S6_PT3_21rocsparse_index_base_b, .Lfunc_end123-_ZN9rocsparseL30csrmvn_lrb_short_rows_2_kernelIliDF16_DF16_ffEEvbT_PT0_S3_jNS_24const_host_device_scalarIT4_EEPKS1_PKS2_PKT1_PKT2_S6_PT3_21rocsparse_index_base_b
                                        ; -- End function
	.set _ZN9rocsparseL30csrmvn_lrb_short_rows_2_kernelIliDF16_DF16_ffEEvbT_PT0_S3_jNS_24const_host_device_scalarIT4_EEPKS1_PKS2_PKT1_PKT2_S6_PT3_21rocsparse_index_base_b.num_vgpr, 8
	.set _ZN9rocsparseL30csrmvn_lrb_short_rows_2_kernelIliDF16_DF16_ffEEvbT_PT0_S3_jNS_24const_host_device_scalarIT4_EEPKS1_PKS2_PKT1_PKT2_S6_PT3_21rocsparse_index_base_b.num_agpr, 0
	.set _ZN9rocsparseL30csrmvn_lrb_short_rows_2_kernelIliDF16_DF16_ffEEvbT_PT0_S3_jNS_24const_host_device_scalarIT4_EEPKS1_PKS2_PKT1_PKT2_S6_PT3_21rocsparse_index_base_b.numbered_sgpr, 23
	.set _ZN9rocsparseL30csrmvn_lrb_short_rows_2_kernelIliDF16_DF16_ffEEvbT_PT0_S3_jNS_24const_host_device_scalarIT4_EEPKS1_PKS2_PKT1_PKT2_S6_PT3_21rocsparse_index_base_b.num_named_barrier, 0
	.set _ZN9rocsparseL30csrmvn_lrb_short_rows_2_kernelIliDF16_DF16_ffEEvbT_PT0_S3_jNS_24const_host_device_scalarIT4_EEPKS1_PKS2_PKT1_PKT2_S6_PT3_21rocsparse_index_base_b.private_seg_size, 0
	.set _ZN9rocsparseL30csrmvn_lrb_short_rows_2_kernelIliDF16_DF16_ffEEvbT_PT0_S3_jNS_24const_host_device_scalarIT4_EEPKS1_PKS2_PKT1_PKT2_S6_PT3_21rocsparse_index_base_b.uses_vcc, 1
	.set _ZN9rocsparseL30csrmvn_lrb_short_rows_2_kernelIliDF16_DF16_ffEEvbT_PT0_S3_jNS_24const_host_device_scalarIT4_EEPKS1_PKS2_PKT1_PKT2_S6_PT3_21rocsparse_index_base_b.uses_flat_scratch, 0
	.set _ZN9rocsparseL30csrmvn_lrb_short_rows_2_kernelIliDF16_DF16_ffEEvbT_PT0_S3_jNS_24const_host_device_scalarIT4_EEPKS1_PKS2_PKT1_PKT2_S6_PT3_21rocsparse_index_base_b.has_dyn_sized_stack, 0
	.set _ZN9rocsparseL30csrmvn_lrb_short_rows_2_kernelIliDF16_DF16_ffEEvbT_PT0_S3_jNS_24const_host_device_scalarIT4_EEPKS1_PKS2_PKT1_PKT2_S6_PT3_21rocsparse_index_base_b.has_recursion, 0
	.set _ZN9rocsparseL30csrmvn_lrb_short_rows_2_kernelIliDF16_DF16_ffEEvbT_PT0_S3_jNS_24const_host_device_scalarIT4_EEPKS1_PKS2_PKT1_PKT2_S6_PT3_21rocsparse_index_base_b.has_indirect_call, 0
	.section	.AMDGPU.csdata,"",@progbits
; Kernel info:
; codeLenInByte = 1480
; TotalNumSgprs: 25
; NumVgprs: 8
; ScratchSize: 0
; MemoryBound: 0
; FloatMode: 240
; IeeeMode: 1
; LDSByteSize: 4096 bytes/workgroup (compile time only)
; SGPRBlocks: 0
; VGPRBlocks: 0
; NumSGPRsForWavesPerEU: 25
; NumVGPRsForWavesPerEU: 8
; NamedBarCnt: 0
; Occupancy: 16
; WaveLimiterHint : 1
; COMPUTE_PGM_RSRC2:SCRATCH_EN: 0
; COMPUTE_PGM_RSRC2:USER_SGPR: 2
; COMPUTE_PGM_RSRC2:TRAP_HANDLER: 0
; COMPUTE_PGM_RSRC2:TGID_X_EN: 1
; COMPUTE_PGM_RSRC2:TGID_Y_EN: 0
; COMPUTE_PGM_RSRC2:TGID_Z_EN: 0
; COMPUTE_PGM_RSRC2:TIDIG_COMP_CNT: 0
	.section	.text._ZN9rocsparseL41csrmvn_lrb_medium_rows_warp_reduce_kernelILj256ELj32EliDF16_DF16_ffEEvbT1_lPT2_S3_jNS_24const_host_device_scalarIT6_EEPKS1_PKS2_PKT3_PKT4_S6_PT5_21rocsparse_index_base_b,"axG",@progbits,_ZN9rocsparseL41csrmvn_lrb_medium_rows_warp_reduce_kernelILj256ELj32EliDF16_DF16_ffEEvbT1_lPT2_S3_jNS_24const_host_device_scalarIT6_EEPKS1_PKS2_PKT3_PKT4_S6_PT5_21rocsparse_index_base_b,comdat
	.globl	_ZN9rocsparseL41csrmvn_lrb_medium_rows_warp_reduce_kernelILj256ELj32EliDF16_DF16_ffEEvbT1_lPT2_S3_jNS_24const_host_device_scalarIT6_EEPKS1_PKS2_PKT3_PKT4_S6_PT5_21rocsparse_index_base_b ; -- Begin function _ZN9rocsparseL41csrmvn_lrb_medium_rows_warp_reduce_kernelILj256ELj32EliDF16_DF16_ffEEvbT1_lPT2_S3_jNS_24const_host_device_scalarIT6_EEPKS1_PKS2_PKT3_PKT4_S6_PT5_21rocsparse_index_base_b
	.p2align	8
	.type	_ZN9rocsparseL41csrmvn_lrb_medium_rows_warp_reduce_kernelILj256ELj32EliDF16_DF16_ffEEvbT1_lPT2_S3_jNS_24const_host_device_scalarIT6_EEPKS1_PKS2_PKT3_PKT4_S6_PT5_21rocsparse_index_base_b,@function
_ZN9rocsparseL41csrmvn_lrb_medium_rows_warp_reduce_kernelILj256ELj32EliDF16_DF16_ffEEvbT1_lPT2_S3_jNS_24const_host_device_scalarIT6_EEPKS1_PKS2_PKT3_PKT4_S6_PT5_21rocsparse_index_base_b: ; @_ZN9rocsparseL41csrmvn_lrb_medium_rows_warp_reduce_kernelILj256ELj32EliDF16_DF16_ffEEvbT1_lPT2_S3_jNS_24const_host_device_scalarIT6_EEPKS1_PKS2_PKT3_PKT4_S6_PT5_21rocsparse_index_base_b
; %bb.0:
	s_clause 0x2
	s_load_b64 s[4:5], s[0:1], 0x68
	s_load_b64 s[6:7], s[0:1], 0x30
	;; [unrolled: 1-line block ×3, first 2 shown]
	s_wait_kmcnt 0x0
	s_bitcmp1_b32 s5, 0
	s_cselect_b32 s5, -1, 0
	s_delay_alu instid0(SALU_CYCLE_1)
	s_and_b32 vcc_lo, exec_lo, s5
	s_xor_b32 s5, s5, -1
	s_cbranch_vccnz .LBB124_2
; %bb.1:
	s_load_b32 s6, s[6:7], 0x0
.LBB124_2:
	s_and_not1_b32 vcc_lo, exec_lo, s5
	s_cbranch_vccnz .LBB124_4
; %bb.3:
	s_load_b32 s2, s[2:3], 0x0
.LBB124_4:
	s_wait_kmcnt 0x0
	s_cmp_neq_f32 s6, 0
	s_cselect_b32 s3, -1, 0
	s_cmp_neq_f32 s2, 1.0
	s_cselect_b32 s5, -1, 0
	s_delay_alu instid0(SALU_CYCLE_1) | instskip(NEXT) | instid1(SALU_CYCLE_1)
	s_or_b32 s3, s3, s5
	s_and_not1_b32 vcc_lo, exec_lo, s3
	s_cbranch_vccnz .LBB124_14
; %bb.5:
	s_bfe_u32 s3, ttmp6, 0x4000c
	s_load_b64 s[8:9], s[0:1], 0x10
	s_add_co_i32 s3, s3, 1
	s_and_b32 s5, ttmp6, 15
	s_mul_i32 s3, ttmp9, s3
	s_getreg_b32 s7, hwreg(HW_REG_IB_STS2, 6, 4)
	v_lshrrev_b32_e32 v1, 5, v0
	s_add_co_i32 s5, s5, s3
	s_cmp_eq_u32 s7, 0
	s_cselect_b32 s3, ttmp9, s5
	s_delay_alu instid0(VALU_DEP_1) | instid1(SALU_CYCLE_1)
	v_lshl_or_b32 v2, s3, 3, v1
	s_mov_b32 s3, exec_lo
	s_delay_alu instid0(VALU_DEP_1) | instskip(SKIP_1) | instid1(VALU_DEP_1)
	v_ashrrev_i32_e32 v3, 31, v2
	s_wait_kmcnt 0x0
	v_cmpx_gt_i64_e64 s[8:9], v[2:3]
	s_cbranch_execz .LBB124_14
; %bb.6:
	s_clause 0x1
	s_load_b128 s[8:11], s[0:1], 0x18
	s_load_b32 s3, s[0:1], 0x28
	v_and_b32_e32 v0, 31, v0
	s_mov_b32 s5, 0
	s_wait_kmcnt 0x0
	s_load_b32 s3, s[10:11], s3 offset:0x0 scale_offset
	s_wait_kmcnt 0x0
	v_add_nc_u32_e32 v1, s3, v2
	s_mov_b32 s3, exec_lo
	global_load_b32 v2, v1, s[8:9] scale_offset
	s_wait_xcnt 0x0
	s_load_b64 s[8:9], s[0:1], 0x38
	v_mov_b32_e32 v1, 0
	s_delay_alu instid0(VALU_DEP_1) | instskip(SKIP_3) | instid1(VALU_DEP_1)
	v_sub_nc_u64_e64 v[10:11], v[0:1], s[4:5]
	s_wait_loadcnt 0x0
	v_ashrrev_i32_e32 v3, 31, v2
	s_wait_kmcnt 0x0
	v_lshl_add_u64 v[4:5], v[2:3], 3, s[8:9]
	global_load_b128 v[6:9], v[4:5], off
	s_wait_loadcnt 0x0
	v_sub_nc_u64_e64 v[4:5], v[8:9], s[4:5]
	v_add_nc_u64_e32 v[6:7], v[6:7], v[10:11]
	s_delay_alu instid0(VALU_DEP_1)
	v_cmpx_lt_i64_e64 v[6:7], v[4:5]
	s_cbranch_execz .LBB124_10
; %bb.7:
	s_clause 0x1
	s_load_b128 s[12:15], s[0:1], 0x40
	s_load_b64 s[8:9], s[0:1], 0x50
	v_mov_b32_e32 v1, 0
	s_wait_kmcnt 0x0
	v_lshl_add_u64 v[8:9], v[6:7], 1, s[14:15]
	v_lshl_add_u64 v[10:11], v[6:7], 2, s[12:13]
.LBB124_8:                              ; =>This Inner Loop Header: Depth=1
	global_load_b32 v12, v[10:11], off
	global_load_u16 v13, v[8:9], off
	v_add_nc_u64_e32 v[6:7], 32, v[6:7]
	s_wait_xcnt 0x0
	v_add_nc_u64_e32 v[8:9], 64, v[8:9]
	v_add_nc_u64_e32 v[10:11], 0x80, v[10:11]
	s_delay_alu instid0(VALU_DEP_3)
	v_cmp_ge_i64_e32 vcc_lo, v[6:7], v[4:5]
	s_or_b32 s5, vcc_lo, s5
	s_wait_loadcnt 0x1
	v_subrev_nc_u32_e32 v12, s4, v12
	s_wait_loadcnt 0x0
	v_cvt_f32_f16_e32 v13, v13
	global_load_u16 v12, v12, s[8:9] scale_offset
	v_mul_f32_e32 v13, s6, v13
	s_wait_loadcnt 0x0
	s_delay_alu instid0(VALU_DEP_1)
	v_fma_mix_f32 v1, v13, v12, v1 op_sel_hi:[0,1,0]
	s_and_not1_b32 exec_lo, exec_lo, s5
	s_cbranch_execnz .LBB124_8
; %bb.9:
	s_or_b32 exec_lo, exec_lo, s5
.LBB124_10:
	s_delay_alu instid0(SALU_CYCLE_1) | instskip(SKIP_2) | instid1(VALU_DEP_1)
	s_or_b32 exec_lo, exec_lo, s3
	v_mbcnt_lo_u32_b32 v4, -1, 0
	s_load_b64 s[0:1], s[0:1], 0x60
	v_xor_b32_e32 v6, 8, v4
	v_xor_b32_e32 v5, 16, v4
	s_delay_alu instid0(VALU_DEP_1) | instskip(SKIP_1) | instid1(VALU_DEP_4)
	v_cmp_gt_i32_e32 vcc_lo, 32, v5
	v_cndmask_b32_e32 v5, v4, v5, vcc_lo
	v_cmp_gt_i32_e32 vcc_lo, 32, v6
	v_cndmask_b32_e32 v6, v4, v6, vcc_lo
	s_delay_alu instid0(VALU_DEP_1)
	v_dual_lshlrev_b32 v6, 2, v6 :: v_dual_lshlrev_b32 v5, 2, v5
	ds_bpermute_b32 v5, v5, v1
	s_wait_dscnt 0x0
	v_add_f32_e32 v1, v1, v5
	ds_bpermute_b32 v5, v6, v1
	v_xor_b32_e32 v6, 4, v4
	s_delay_alu instid0(VALU_DEP_1) | instskip(SKIP_2) | instid1(VALU_DEP_1)
	v_cmp_gt_i32_e32 vcc_lo, 32, v6
	s_wait_dscnt 0x0
	v_dual_cndmask_b32 v6, v4, v6 :: v_dual_add_f32 v1, v1, v5
	v_lshlrev_b32_e32 v6, 2, v6
	ds_bpermute_b32 v5, v6, v1
	s_wait_dscnt 0x0
	v_dual_add_f32 v1, v1, v5 :: v_dual_bitop2_b32 v6, 2, v4 bitop3:0x14
	s_delay_alu instid0(VALU_DEP_1) | instskip(SKIP_1) | instid1(VALU_DEP_1)
	v_cmp_gt_i32_e32 vcc_lo, 32, v6
	v_cndmask_b32_e32 v6, v4, v6, vcc_lo
	v_lshlrev_b32_e32 v6, 2, v6
	ds_bpermute_b32 v5, v6, v1
	v_xor_b32_e32 v6, 1, v4
	s_delay_alu instid0(VALU_DEP_1) | instskip(SKIP_3) | instid1(VALU_DEP_2)
	v_cmp_gt_i32_e32 vcc_lo, 32, v6
	v_cndmask_b32_e32 v4, v4, v6, vcc_lo
	v_cmp_eq_u32_e32 vcc_lo, 31, v0
	s_wait_dscnt 0x0
	v_dual_add_f32 v1, v1, v5 :: v_dual_lshlrev_b32 v4, 2, v4
	ds_bpermute_b32 v4, v4, v1
	s_and_b32 exec_lo, exec_lo, vcc_lo
	s_cbranch_execz .LBB124_14
; %bb.11:
	s_wait_dscnt 0x0
	v_add_f32_e32 v4, v1, v4
	s_wait_kmcnt 0x0
	v_lshl_add_u64 v[0:1], v[2:3], 2, s[0:1]
	s_cmp_eq_f32 s2, 0
	s_cbranch_scc1 .LBB124_13
; %bb.12:
	global_load_b32 v2, v[0:1], off
	s_wait_loadcnt 0x0
	v_fmac_f32_e32 v4, s2, v2
.LBB124_13:
	global_store_b32 v[0:1], v4, off
.LBB124_14:
	s_endpgm
	.section	.rodata,"a",@progbits
	.p2align	6, 0x0
	.amdhsa_kernel _ZN9rocsparseL41csrmvn_lrb_medium_rows_warp_reduce_kernelILj256ELj32EliDF16_DF16_ffEEvbT1_lPT2_S3_jNS_24const_host_device_scalarIT6_EEPKS1_PKS2_PKT3_PKT4_S6_PT5_21rocsparse_index_base_b
		.amdhsa_group_segment_fixed_size 0
		.amdhsa_private_segment_fixed_size 0
		.amdhsa_kernarg_size 112
		.amdhsa_user_sgpr_count 2
		.amdhsa_user_sgpr_dispatch_ptr 0
		.amdhsa_user_sgpr_queue_ptr 0
		.amdhsa_user_sgpr_kernarg_segment_ptr 1
		.amdhsa_user_sgpr_dispatch_id 0
		.amdhsa_user_sgpr_kernarg_preload_length 0
		.amdhsa_user_sgpr_kernarg_preload_offset 0
		.amdhsa_user_sgpr_private_segment_size 0
		.amdhsa_wavefront_size32 1
		.amdhsa_uses_dynamic_stack 0
		.amdhsa_enable_private_segment 0
		.amdhsa_system_sgpr_workgroup_id_x 1
		.amdhsa_system_sgpr_workgroup_id_y 0
		.amdhsa_system_sgpr_workgroup_id_z 0
		.amdhsa_system_sgpr_workgroup_info 0
		.amdhsa_system_vgpr_workitem_id 0
		.amdhsa_next_free_vgpr 14
		.amdhsa_next_free_sgpr 16
		.amdhsa_named_barrier_count 0
		.amdhsa_reserve_vcc 1
		.amdhsa_float_round_mode_32 0
		.amdhsa_float_round_mode_16_64 0
		.amdhsa_float_denorm_mode_32 3
		.amdhsa_float_denorm_mode_16_64 3
		.amdhsa_fp16_overflow 0
		.amdhsa_memory_ordered 1
		.amdhsa_forward_progress 1
		.amdhsa_inst_pref_size 7
		.amdhsa_round_robin_scheduling 0
		.amdhsa_exception_fp_ieee_invalid_op 0
		.amdhsa_exception_fp_denorm_src 0
		.amdhsa_exception_fp_ieee_div_zero 0
		.amdhsa_exception_fp_ieee_overflow 0
		.amdhsa_exception_fp_ieee_underflow 0
		.amdhsa_exception_fp_ieee_inexact 0
		.amdhsa_exception_int_div_zero 0
	.end_amdhsa_kernel
	.section	.text._ZN9rocsparseL41csrmvn_lrb_medium_rows_warp_reduce_kernelILj256ELj32EliDF16_DF16_ffEEvbT1_lPT2_S3_jNS_24const_host_device_scalarIT6_EEPKS1_PKS2_PKT3_PKT4_S6_PT5_21rocsparse_index_base_b,"axG",@progbits,_ZN9rocsparseL41csrmvn_lrb_medium_rows_warp_reduce_kernelILj256ELj32EliDF16_DF16_ffEEvbT1_lPT2_S3_jNS_24const_host_device_scalarIT6_EEPKS1_PKS2_PKT3_PKT4_S6_PT5_21rocsparse_index_base_b,comdat
.Lfunc_end124:
	.size	_ZN9rocsparseL41csrmvn_lrb_medium_rows_warp_reduce_kernelILj256ELj32EliDF16_DF16_ffEEvbT1_lPT2_S3_jNS_24const_host_device_scalarIT6_EEPKS1_PKS2_PKT3_PKT4_S6_PT5_21rocsparse_index_base_b, .Lfunc_end124-_ZN9rocsparseL41csrmvn_lrb_medium_rows_warp_reduce_kernelILj256ELj32EliDF16_DF16_ffEEvbT1_lPT2_S3_jNS_24const_host_device_scalarIT6_EEPKS1_PKS2_PKT3_PKT4_S6_PT5_21rocsparse_index_base_b
                                        ; -- End function
	.set _ZN9rocsparseL41csrmvn_lrb_medium_rows_warp_reduce_kernelILj256ELj32EliDF16_DF16_ffEEvbT1_lPT2_S3_jNS_24const_host_device_scalarIT6_EEPKS1_PKS2_PKT3_PKT4_S6_PT5_21rocsparse_index_base_b.num_vgpr, 14
	.set _ZN9rocsparseL41csrmvn_lrb_medium_rows_warp_reduce_kernelILj256ELj32EliDF16_DF16_ffEEvbT1_lPT2_S3_jNS_24const_host_device_scalarIT6_EEPKS1_PKS2_PKT3_PKT4_S6_PT5_21rocsparse_index_base_b.num_agpr, 0
	.set _ZN9rocsparseL41csrmvn_lrb_medium_rows_warp_reduce_kernelILj256ELj32EliDF16_DF16_ffEEvbT1_lPT2_S3_jNS_24const_host_device_scalarIT6_EEPKS1_PKS2_PKT3_PKT4_S6_PT5_21rocsparse_index_base_b.numbered_sgpr, 16
	.set _ZN9rocsparseL41csrmvn_lrb_medium_rows_warp_reduce_kernelILj256ELj32EliDF16_DF16_ffEEvbT1_lPT2_S3_jNS_24const_host_device_scalarIT6_EEPKS1_PKS2_PKT3_PKT4_S6_PT5_21rocsparse_index_base_b.num_named_barrier, 0
	.set _ZN9rocsparseL41csrmvn_lrb_medium_rows_warp_reduce_kernelILj256ELj32EliDF16_DF16_ffEEvbT1_lPT2_S3_jNS_24const_host_device_scalarIT6_EEPKS1_PKS2_PKT3_PKT4_S6_PT5_21rocsparse_index_base_b.private_seg_size, 0
	.set _ZN9rocsparseL41csrmvn_lrb_medium_rows_warp_reduce_kernelILj256ELj32EliDF16_DF16_ffEEvbT1_lPT2_S3_jNS_24const_host_device_scalarIT6_EEPKS1_PKS2_PKT3_PKT4_S6_PT5_21rocsparse_index_base_b.uses_vcc, 1
	.set _ZN9rocsparseL41csrmvn_lrb_medium_rows_warp_reduce_kernelILj256ELj32EliDF16_DF16_ffEEvbT1_lPT2_S3_jNS_24const_host_device_scalarIT6_EEPKS1_PKS2_PKT3_PKT4_S6_PT5_21rocsparse_index_base_b.uses_flat_scratch, 0
	.set _ZN9rocsparseL41csrmvn_lrb_medium_rows_warp_reduce_kernelILj256ELj32EliDF16_DF16_ffEEvbT1_lPT2_S3_jNS_24const_host_device_scalarIT6_EEPKS1_PKS2_PKT3_PKT4_S6_PT5_21rocsparse_index_base_b.has_dyn_sized_stack, 0
	.set _ZN9rocsparseL41csrmvn_lrb_medium_rows_warp_reduce_kernelILj256ELj32EliDF16_DF16_ffEEvbT1_lPT2_S3_jNS_24const_host_device_scalarIT6_EEPKS1_PKS2_PKT3_PKT4_S6_PT5_21rocsparse_index_base_b.has_recursion, 0
	.set _ZN9rocsparseL41csrmvn_lrb_medium_rows_warp_reduce_kernelILj256ELj32EliDF16_DF16_ffEEvbT1_lPT2_S3_jNS_24const_host_device_scalarIT6_EEPKS1_PKS2_PKT3_PKT4_S6_PT5_21rocsparse_index_base_b.has_indirect_call, 0
	.section	.AMDGPU.csdata,"",@progbits
; Kernel info:
; codeLenInByte = 800
; TotalNumSgprs: 18
; NumVgprs: 14
; ScratchSize: 0
; MemoryBound: 0
; FloatMode: 240
; IeeeMode: 1
; LDSByteSize: 0 bytes/workgroup (compile time only)
; SGPRBlocks: 0
; VGPRBlocks: 0
; NumSGPRsForWavesPerEU: 18
; NumVGPRsForWavesPerEU: 14
; NamedBarCnt: 0
; Occupancy: 16
; WaveLimiterHint : 1
; COMPUTE_PGM_RSRC2:SCRATCH_EN: 0
; COMPUTE_PGM_RSRC2:USER_SGPR: 2
; COMPUTE_PGM_RSRC2:TRAP_HANDLER: 0
; COMPUTE_PGM_RSRC2:TGID_X_EN: 1
; COMPUTE_PGM_RSRC2:TGID_Y_EN: 0
; COMPUTE_PGM_RSRC2:TGID_Z_EN: 0
; COMPUTE_PGM_RSRC2:TIDIG_COMP_CNT: 0
	.section	.text._ZN9rocsparseL41csrmvn_lrb_medium_rows_warp_reduce_kernelILj256ELj64EliDF16_DF16_ffEEvbT1_lPT2_S3_jNS_24const_host_device_scalarIT6_EEPKS1_PKS2_PKT3_PKT4_S6_PT5_21rocsparse_index_base_b,"axG",@progbits,_ZN9rocsparseL41csrmvn_lrb_medium_rows_warp_reduce_kernelILj256ELj64EliDF16_DF16_ffEEvbT1_lPT2_S3_jNS_24const_host_device_scalarIT6_EEPKS1_PKS2_PKT3_PKT4_S6_PT5_21rocsparse_index_base_b,comdat
	.globl	_ZN9rocsparseL41csrmvn_lrb_medium_rows_warp_reduce_kernelILj256ELj64EliDF16_DF16_ffEEvbT1_lPT2_S3_jNS_24const_host_device_scalarIT6_EEPKS1_PKS2_PKT3_PKT4_S6_PT5_21rocsparse_index_base_b ; -- Begin function _ZN9rocsparseL41csrmvn_lrb_medium_rows_warp_reduce_kernelILj256ELj64EliDF16_DF16_ffEEvbT1_lPT2_S3_jNS_24const_host_device_scalarIT6_EEPKS1_PKS2_PKT3_PKT4_S6_PT5_21rocsparse_index_base_b
	.p2align	8
	.type	_ZN9rocsparseL41csrmvn_lrb_medium_rows_warp_reduce_kernelILj256ELj64EliDF16_DF16_ffEEvbT1_lPT2_S3_jNS_24const_host_device_scalarIT6_EEPKS1_PKS2_PKT3_PKT4_S6_PT5_21rocsparse_index_base_b,@function
_ZN9rocsparseL41csrmvn_lrb_medium_rows_warp_reduce_kernelILj256ELj64EliDF16_DF16_ffEEvbT1_lPT2_S3_jNS_24const_host_device_scalarIT6_EEPKS1_PKS2_PKT3_PKT4_S6_PT5_21rocsparse_index_base_b: ; @_ZN9rocsparseL41csrmvn_lrb_medium_rows_warp_reduce_kernelILj256ELj64EliDF16_DF16_ffEEvbT1_lPT2_S3_jNS_24const_host_device_scalarIT6_EEPKS1_PKS2_PKT3_PKT4_S6_PT5_21rocsparse_index_base_b
; %bb.0:
	s_clause 0x2
	s_load_b64 s[4:5], s[0:1], 0x68
	s_load_b64 s[6:7], s[0:1], 0x30
	;; [unrolled: 1-line block ×3, first 2 shown]
	s_wait_kmcnt 0x0
	s_bitcmp1_b32 s5, 0
	s_cselect_b32 s5, -1, 0
	s_delay_alu instid0(SALU_CYCLE_1)
	s_and_b32 vcc_lo, exec_lo, s5
	s_xor_b32 s5, s5, -1
	s_cbranch_vccnz .LBB125_2
; %bb.1:
	s_load_b32 s6, s[6:7], 0x0
.LBB125_2:
	s_and_not1_b32 vcc_lo, exec_lo, s5
	s_cbranch_vccnz .LBB125_4
; %bb.3:
	s_load_b32 s2, s[2:3], 0x0
.LBB125_4:
	s_wait_kmcnt 0x0
	s_cmp_neq_f32 s6, 0
	s_cselect_b32 s3, -1, 0
	s_cmp_neq_f32 s2, 1.0
	s_cselect_b32 s5, -1, 0
	s_delay_alu instid0(SALU_CYCLE_1) | instskip(NEXT) | instid1(SALU_CYCLE_1)
	s_or_b32 s3, s3, s5
	s_and_not1_b32 vcc_lo, exec_lo, s3
	s_cbranch_vccnz .LBB125_14
; %bb.5:
	s_bfe_u32 s3, ttmp6, 0x4000c
	s_load_b64 s[8:9], s[0:1], 0x10
	s_add_co_i32 s3, s3, 1
	s_and_b32 s5, ttmp6, 15
	s_mul_i32 s3, ttmp9, s3
	s_getreg_b32 s7, hwreg(HW_REG_IB_STS2, 6, 4)
	v_lshrrev_b32_e32 v1, 6, v0
	s_add_co_i32 s5, s5, s3
	s_cmp_eq_u32 s7, 0
	s_cselect_b32 s3, ttmp9, s5
	s_delay_alu instid0(VALU_DEP_1) | instid1(SALU_CYCLE_1)
	v_lshl_or_b32 v2, s3, 2, v1
	s_mov_b32 s3, exec_lo
	s_delay_alu instid0(VALU_DEP_1) | instskip(SKIP_1) | instid1(VALU_DEP_1)
	v_ashrrev_i32_e32 v3, 31, v2
	s_wait_kmcnt 0x0
	v_cmpx_gt_i64_e64 s[8:9], v[2:3]
	s_cbranch_execz .LBB125_14
; %bb.6:
	s_clause 0x1
	s_load_b128 s[8:11], s[0:1], 0x18
	s_load_b32 s3, s[0:1], 0x28
	v_and_b32_e32 v0, 63, v0
	s_mov_b32 s5, 0
	s_wait_kmcnt 0x0
	s_load_b32 s3, s[10:11], s3 offset:0x0 scale_offset
	s_wait_kmcnt 0x0
	v_add_nc_u32_e32 v1, s3, v2
	s_mov_b32 s3, exec_lo
	global_load_b32 v2, v1, s[8:9] scale_offset
	s_wait_xcnt 0x0
	s_load_b64 s[8:9], s[0:1], 0x38
	v_mov_b32_e32 v1, 0
	s_delay_alu instid0(VALU_DEP_1) | instskip(SKIP_3) | instid1(VALU_DEP_1)
	v_sub_nc_u64_e64 v[10:11], v[0:1], s[4:5]
	s_wait_loadcnt 0x0
	v_ashrrev_i32_e32 v3, 31, v2
	s_wait_kmcnt 0x0
	v_lshl_add_u64 v[4:5], v[2:3], 3, s[8:9]
	global_load_b128 v[6:9], v[4:5], off
	s_wait_loadcnt 0x0
	v_sub_nc_u64_e64 v[4:5], v[8:9], s[4:5]
	v_add_nc_u64_e32 v[6:7], v[6:7], v[10:11]
	s_delay_alu instid0(VALU_DEP_1)
	v_cmpx_lt_i64_e64 v[6:7], v[4:5]
	s_cbranch_execz .LBB125_10
; %bb.7:
	s_clause 0x1
	s_load_b128 s[12:15], s[0:1], 0x40
	s_load_b64 s[8:9], s[0:1], 0x50
	v_mov_b32_e32 v1, 0
	s_wait_kmcnt 0x0
	v_lshl_add_u64 v[8:9], v[6:7], 1, s[14:15]
	v_lshl_add_u64 v[10:11], v[6:7], 2, s[12:13]
.LBB125_8:                              ; =>This Inner Loop Header: Depth=1
	global_load_b32 v12, v[10:11], off
	global_load_u16 v13, v[8:9], off
	v_add_nc_u64_e32 v[6:7], 64, v[6:7]
	s_wait_xcnt 0x0
	v_add_nc_u64_e32 v[8:9], 0x80, v[8:9]
	v_add_nc_u64_e32 v[10:11], 0x100, v[10:11]
	s_delay_alu instid0(VALU_DEP_3)
	v_cmp_ge_i64_e32 vcc_lo, v[6:7], v[4:5]
	s_or_b32 s5, vcc_lo, s5
	s_wait_loadcnt 0x1
	v_subrev_nc_u32_e32 v12, s4, v12
	s_wait_loadcnt 0x0
	v_cvt_f32_f16_e32 v13, v13
	global_load_u16 v12, v12, s[8:9] scale_offset
	v_mul_f32_e32 v13, s6, v13
	s_wait_loadcnt 0x0
	s_delay_alu instid0(VALU_DEP_1)
	v_fma_mix_f32 v1, v13, v12, v1 op_sel_hi:[0,1,0]
	s_and_not1_b32 exec_lo, exec_lo, s5
	s_cbranch_execnz .LBB125_8
; %bb.9:
	s_or_b32 exec_lo, exec_lo, s5
.LBB125_10:
	s_delay_alu instid0(SALU_CYCLE_1) | instskip(SKIP_2) | instid1(VALU_DEP_1)
	s_or_b32 exec_lo, exec_lo, s3
	v_mbcnt_lo_u32_b32 v4, -1, 0
	s_load_b64 s[0:1], s[0:1], 0x60
	v_xor_b32_e32 v6, 16, v4
	v_or_b32_e32 v5, 32, v4
	s_delay_alu instid0(VALU_DEP_1) | instskip(SKIP_1) | instid1(VALU_DEP_4)
	v_cmp_gt_i32_e32 vcc_lo, 32, v5
	v_cndmask_b32_e32 v5, v4, v5, vcc_lo
	v_cmp_gt_i32_e32 vcc_lo, 32, v6
	v_cndmask_b32_e32 v6, v4, v6, vcc_lo
	s_delay_alu instid0(VALU_DEP_1)
	v_dual_lshlrev_b32 v6, 2, v6 :: v_dual_lshlrev_b32 v5, 2, v5
	ds_bpermute_b32 v5, v5, v1
	s_wait_dscnt 0x0
	v_add_f32_e32 v1, v1, v5
	ds_bpermute_b32 v5, v6, v1
	v_xor_b32_e32 v6, 8, v4
	s_delay_alu instid0(VALU_DEP_1) | instskip(SKIP_2) | instid1(VALU_DEP_1)
	v_cmp_gt_i32_e32 vcc_lo, 32, v6
	s_wait_dscnt 0x0
	v_dual_cndmask_b32 v6, v4, v6 :: v_dual_add_f32 v1, v1, v5
	v_lshlrev_b32_e32 v6, 2, v6
	ds_bpermute_b32 v5, v6, v1
	s_wait_dscnt 0x0
	v_dual_add_f32 v1, v1, v5 :: v_dual_bitop2_b32 v6, 4, v4 bitop3:0x14
	s_delay_alu instid0(VALU_DEP_1) | instskip(SKIP_1) | instid1(VALU_DEP_1)
	v_cmp_gt_i32_e32 vcc_lo, 32, v6
	v_cndmask_b32_e32 v6, v4, v6, vcc_lo
	v_lshlrev_b32_e32 v6, 2, v6
	ds_bpermute_b32 v5, v6, v1
	v_xor_b32_e32 v6, 2, v4
	s_delay_alu instid0(VALU_DEP_1) | instskip(SKIP_2) | instid1(VALU_DEP_1)
	v_cmp_gt_i32_e32 vcc_lo, 32, v6
	v_cndmask_b32_e32 v6, v4, v6, vcc_lo
	s_wait_dscnt 0x0
	v_dual_add_f32 v1, v1, v5 :: v_dual_lshlrev_b32 v6, 2, v6
	ds_bpermute_b32 v5, v6, v1
	v_xor_b32_e32 v6, 1, v4
	s_delay_alu instid0(VALU_DEP_1) | instskip(SKIP_3) | instid1(VALU_DEP_2)
	v_cmp_gt_i32_e32 vcc_lo, 32, v6
	v_cndmask_b32_e32 v4, v4, v6, vcc_lo
	v_cmp_eq_u32_e32 vcc_lo, 63, v0
	s_wait_dscnt 0x0
	v_dual_add_f32 v1, v1, v5 :: v_dual_lshlrev_b32 v4, 2, v4
	ds_bpermute_b32 v4, v4, v1
	s_and_b32 exec_lo, exec_lo, vcc_lo
	s_cbranch_execz .LBB125_14
; %bb.11:
	s_wait_dscnt 0x0
	v_add_f32_e32 v4, v1, v4
	s_wait_kmcnt 0x0
	v_lshl_add_u64 v[0:1], v[2:3], 2, s[0:1]
	s_cmp_eq_f32 s2, 0
	s_cbranch_scc1 .LBB125_13
; %bb.12:
	global_load_b32 v2, v[0:1], off
	s_wait_loadcnt 0x0
	v_fmac_f32_e32 v4, s2, v2
.LBB125_13:
	global_store_b32 v[0:1], v4, off
.LBB125_14:
	s_endpgm
	.section	.rodata,"a",@progbits
	.p2align	6, 0x0
	.amdhsa_kernel _ZN9rocsparseL41csrmvn_lrb_medium_rows_warp_reduce_kernelILj256ELj64EliDF16_DF16_ffEEvbT1_lPT2_S3_jNS_24const_host_device_scalarIT6_EEPKS1_PKS2_PKT3_PKT4_S6_PT5_21rocsparse_index_base_b
		.amdhsa_group_segment_fixed_size 0
		.amdhsa_private_segment_fixed_size 0
		.amdhsa_kernarg_size 112
		.amdhsa_user_sgpr_count 2
		.amdhsa_user_sgpr_dispatch_ptr 0
		.amdhsa_user_sgpr_queue_ptr 0
		.amdhsa_user_sgpr_kernarg_segment_ptr 1
		.amdhsa_user_sgpr_dispatch_id 0
		.amdhsa_user_sgpr_kernarg_preload_length 0
		.amdhsa_user_sgpr_kernarg_preload_offset 0
		.amdhsa_user_sgpr_private_segment_size 0
		.amdhsa_wavefront_size32 1
		.amdhsa_uses_dynamic_stack 0
		.amdhsa_enable_private_segment 0
		.amdhsa_system_sgpr_workgroup_id_x 1
		.amdhsa_system_sgpr_workgroup_id_y 0
		.amdhsa_system_sgpr_workgroup_id_z 0
		.amdhsa_system_sgpr_workgroup_info 0
		.amdhsa_system_vgpr_workitem_id 0
		.amdhsa_next_free_vgpr 14
		.amdhsa_next_free_sgpr 16
		.amdhsa_named_barrier_count 0
		.amdhsa_reserve_vcc 1
		.amdhsa_float_round_mode_32 0
		.amdhsa_float_round_mode_16_64 0
		.amdhsa_float_denorm_mode_32 3
		.amdhsa_float_denorm_mode_16_64 3
		.amdhsa_fp16_overflow 0
		.amdhsa_memory_ordered 1
		.amdhsa_forward_progress 1
		.amdhsa_inst_pref_size 7
		.amdhsa_round_robin_scheduling 0
		.amdhsa_exception_fp_ieee_invalid_op 0
		.amdhsa_exception_fp_denorm_src 0
		.amdhsa_exception_fp_ieee_div_zero 0
		.amdhsa_exception_fp_ieee_overflow 0
		.amdhsa_exception_fp_ieee_underflow 0
		.amdhsa_exception_fp_ieee_inexact 0
		.amdhsa_exception_int_div_zero 0
	.end_amdhsa_kernel
	.section	.text._ZN9rocsparseL41csrmvn_lrb_medium_rows_warp_reduce_kernelILj256ELj64EliDF16_DF16_ffEEvbT1_lPT2_S3_jNS_24const_host_device_scalarIT6_EEPKS1_PKS2_PKT3_PKT4_S6_PT5_21rocsparse_index_base_b,"axG",@progbits,_ZN9rocsparseL41csrmvn_lrb_medium_rows_warp_reduce_kernelILj256ELj64EliDF16_DF16_ffEEvbT1_lPT2_S3_jNS_24const_host_device_scalarIT6_EEPKS1_PKS2_PKT3_PKT4_S6_PT5_21rocsparse_index_base_b,comdat
.Lfunc_end125:
	.size	_ZN9rocsparseL41csrmvn_lrb_medium_rows_warp_reduce_kernelILj256ELj64EliDF16_DF16_ffEEvbT1_lPT2_S3_jNS_24const_host_device_scalarIT6_EEPKS1_PKS2_PKT3_PKT4_S6_PT5_21rocsparse_index_base_b, .Lfunc_end125-_ZN9rocsparseL41csrmvn_lrb_medium_rows_warp_reduce_kernelILj256ELj64EliDF16_DF16_ffEEvbT1_lPT2_S3_jNS_24const_host_device_scalarIT6_EEPKS1_PKS2_PKT3_PKT4_S6_PT5_21rocsparse_index_base_b
                                        ; -- End function
	.set _ZN9rocsparseL41csrmvn_lrb_medium_rows_warp_reduce_kernelILj256ELj64EliDF16_DF16_ffEEvbT1_lPT2_S3_jNS_24const_host_device_scalarIT6_EEPKS1_PKS2_PKT3_PKT4_S6_PT5_21rocsparse_index_base_b.num_vgpr, 14
	.set _ZN9rocsparseL41csrmvn_lrb_medium_rows_warp_reduce_kernelILj256ELj64EliDF16_DF16_ffEEvbT1_lPT2_S3_jNS_24const_host_device_scalarIT6_EEPKS1_PKS2_PKT3_PKT4_S6_PT5_21rocsparse_index_base_b.num_agpr, 0
	.set _ZN9rocsparseL41csrmvn_lrb_medium_rows_warp_reduce_kernelILj256ELj64EliDF16_DF16_ffEEvbT1_lPT2_S3_jNS_24const_host_device_scalarIT6_EEPKS1_PKS2_PKT3_PKT4_S6_PT5_21rocsparse_index_base_b.numbered_sgpr, 16
	.set _ZN9rocsparseL41csrmvn_lrb_medium_rows_warp_reduce_kernelILj256ELj64EliDF16_DF16_ffEEvbT1_lPT2_S3_jNS_24const_host_device_scalarIT6_EEPKS1_PKS2_PKT3_PKT4_S6_PT5_21rocsparse_index_base_b.num_named_barrier, 0
	.set _ZN9rocsparseL41csrmvn_lrb_medium_rows_warp_reduce_kernelILj256ELj64EliDF16_DF16_ffEEvbT1_lPT2_S3_jNS_24const_host_device_scalarIT6_EEPKS1_PKS2_PKT3_PKT4_S6_PT5_21rocsparse_index_base_b.private_seg_size, 0
	.set _ZN9rocsparseL41csrmvn_lrb_medium_rows_warp_reduce_kernelILj256ELj64EliDF16_DF16_ffEEvbT1_lPT2_S3_jNS_24const_host_device_scalarIT6_EEPKS1_PKS2_PKT3_PKT4_S6_PT5_21rocsparse_index_base_b.uses_vcc, 1
	.set _ZN9rocsparseL41csrmvn_lrb_medium_rows_warp_reduce_kernelILj256ELj64EliDF16_DF16_ffEEvbT1_lPT2_S3_jNS_24const_host_device_scalarIT6_EEPKS1_PKS2_PKT3_PKT4_S6_PT5_21rocsparse_index_base_b.uses_flat_scratch, 0
	.set _ZN9rocsparseL41csrmvn_lrb_medium_rows_warp_reduce_kernelILj256ELj64EliDF16_DF16_ffEEvbT1_lPT2_S3_jNS_24const_host_device_scalarIT6_EEPKS1_PKS2_PKT3_PKT4_S6_PT5_21rocsparse_index_base_b.has_dyn_sized_stack, 0
	.set _ZN9rocsparseL41csrmvn_lrb_medium_rows_warp_reduce_kernelILj256ELj64EliDF16_DF16_ffEEvbT1_lPT2_S3_jNS_24const_host_device_scalarIT6_EEPKS1_PKS2_PKT3_PKT4_S6_PT5_21rocsparse_index_base_b.has_recursion, 0
	.set _ZN9rocsparseL41csrmvn_lrb_medium_rows_warp_reduce_kernelILj256ELj64EliDF16_DF16_ffEEvbT1_lPT2_S3_jNS_24const_host_device_scalarIT6_EEPKS1_PKS2_PKT3_PKT4_S6_PT5_21rocsparse_index_base_b.has_indirect_call, 0
	.section	.AMDGPU.csdata,"",@progbits
; Kernel info:
; codeLenInByte = 840
; TotalNumSgprs: 18
; NumVgprs: 14
; ScratchSize: 0
; MemoryBound: 0
; FloatMode: 240
; IeeeMode: 1
; LDSByteSize: 0 bytes/workgroup (compile time only)
; SGPRBlocks: 0
; VGPRBlocks: 0
; NumSGPRsForWavesPerEU: 18
; NumVGPRsForWavesPerEU: 14
; NamedBarCnt: 0
; Occupancy: 16
; WaveLimiterHint : 1
; COMPUTE_PGM_RSRC2:SCRATCH_EN: 0
; COMPUTE_PGM_RSRC2:USER_SGPR: 2
; COMPUTE_PGM_RSRC2:TRAP_HANDLER: 0
; COMPUTE_PGM_RSRC2:TGID_X_EN: 1
; COMPUTE_PGM_RSRC2:TGID_Y_EN: 0
; COMPUTE_PGM_RSRC2:TGID_Z_EN: 0
; COMPUTE_PGM_RSRC2:TIDIG_COMP_CNT: 0
	.section	.text._ZN9rocsparseL29csrmvn_lrb_medium_rows_kernelILj256EliDF16_DF16_ffEEvbT0_PT1_S3_jNS_24const_host_device_scalarIT5_EEPKS1_PKS2_PKT2_PKT3_S6_PT4_21rocsparse_index_base_b,"axG",@progbits,_ZN9rocsparseL29csrmvn_lrb_medium_rows_kernelILj256EliDF16_DF16_ffEEvbT0_PT1_S3_jNS_24const_host_device_scalarIT5_EEPKS1_PKS2_PKT2_PKT3_S6_PT4_21rocsparse_index_base_b,comdat
	.globl	_ZN9rocsparseL29csrmvn_lrb_medium_rows_kernelILj256EliDF16_DF16_ffEEvbT0_PT1_S3_jNS_24const_host_device_scalarIT5_EEPKS1_PKS2_PKT2_PKT3_S6_PT4_21rocsparse_index_base_b ; -- Begin function _ZN9rocsparseL29csrmvn_lrb_medium_rows_kernelILj256EliDF16_DF16_ffEEvbT0_PT1_S3_jNS_24const_host_device_scalarIT5_EEPKS1_PKS2_PKT2_PKT3_S6_PT4_21rocsparse_index_base_b
	.p2align	8
	.type	_ZN9rocsparseL29csrmvn_lrb_medium_rows_kernelILj256EliDF16_DF16_ffEEvbT0_PT1_S3_jNS_24const_host_device_scalarIT5_EEPKS1_PKS2_PKT2_PKT3_S6_PT4_21rocsparse_index_base_b,@function
_ZN9rocsparseL29csrmvn_lrb_medium_rows_kernelILj256EliDF16_DF16_ffEEvbT0_PT1_S3_jNS_24const_host_device_scalarIT5_EEPKS1_PKS2_PKT2_PKT3_S6_PT4_21rocsparse_index_base_b: ; @_ZN9rocsparseL29csrmvn_lrb_medium_rows_kernelILj256EliDF16_DF16_ffEEvbT0_PT1_S3_jNS_24const_host_device_scalarIT5_EEPKS1_PKS2_PKT2_PKT3_S6_PT4_21rocsparse_index_base_b
; %bb.0:
	s_clause 0x2
	s_load_b64 s[6:7], s[0:1], 0x60
	s_load_b64 s[8:9], s[0:1], 0x28
	;; [unrolled: 1-line block ×3, first 2 shown]
	s_wait_kmcnt 0x0
	s_bitcmp1_b32 s7, 0
	s_cselect_b32 s4, -1, 0
	s_delay_alu instid0(SALU_CYCLE_1)
	s_and_b32 vcc_lo, exec_lo, s4
	s_xor_b32 s4, s4, -1
	s_cbranch_vccnz .LBB126_2
; %bb.1:
	s_load_b32 s8, s[8:9], 0x0
.LBB126_2:
	s_and_not1_b32 vcc_lo, exec_lo, s4
	s_cbranch_vccnz .LBB126_4
; %bb.3:
	s_load_b32 s2, s[2:3], 0x0
.LBB126_4:
	s_wait_kmcnt 0x0
	s_cmp_neq_f32 s8, 0
	s_mov_b32 s7, 0
	s_cselect_b32 s3, -1, 0
	s_cmp_neq_f32 s2, 1.0
	s_cselect_b32 s4, -1, 0
	s_delay_alu instid0(SALU_CYCLE_1) | instskip(NEXT) | instid1(SALU_CYCLE_1)
	s_or_b32 s3, s3, s4
	s_and_not1_b32 vcc_lo, exec_lo, s3
	s_cbranch_vccnz .LBB126_29
; %bb.5:
	s_clause 0x1
	s_load_b128 s[12:15], s[0:1], 0x10
	s_load_b32 s3, s[0:1], 0x20
	s_bfe_u32 s4, ttmp6, 0x4000c
	s_and_b32 s5, ttmp6, 15
	s_add_co_i32 s4, s4, 1
	s_getreg_b32 s9, hwreg(HW_REG_IB_STS2, 6, 4)
	s_mul_i32 s4, ttmp9, s4
	v_mov_b32_e32 v1, 0
	s_add_co_i32 s5, s5, s4
	s_cmp_eq_u32 s9, 0
	s_cselect_b32 s4, ttmp9, s5
	s_delay_alu instid0(VALU_DEP_1)
	v_sub_nc_u64_e64 v[2:3], v[0:1], s[6:7]
	s_wait_kmcnt 0x0
	s_load_b32 s3, s[14:15], s3 offset:0x0 scale_offset
	s_wait_kmcnt 0x0
	s_add_co_i32 s4, s3, s4
	s_mov_b32 s3, exec_lo
	s_ashr_i32 s5, s4, 31
	s_delay_alu instid0(SALU_CYCLE_1) | instskip(NEXT) | instid1(SALU_CYCLE_1)
	s_lshl_b64 s[4:5], s[4:5], 2
	s_add_nc_u64 s[10:11], s[12:13], s[4:5]
	s_load_b32 s4, s[10:11], 0x0
	s_load_b64 s[12:13], s[0:1], 0x30
	s_wait_kmcnt 0x0
	s_ashr_i32 s5, s4, 31
	s_delay_alu instid0(SALU_CYCLE_1) | instskip(NEXT) | instid1(SALU_CYCLE_1)
	s_lshl_b64 s[10:11], s[4:5], 3
	s_add_nc_u64 s[10:11], s[12:13], s[10:11]
	s_load_b128 s[12:15], s[10:11], 0x0
	s_wait_kmcnt 0x0
	v_add_nc_u64_e32 v[2:3], s[12:13], v[2:3]
	s_sub_nc_u64 s[10:11], s[14:15], s[6:7]
	s_delay_alu instid0(VALU_DEP_1) | instid1(SALU_CYCLE_1)
	v_cmpx_gt_i64_e64 s[10:11], v[2:3]
	s_cbranch_execz .LBB126_9
; %bb.6:
	s_clause 0x1
	s_load_b128 s[16:19], s[0:1], 0x38
	s_load_b64 s[12:13], s[0:1], 0x48
	v_mov_b32_e32 v1, 0
	s_wait_kmcnt 0x0
	v_lshl_add_u64 v[4:5], v[2:3], 1, s[18:19]
	v_lshl_add_u64 v[6:7], v[2:3], 2, s[16:17]
.LBB126_7:                              ; =>This Inner Loop Header: Depth=1
	global_load_b32 v8, v[6:7], off
	global_load_u16 v9, v[4:5], off
	v_add_nc_u64_e32 v[2:3], 0x100, v[2:3]
	s_wait_xcnt 0x0
	v_add_nc_u64_e32 v[4:5], 0x200, v[4:5]
	v_add_nc_u64_e32 v[6:7], 0x400, v[6:7]
	s_delay_alu instid0(VALU_DEP_3)
	v_cmp_le_i64_e32 vcc_lo, s[10:11], v[2:3]
	s_or_b32 s7, vcc_lo, s7
	s_wait_loadcnt 0x1
	v_subrev_nc_u32_e32 v8, s6, v8
	s_wait_loadcnt 0x0
	v_cvt_f32_f16_e32 v9, v9
	global_load_u16 v8, v8, s[12:13] scale_offset
	v_mul_f32_e32 v9, s8, v9
	s_wait_loadcnt 0x0
	s_delay_alu instid0(VALU_DEP_1)
	v_fma_mix_f32 v1, v9, v8, v1 op_sel_hi:[0,1,0]
	s_and_not1_b32 exec_lo, exec_lo, s7
	s_cbranch_execnz .LBB126_7
; %bb.8:
	s_or_b32 exec_lo, exec_lo, s7
.LBB126_9:
	s_delay_alu instid0(SALU_CYCLE_1)
	s_or_b32 exec_lo, exec_lo, s3
	s_load_b64 s[0:1], s[0:1], 0x58
	v_lshlrev_b32_e32 v2, 2, v0
	s_mov_b32 s3, exec_lo
	ds_store_b32 v2, v1
	s_wait_dscnt 0x0
	s_barrier_signal -1
	s_barrier_wait -1
	v_cmpx_gt_u32_e32 0x80, v0
	s_cbranch_execz .LBB126_11
; %bb.10:
	ds_load_2addr_stride64_b32 v[4:5], v2 offset1:2
	s_wait_dscnt 0x0
	v_add_f32_e32 v1, v4, v5
	ds_store_b32 v2, v1
.LBB126_11:
	s_or_b32 exec_lo, exec_lo, s3
	s_delay_alu instid0(SALU_CYCLE_1)
	s_mov_b32 s3, exec_lo
	s_wait_dscnt 0x0
	s_barrier_signal -1
	s_barrier_wait -1
	v_cmpx_gt_u32_e32 64, v0
	s_cbranch_execz .LBB126_13
; %bb.12:
	ds_load_2addr_stride64_b32 v[4:5], v2 offset1:1
	s_wait_dscnt 0x0
	v_add_f32_e32 v1, v4, v5
	ds_store_b32 v2, v1
.LBB126_13:
	s_or_b32 exec_lo, exec_lo, s3
	s_delay_alu instid0(SALU_CYCLE_1)
	s_mov_b32 s3, exec_lo
	s_wait_dscnt 0x0
	s_barrier_signal -1
	s_barrier_wait -1
	v_cmpx_gt_u32_e32 32, v0
	s_cbranch_execz .LBB126_15
; %bb.14:
	ds_load_2addr_b32 v[4:5], v2 offset1:32
	s_wait_dscnt 0x0
	v_add_f32_e32 v1, v4, v5
	ds_store_b32 v2, v1
.LBB126_15:
	s_or_b32 exec_lo, exec_lo, s3
	s_delay_alu instid0(SALU_CYCLE_1)
	s_mov_b32 s3, exec_lo
	s_wait_dscnt 0x0
	s_barrier_signal -1
	s_barrier_wait -1
	v_cmpx_gt_u32_e32 16, v0
	s_cbranch_execz .LBB126_17
; %bb.16:
	ds_load_2addr_b32 v[4:5], v2 offset1:16
	s_wait_dscnt 0x0
	v_add_f32_e32 v1, v4, v5
	ds_store_b32 v2, v1
.LBB126_17:
	s_or_b32 exec_lo, exec_lo, s3
	s_delay_alu instid0(SALU_CYCLE_1)
	s_mov_b32 s3, exec_lo
	s_wait_dscnt 0x0
	s_barrier_signal -1
	s_barrier_wait -1
	v_cmpx_gt_u32_e32 8, v0
	s_cbranch_execz .LBB126_19
; %bb.18:
	ds_load_2addr_b32 v[4:5], v2 offset1:8
	s_wait_dscnt 0x0
	v_add_f32_e32 v1, v4, v5
	ds_store_b32 v2, v1
.LBB126_19:
	s_or_b32 exec_lo, exec_lo, s3
	s_delay_alu instid0(SALU_CYCLE_1)
	s_mov_b32 s3, exec_lo
	s_wait_dscnt 0x0
	s_barrier_signal -1
	s_barrier_wait -1
	v_cmpx_gt_u32_e32 4, v0
	s_cbranch_execz .LBB126_21
; %bb.20:
	ds_load_2addr_b32 v[4:5], v2 offset1:4
	s_wait_dscnt 0x0
	v_add_f32_e32 v1, v4, v5
	ds_store_b32 v2, v1
.LBB126_21:
	s_or_b32 exec_lo, exec_lo, s3
	s_delay_alu instid0(SALU_CYCLE_1)
	s_mov_b32 s3, exec_lo
	s_wait_dscnt 0x0
	s_barrier_signal -1
	s_barrier_wait -1
	v_cmpx_gt_u32_e32 2, v0
	s_cbranch_execz .LBB126_23
; %bb.22:
	ds_load_2addr_b32 v[4:5], v2 offset1:2
	s_wait_dscnt 0x0
	v_add_f32_e32 v1, v4, v5
	ds_store_b32 v2, v1
.LBB126_23:
	s_or_b32 exec_lo, exec_lo, s3
	v_cmp_eq_u32_e32 vcc_lo, 0, v0
	s_wait_dscnt 0x0
	s_barrier_signal -1
	s_barrier_wait -1
	s_and_saveexec_b32 s3, vcc_lo
	s_cbranch_execz .LBB126_25
; %bb.24:
	v_mov_b32_e32 v2, 0
	ds_load_b64 v[0:1], v2
	s_wait_dscnt 0x0
	v_add_f32_e32 v0, v0, v1
	ds_store_b32 v2, v0
.LBB126_25:
	s_or_b32 exec_lo, exec_lo, s3
	s_wait_dscnt 0x0
	s_barrier_signal -1
	s_barrier_wait -1
	s_and_saveexec_b32 s3, vcc_lo
	s_cbranch_execz .LBB126_29
; %bb.26:
	v_mov_b32_e32 v0, 0
	s_cmp_eq_f32 s2, 0
	ds_load_b32 v1, v0
	s_cbranch_scc1 .LBB126_28
; %bb.27:
	s_lshl_b64 s[6:7], s[4:5], 2
	s_wait_kmcnt 0x0
	s_add_nc_u64 s[6:7], s[0:1], s[6:7]
	s_load_b32 s3, s[6:7], 0x0
	s_wait_dscnt 0x0
	s_wait_kmcnt 0x0
	v_fmac_f32_e64 v1, s2, s3
.LBB126_28:
	s_lshl_b64 s[2:3], s[4:5], 2
	s_wait_kmcnt 0x0
	s_add_nc_u64 s[0:1], s[0:1], s[2:3]
	s_wait_dscnt 0x0
	global_store_b32 v0, v1, s[0:1]
.LBB126_29:
	s_endpgm
	.section	.rodata,"a",@progbits
	.p2align	6, 0x0
	.amdhsa_kernel _ZN9rocsparseL29csrmvn_lrb_medium_rows_kernelILj256EliDF16_DF16_ffEEvbT0_PT1_S3_jNS_24const_host_device_scalarIT5_EEPKS1_PKS2_PKT2_PKT3_S6_PT4_21rocsparse_index_base_b
		.amdhsa_group_segment_fixed_size 1024
		.amdhsa_private_segment_fixed_size 0
		.amdhsa_kernarg_size 104
		.amdhsa_user_sgpr_count 2
		.amdhsa_user_sgpr_dispatch_ptr 0
		.amdhsa_user_sgpr_queue_ptr 0
		.amdhsa_user_sgpr_kernarg_segment_ptr 1
		.amdhsa_user_sgpr_dispatch_id 0
		.amdhsa_user_sgpr_kernarg_preload_length 0
		.amdhsa_user_sgpr_kernarg_preload_offset 0
		.amdhsa_user_sgpr_private_segment_size 0
		.amdhsa_wavefront_size32 1
		.amdhsa_uses_dynamic_stack 0
		.amdhsa_enable_private_segment 0
		.amdhsa_system_sgpr_workgroup_id_x 1
		.amdhsa_system_sgpr_workgroup_id_y 0
		.amdhsa_system_sgpr_workgroup_id_z 0
		.amdhsa_system_sgpr_workgroup_info 0
		.amdhsa_system_vgpr_workitem_id 0
		.amdhsa_next_free_vgpr 10
		.amdhsa_next_free_sgpr 20
		.amdhsa_named_barrier_count 0
		.amdhsa_reserve_vcc 1
		.amdhsa_float_round_mode_32 0
		.amdhsa_float_round_mode_16_64 0
		.amdhsa_float_denorm_mode_32 3
		.amdhsa_float_denorm_mode_16_64 3
		.amdhsa_fp16_overflow 0
		.amdhsa_memory_ordered 1
		.amdhsa_forward_progress 1
		.amdhsa_inst_pref_size 9
		.amdhsa_round_robin_scheduling 0
		.amdhsa_exception_fp_ieee_invalid_op 0
		.amdhsa_exception_fp_denorm_src 0
		.amdhsa_exception_fp_ieee_div_zero 0
		.amdhsa_exception_fp_ieee_overflow 0
		.amdhsa_exception_fp_ieee_underflow 0
		.amdhsa_exception_fp_ieee_inexact 0
		.amdhsa_exception_int_div_zero 0
	.end_amdhsa_kernel
	.section	.text._ZN9rocsparseL29csrmvn_lrb_medium_rows_kernelILj256EliDF16_DF16_ffEEvbT0_PT1_S3_jNS_24const_host_device_scalarIT5_EEPKS1_PKS2_PKT2_PKT3_S6_PT4_21rocsparse_index_base_b,"axG",@progbits,_ZN9rocsparseL29csrmvn_lrb_medium_rows_kernelILj256EliDF16_DF16_ffEEvbT0_PT1_S3_jNS_24const_host_device_scalarIT5_EEPKS1_PKS2_PKT2_PKT3_S6_PT4_21rocsparse_index_base_b,comdat
.Lfunc_end126:
	.size	_ZN9rocsparseL29csrmvn_lrb_medium_rows_kernelILj256EliDF16_DF16_ffEEvbT0_PT1_S3_jNS_24const_host_device_scalarIT5_EEPKS1_PKS2_PKT2_PKT3_S6_PT4_21rocsparse_index_base_b, .Lfunc_end126-_ZN9rocsparseL29csrmvn_lrb_medium_rows_kernelILj256EliDF16_DF16_ffEEvbT0_PT1_S3_jNS_24const_host_device_scalarIT5_EEPKS1_PKS2_PKT2_PKT3_S6_PT4_21rocsparse_index_base_b
                                        ; -- End function
	.set _ZN9rocsparseL29csrmvn_lrb_medium_rows_kernelILj256EliDF16_DF16_ffEEvbT0_PT1_S3_jNS_24const_host_device_scalarIT5_EEPKS1_PKS2_PKT2_PKT3_S6_PT4_21rocsparse_index_base_b.num_vgpr, 10
	.set _ZN9rocsparseL29csrmvn_lrb_medium_rows_kernelILj256EliDF16_DF16_ffEEvbT0_PT1_S3_jNS_24const_host_device_scalarIT5_EEPKS1_PKS2_PKT2_PKT3_S6_PT4_21rocsparse_index_base_b.num_agpr, 0
	.set _ZN9rocsparseL29csrmvn_lrb_medium_rows_kernelILj256EliDF16_DF16_ffEEvbT0_PT1_S3_jNS_24const_host_device_scalarIT5_EEPKS1_PKS2_PKT2_PKT3_S6_PT4_21rocsparse_index_base_b.numbered_sgpr, 20
	.set _ZN9rocsparseL29csrmvn_lrb_medium_rows_kernelILj256EliDF16_DF16_ffEEvbT0_PT1_S3_jNS_24const_host_device_scalarIT5_EEPKS1_PKS2_PKT2_PKT3_S6_PT4_21rocsparse_index_base_b.num_named_barrier, 0
	.set _ZN9rocsparseL29csrmvn_lrb_medium_rows_kernelILj256EliDF16_DF16_ffEEvbT0_PT1_S3_jNS_24const_host_device_scalarIT5_EEPKS1_PKS2_PKT2_PKT3_S6_PT4_21rocsparse_index_base_b.private_seg_size, 0
	.set _ZN9rocsparseL29csrmvn_lrb_medium_rows_kernelILj256EliDF16_DF16_ffEEvbT0_PT1_S3_jNS_24const_host_device_scalarIT5_EEPKS1_PKS2_PKT2_PKT3_S6_PT4_21rocsparse_index_base_b.uses_vcc, 1
	.set _ZN9rocsparseL29csrmvn_lrb_medium_rows_kernelILj256EliDF16_DF16_ffEEvbT0_PT1_S3_jNS_24const_host_device_scalarIT5_EEPKS1_PKS2_PKT2_PKT3_S6_PT4_21rocsparse_index_base_b.uses_flat_scratch, 0
	.set _ZN9rocsparseL29csrmvn_lrb_medium_rows_kernelILj256EliDF16_DF16_ffEEvbT0_PT1_S3_jNS_24const_host_device_scalarIT5_EEPKS1_PKS2_PKT2_PKT3_S6_PT4_21rocsparse_index_base_b.has_dyn_sized_stack, 0
	.set _ZN9rocsparseL29csrmvn_lrb_medium_rows_kernelILj256EliDF16_DF16_ffEEvbT0_PT1_S3_jNS_24const_host_device_scalarIT5_EEPKS1_PKS2_PKT2_PKT3_S6_PT4_21rocsparse_index_base_b.has_recursion, 0
	.set _ZN9rocsparseL29csrmvn_lrb_medium_rows_kernelILj256EliDF16_DF16_ffEEvbT0_PT1_S3_jNS_24const_host_device_scalarIT5_EEPKS1_PKS2_PKT2_PKT3_S6_PT4_21rocsparse_index_base_b.has_indirect_call, 0
	.section	.AMDGPU.csdata,"",@progbits
; Kernel info:
; codeLenInByte = 1056
; TotalNumSgprs: 22
; NumVgprs: 10
; ScratchSize: 0
; MemoryBound: 0
; FloatMode: 240
; IeeeMode: 1
; LDSByteSize: 1024 bytes/workgroup (compile time only)
; SGPRBlocks: 0
; VGPRBlocks: 0
; NumSGPRsForWavesPerEU: 22
; NumVGPRsForWavesPerEU: 10
; NamedBarCnt: 0
; Occupancy: 16
; WaveLimiterHint : 1
; COMPUTE_PGM_RSRC2:SCRATCH_EN: 0
; COMPUTE_PGM_RSRC2:USER_SGPR: 2
; COMPUTE_PGM_RSRC2:TRAP_HANDLER: 0
; COMPUTE_PGM_RSRC2:TGID_X_EN: 1
; COMPUTE_PGM_RSRC2:TGID_Y_EN: 0
; COMPUTE_PGM_RSRC2:TGID_Z_EN: 0
; COMPUTE_PGM_RSRC2:TIDIG_COMP_CNT: 0
	.section	.text._ZN9rocsparseL27csrmvn_lrb_long_rows_kernelIliDF16_DF16_ffEEvbT_PjPT0_S4_jNS_24const_host_device_scalarIT4_EEPKS1_PKS3_PKT1_PKT2_S7_PT3_21rocsparse_index_base_b,"axG",@progbits,_ZN9rocsparseL27csrmvn_lrb_long_rows_kernelIliDF16_DF16_ffEEvbT_PjPT0_S4_jNS_24const_host_device_scalarIT4_EEPKS1_PKS3_PKT1_PKT2_S7_PT3_21rocsparse_index_base_b,comdat
	.globl	_ZN9rocsparseL27csrmvn_lrb_long_rows_kernelIliDF16_DF16_ffEEvbT_PjPT0_S4_jNS_24const_host_device_scalarIT4_EEPKS1_PKS3_PKT1_PKT2_S7_PT3_21rocsparse_index_base_b ; -- Begin function _ZN9rocsparseL27csrmvn_lrb_long_rows_kernelIliDF16_DF16_ffEEvbT_PjPT0_S4_jNS_24const_host_device_scalarIT4_EEPKS1_PKS3_PKT1_PKT2_S7_PT3_21rocsparse_index_base_b
	.p2align	8
	.type	_ZN9rocsparseL27csrmvn_lrb_long_rows_kernelIliDF16_DF16_ffEEvbT_PjPT0_S4_jNS_24const_host_device_scalarIT4_EEPKS1_PKS3_PKT1_PKT2_S7_PT3_21rocsparse_index_base_b,@function
_ZN9rocsparseL27csrmvn_lrb_long_rows_kernelIliDF16_DF16_ffEEvbT_PjPT0_S4_jNS_24const_host_device_scalarIT4_EEPKS1_PKS3_PKT1_PKT2_S7_PT3_21rocsparse_index_base_b: ; @_ZN9rocsparseL27csrmvn_lrb_long_rows_kernelIliDF16_DF16_ffEEvbT_PjPT0_S4_jNS_24const_host_device_scalarIT4_EEPKS1_PKS3_PKT1_PKT2_S7_PT3_21rocsparse_index_base_b
; %bb.0:
	s_clause 0x2
	s_load_b64 s[16:17], s[0:1], 0x68
	s_load_b64 s[18:19], s[0:1], 0x30
	;; [unrolled: 1-line block ×3, first 2 shown]
	s_wait_kmcnt 0x0
	s_bitcmp1_b32 s17, 0
	s_cselect_b32 s2, -1, 0
	s_delay_alu instid0(SALU_CYCLE_1)
	s_and_b32 vcc_lo, exec_lo, s2
	s_xor_b32 s2, s2, -1
	s_cbranch_vccnz .LBB127_2
; %bb.1:
	s_load_b32 s18, s[18:19], 0x0
.LBB127_2:
	s_and_not1_b32 vcc_lo, exec_lo, s2
	s_cbranch_vccnz .LBB127_4
; %bb.3:
	s_load_b32 s20, s[20:21], 0x0
.LBB127_4:
	s_wait_kmcnt 0x0
	s_cmp_neq_f32 s18, 0
	s_cselect_b32 s2, -1, 0
	s_cmp_neq_f32 s20, 1.0
	s_cselect_b32 s3, -1, 0
	s_delay_alu instid0(SALU_CYCLE_1) | instskip(NEXT) | instid1(SALU_CYCLE_1)
	s_or_b32 s2, s2, s3
	s_and_not1_b32 vcc_lo, exec_lo, s2
	s_cbranch_vccnz .LBB127_38
; %bb.5:
	s_load_b96 s[4:6], s[0:1], 0x20
	s_bfe_u32 s8, ttmp6, 0x4000c
	s_and_b32 s7, ttmp6, 15
	s_add_co_i32 s8, s8, 1
	s_getreg_b32 s9, hwreg(HW_REG_IB_STS2, 6, 4)
	s_mul_i32 s8, ttmp9, s8
	v_mov_b32_e32 v10, 0
	s_add_co_i32 s7, s7, s8
	s_wait_kmcnt 0x0
	s_lshl_b32 s2, -1, s6
	s_load_b32 s8, s[4:5], s6 offset:0x0 scale_offset
	s_not_b32 s2, s2
	s_delay_alu instid0(SALU_CYCLE_1) | instskip(NEXT) | instid1(SALU_CYCLE_1)
	s_mul_hi_u32 s2, s2, 0x2aaaaaab
	s_lshr_b32 s2, s2, 7
	s_delay_alu instid0(SALU_CYCLE_1) | instskip(SKIP_2) | instid1(SALU_CYCLE_3)
	s_add_co_i32 s17, s2, 1
	s_not_b32 s2, s2
	s_cvt_f32_u32 s3, s17
	v_rcp_iflag_f32_e32 v1, s3
	v_nop
	s_delay_alu instid0(TRANS32_DEP_1) | instskip(SKIP_1) | instid1(SALU_CYCLE_3)
	v_readfirstlane_b32 s3, v1
	s_mul_f32 s3, s3, 0x4f7ffffe
	s_cvt_u32_f32 s3, s3
	s_delay_alu instid0(SALU_CYCLE_3) | instskip(NEXT) | instid1(SALU_CYCLE_1)
	s_mul_i32 s2, s2, s3
	s_mul_hi_u32 s2, s3, s2
	s_delay_alu instid0(SALU_CYCLE_1)
	s_add_co_i32 s3, s3, s2
	s_cmp_eq_u32 s9, 0
	s_cselect_b32 s22, ttmp9, s7
	s_wait_xcnt 0x0
	s_load_b128 s[4:7], s[0:1], 0x10
	s_mul_hi_u32 s2, s22, s3
	s_delay_alu instid0(SALU_CYCLE_1) | instskip(SKIP_2) | instid1(SALU_CYCLE_1)
	s_mul_i32 s3, s2, s17
	s_add_co_i32 s9, s2, 1
	s_sub_co_i32 s3, s22, s3
	s_sub_co_i32 s10, s3, s17
	s_cmp_ge_u32 s3, s17
	s_cselect_b32 s2, s9, s2
	s_cselect_b32 s3, s10, s3
	s_add_co_i32 s9, s2, 1
	s_cmp_ge_u32 s3, s17
	s_cselect_b32 s21, s9, s2
	s_ashr_i32 s23, s22, 31
	s_wait_kmcnt 0x0
	s_add_co_i32 s2, s21, s8
	s_lshl_b64 s[12:13], s[22:23], 2
	s_ashr_i32 s3, s2, 31
	s_add_nc_u64 s[12:13], s[4:5], s[12:13]
	s_lshl_b64 s[2:3], s[2:3], 2
	s_delay_alu instid0(SALU_CYCLE_1)
	s_add_nc_u64 s[8:9], s[6:7], s[2:3]
	s_load_b32 s2, s[8:9], 0x0
	s_clause 0x1
	s_load_b64 s[10:11], s[0:1], 0x38
	s_load_b64 s[6:7], s[0:1], 0x60
	s_wait_kmcnt 0x0
	s_ashr_i32 s3, s2, 31
	s_delay_alu instid0(SALU_CYCLE_1) | instskip(NEXT) | instid1(SALU_CYCLE_1)
	s_lshl_b64 s[8:9], s[2:3], 3
	s_add_nc_u64 s[14:15], s[10:11], s[8:9]
	s_load_b128 s[8:11], s[14:15], 0x0
	s_load_b32 s19, s[12:13], 0x0
	s_wait_xcnt 0x0
	s_mul_i32 s14, s21, s17
	s_delay_alu instid0(SALU_CYCLE_1) | instskip(NEXT) | instid1(SALU_CYCLE_1)
	s_sub_co_i32 s15, s22, s14
	v_or_b32_e32 v1, s15, v0
	s_delay_alu instid0(VALU_DEP_1)
	v_cmp_eq_u32_e32 vcc_lo, 0, v1
	v_mov_b32_e32 v1, 0
	s_and_saveexec_b32 s17, vcc_lo
	s_cbranch_execz .LBB127_9
; %bb.6:
	s_lshl_b64 s[22:23], s[2:3], 2
	s_add_f32 s20, s20, -1.0
	s_add_nc_u64 s[22:23], s[6:7], s[22:23]
	s_mov_b32 s21, exec_lo
	s_load_b32 s22, s[22:23], 0x0
	v_mbcnt_lo_u32_b32 v2, s21, 0
	global_wb scope:SCOPE_DEV
	s_wait_storecnt 0x0
	global_inv scope:SCOPE_DEV
	s_wait_kmcnt 0x0
	s_mul_f32 s20, s20, s22
	s_mov_b32 s22, exec_lo
	v_cmpx_eq_u32_e32 0, v2
	s_cbranch_execz .LBB127_8
; %bb.7:
	s_bcnt1_i32_b32 s21, s21
	s_delay_alu instid0(SALU_CYCLE_1) | instskip(NEXT) | instid1(SALU_CYCLE_1)
	s_and_b32 s21, s21, 1
	v_dual_mov_b32 v2, s14 :: v_dual_mov_b32 v3, s21
	global_atomic_xor_b32 v2, v3, s[4:5] scale_offset scope:SCOPE_DEV
.LBB127_8:
	s_wait_xcnt 0x0
	s_or_b32 exec_lo, exec_lo, s22
	v_mov_b32_e32 v10, s20
.LBB127_9:
	s_or_b32 exec_lo, exec_lo, s17
	s_mov_b32 s21, 0
	s_mul_i32 s20, s15, 3
	s_mov_b32 s17, s21
	s_lshl_b64 s[22:23], s[20:21], 8
	s_wait_kmcnt 0x0
	s_sub_nc_u64 s[8:9], s[8:9], s[16:17]
	s_sub_nc_u64 s[10:11], s[10:11], s[16:17]
	s_add_nc_u64 s[8:9], s[8:9], s[22:23]
	s_delay_alu instid0(SALU_CYCLE_1) | instskip(SKIP_3) | instid1(VALU_DEP_1)
	s_add_nc_u64 s[22:23], s[8:9], 0x300
	v_add_nc_u64_e32 v[4:5], s[8:9], v[0:1]
	v_min_i64 v[2:3], s[22:23], s[10:11]
	s_mov_b32 s10, exec_lo
	v_cmpx_lt_i64_e64 v[4:5], v[2:3]
	s_cbranch_execz .LBB127_13
; %bb.10:
	s_clause 0x1
	s_load_b128 s[24:27], s[0:1], 0x40
	s_load_b64 s[8:9], s[0:1], 0x50
	s_wait_kmcnt 0x0
	v_lshl_add_u64 v[6:7], v[4:5], 1, s[26:27]
	v_lshl_add_u64 v[8:9], v[4:5], 2, s[24:25]
.LBB127_11:                             ; =>This Inner Loop Header: Depth=1
	global_load_b32 v1, v[8:9], off
	global_load_u16 v11, v[6:7], off
	v_add_nc_u64_e32 v[4:5], 0x100, v[4:5]
	s_wait_xcnt 0x0
	v_add_nc_u64_e32 v[6:7], 0x200, v[6:7]
	v_add_nc_u64_e32 v[8:9], 0x400, v[8:9]
	s_delay_alu instid0(VALU_DEP_3)
	v_cmp_ge_i64_e32 vcc_lo, v[4:5], v[2:3]
	s_or_b32 s21, vcc_lo, s21
	s_wait_loadcnt 0x1
	v_subrev_nc_u32_e32 v1, s16, v1
	s_wait_loadcnt 0x0
	v_cvt_f32_f16_e32 v11, v11
	global_load_u16 v1, v1, s[8:9] scale_offset
	v_mul_f32_e32 v11, s18, v11
	s_wait_loadcnt 0x0
	s_delay_alu instid0(VALU_DEP_1)
	v_fma_mix_f32 v10, v11, v1, v10 op_sel_hi:[0,1,0]
	s_wait_xcnt 0x0
	s_and_not1_b32 exec_lo, exec_lo, s21
	s_cbranch_execnz .LBB127_11
; %bb.12:
	s_or_b32 exec_lo, exec_lo, s21
.LBB127_13:
	s_delay_alu instid0(SALU_CYCLE_1)
	s_or_b32 exec_lo, exec_lo, s10
	v_lshlrev_b32_e32 v1, 2, v0
	s_mov_b32 s0, exec_lo
	ds_store_b32 v1, v10
	s_wait_storecnt 0x0
	s_wait_loadcnt_dscnt 0x0
	s_barrier_signal -1
	s_barrier_wait -1
	v_cmpx_gt_u32_e32 0x80, v0
	s_cbranch_execz .LBB127_15
; %bb.14:
	ds_load_2addr_stride64_b32 v[2:3], v1 offset1:2
	s_wait_dscnt 0x0
	v_add_f32_e32 v2, v2, v3
	ds_store_b32 v1, v2
.LBB127_15:
	s_or_b32 exec_lo, exec_lo, s0
	s_delay_alu instid0(SALU_CYCLE_1)
	s_mov_b32 s0, exec_lo
	s_wait_dscnt 0x0
	s_barrier_signal -1
	s_barrier_wait -1
	v_cmpx_gt_u32_e32 64, v0
	s_cbranch_execz .LBB127_17
; %bb.16:
	ds_load_2addr_stride64_b32 v[2:3], v1 offset1:1
	s_wait_dscnt 0x0
	v_add_f32_e32 v2, v2, v3
	ds_store_b32 v1, v2
.LBB127_17:
	s_or_b32 exec_lo, exec_lo, s0
	s_delay_alu instid0(SALU_CYCLE_1)
	s_mov_b32 s0, exec_lo
	s_wait_dscnt 0x0
	s_barrier_signal -1
	s_barrier_wait -1
	v_cmpx_gt_u32_e32 32, v0
	s_cbranch_execz .LBB127_19
; %bb.18:
	ds_load_2addr_b32 v[2:3], v1 offset1:32
	s_wait_dscnt 0x0
	v_add_f32_e32 v2, v2, v3
	ds_store_b32 v1, v2
.LBB127_19:
	s_or_b32 exec_lo, exec_lo, s0
	s_delay_alu instid0(SALU_CYCLE_1)
	s_mov_b32 s0, exec_lo
	s_wait_dscnt 0x0
	s_barrier_signal -1
	s_barrier_wait -1
	v_cmpx_gt_u32_e32 16, v0
	s_cbranch_execz .LBB127_21
; %bb.20:
	ds_load_2addr_b32 v[2:3], v1 offset1:16
	s_wait_dscnt 0x0
	v_add_f32_e32 v2, v2, v3
	ds_store_b32 v1, v2
.LBB127_21:
	;; [unrolled: 14-line block ×5, first 2 shown]
	s_or_b32 exec_lo, exec_lo, s0
	v_cmp_eq_u32_e32 vcc_lo, 0, v0
	s_wait_dscnt 0x0
	s_barrier_signal -1
	s_barrier_wait -1
	s_and_saveexec_b32 s0, vcc_lo
	s_cbranch_execz .LBB127_29
; %bb.28:
	v_mov_b32_e32 v2, 0
	ds_load_b64 v[0:1], v2
	s_wait_dscnt 0x0
	v_add_f32_e32 v0, v0, v1
	ds_store_b32 v2, v0
.LBB127_29:
	s_or_b32 exec_lo, exec_lo, s0
	s_wait_dscnt 0x0
	s_barrier_signal -1
	s_barrier_wait -1
	s_and_saveexec_b32 s0, vcc_lo
	s_cbranch_execz .LBB127_38
; %bb.30:
	s_cmp_eq_u32 s15, 0
	s_cbranch_scc1 .LBB127_36
; %bb.31:
	s_ashr_i32 s15, s14, 31
	v_mov_b32_e32 v0, 0
	s_lshl_b64 s[0:1], s[14:15], 2
	s_delay_alu instid0(SALU_CYCLE_1)
	s_add_nc_u64 s[0:1], s[4:5], s[0:1]
	s_branch .LBB127_33
.LBB127_32:                             ;   in Loop: Header=BB127_33 Depth=1
	s_wait_xcnt 0x0
	s_or_b32 exec_lo, exec_lo, s4
	s_wait_loadcnt 0x0
	v_readfirstlane_b32 s4, v1
	s_cmp_eq_u32 s4, s19
	s_cbranch_scc0 .LBB127_35
.LBB127_33:                             ; =>This Inner Loop Header: Depth=1
	v_mbcnt_lo_u32_b32 v1, exec_lo, 0
	s_delay_alu instid0(VALU_DEP_1)
	v_cmp_eq_u32_e32 vcc_lo, 0, v1
                                        ; implicit-def: $vgpr1
	s_and_saveexec_b32 s4, vcc_lo
	s_cbranch_execz .LBB127_32
; %bb.34:                               ;   in Loop: Header=BB127_33 Depth=1
	global_load_b32 v1, v0, s[0:1] scope:SCOPE_DEV
	s_branch .LBB127_32
.LBB127_35:
	v_mov_b32_e32 v0, 0
	global_load_u16 v1, v0, s[12:13]
	s_wait_loadcnt 0x0
	v_xor_b32_e32 v1, 1, v1
	global_store_b16 v0, v1, s[12:13]
.LBB127_36:
	s_mov_b32 s0, exec_lo
	s_wait_xcnt 0x0
	v_mbcnt_lo_u32_b32 v0, s0, 0
	s_delay_alu instid0(VALU_DEP_1) | instskip(SKIP_1) | instid1(SALU_CYCLE_1)
	v_cmp_eq_u32_e32 vcc_lo, 0, v0
	s_and_b32 s1, exec_lo, vcc_lo
	s_mov_b32 exec_lo, s1
	s_cbranch_execz .LBB127_38
; %bb.37:
	s_bcnt1_i32_b32 s0, s0
	s_delay_alu instid0(SALU_CYCLE_1) | instskip(SKIP_2) | instid1(SALU_CYCLE_1)
	v_cvt_f32_ubyte0_e32 v2, s0
	v_mov_b32_e32 v0, 0
	s_lshl_b64 s[0:1], s[2:3], 2
	s_add_nc_u64 s[0:1], s[6:7], s[0:1]
	ds_load_b32 v1, v0
	s_wait_dscnt 0x0
	v_mul_f32_e32 v1, v1, v2
	global_atomic_add_f32 v0, v1, s[0:1] scope:SCOPE_DEV
.LBB127_38:
	s_endpgm
	.section	.rodata,"a",@progbits
	.p2align	6, 0x0
	.amdhsa_kernel _ZN9rocsparseL27csrmvn_lrb_long_rows_kernelIliDF16_DF16_ffEEvbT_PjPT0_S4_jNS_24const_host_device_scalarIT4_EEPKS1_PKS3_PKT1_PKT2_S7_PT3_21rocsparse_index_base_b
		.amdhsa_group_segment_fixed_size 1024
		.amdhsa_private_segment_fixed_size 0
		.amdhsa_kernarg_size 112
		.amdhsa_user_sgpr_count 2
		.amdhsa_user_sgpr_dispatch_ptr 0
		.amdhsa_user_sgpr_queue_ptr 0
		.amdhsa_user_sgpr_kernarg_segment_ptr 1
		.amdhsa_user_sgpr_dispatch_id 0
		.amdhsa_user_sgpr_kernarg_preload_length 0
		.amdhsa_user_sgpr_kernarg_preload_offset 0
		.amdhsa_user_sgpr_private_segment_size 0
		.amdhsa_wavefront_size32 1
		.amdhsa_uses_dynamic_stack 0
		.amdhsa_enable_private_segment 0
		.amdhsa_system_sgpr_workgroup_id_x 1
		.amdhsa_system_sgpr_workgroup_id_y 0
		.amdhsa_system_sgpr_workgroup_id_z 0
		.amdhsa_system_sgpr_workgroup_info 0
		.amdhsa_system_vgpr_workitem_id 0
		.amdhsa_next_free_vgpr 12
		.amdhsa_next_free_sgpr 28
		.amdhsa_named_barrier_count 0
		.amdhsa_reserve_vcc 1
		.amdhsa_float_round_mode_32 0
		.amdhsa_float_round_mode_16_64 0
		.amdhsa_float_denorm_mode_32 3
		.amdhsa_float_denorm_mode_16_64 3
		.amdhsa_fp16_overflow 0
		.amdhsa_memory_ordered 1
		.amdhsa_forward_progress 1
		.amdhsa_inst_pref_size 13
		.amdhsa_round_robin_scheduling 0
		.amdhsa_exception_fp_ieee_invalid_op 0
		.amdhsa_exception_fp_denorm_src 0
		.amdhsa_exception_fp_ieee_div_zero 0
		.amdhsa_exception_fp_ieee_overflow 0
		.amdhsa_exception_fp_ieee_underflow 0
		.amdhsa_exception_fp_ieee_inexact 0
		.amdhsa_exception_int_div_zero 0
	.end_amdhsa_kernel
	.section	.text._ZN9rocsparseL27csrmvn_lrb_long_rows_kernelIliDF16_DF16_ffEEvbT_PjPT0_S4_jNS_24const_host_device_scalarIT4_EEPKS1_PKS3_PKT1_PKT2_S7_PT3_21rocsparse_index_base_b,"axG",@progbits,_ZN9rocsparseL27csrmvn_lrb_long_rows_kernelIliDF16_DF16_ffEEvbT_PjPT0_S4_jNS_24const_host_device_scalarIT4_EEPKS1_PKS3_PKT1_PKT2_S7_PT3_21rocsparse_index_base_b,comdat
.Lfunc_end127:
	.size	_ZN9rocsparseL27csrmvn_lrb_long_rows_kernelIliDF16_DF16_ffEEvbT_PjPT0_S4_jNS_24const_host_device_scalarIT4_EEPKS1_PKS3_PKT1_PKT2_S7_PT3_21rocsparse_index_base_b, .Lfunc_end127-_ZN9rocsparseL27csrmvn_lrb_long_rows_kernelIliDF16_DF16_ffEEvbT_PjPT0_S4_jNS_24const_host_device_scalarIT4_EEPKS1_PKS3_PKT1_PKT2_S7_PT3_21rocsparse_index_base_b
                                        ; -- End function
	.set _ZN9rocsparseL27csrmvn_lrb_long_rows_kernelIliDF16_DF16_ffEEvbT_PjPT0_S4_jNS_24const_host_device_scalarIT4_EEPKS1_PKS3_PKT1_PKT2_S7_PT3_21rocsparse_index_base_b.num_vgpr, 12
	.set _ZN9rocsparseL27csrmvn_lrb_long_rows_kernelIliDF16_DF16_ffEEvbT_PjPT0_S4_jNS_24const_host_device_scalarIT4_EEPKS1_PKS3_PKT1_PKT2_S7_PT3_21rocsparse_index_base_b.num_agpr, 0
	.set _ZN9rocsparseL27csrmvn_lrb_long_rows_kernelIliDF16_DF16_ffEEvbT_PjPT0_S4_jNS_24const_host_device_scalarIT4_EEPKS1_PKS3_PKT1_PKT2_S7_PT3_21rocsparse_index_base_b.numbered_sgpr, 28
	.set _ZN9rocsparseL27csrmvn_lrb_long_rows_kernelIliDF16_DF16_ffEEvbT_PjPT0_S4_jNS_24const_host_device_scalarIT4_EEPKS1_PKS3_PKT1_PKT2_S7_PT3_21rocsparse_index_base_b.num_named_barrier, 0
	.set _ZN9rocsparseL27csrmvn_lrb_long_rows_kernelIliDF16_DF16_ffEEvbT_PjPT0_S4_jNS_24const_host_device_scalarIT4_EEPKS1_PKS3_PKT1_PKT2_S7_PT3_21rocsparse_index_base_b.private_seg_size, 0
	.set _ZN9rocsparseL27csrmvn_lrb_long_rows_kernelIliDF16_DF16_ffEEvbT_PjPT0_S4_jNS_24const_host_device_scalarIT4_EEPKS1_PKS3_PKT1_PKT2_S7_PT3_21rocsparse_index_base_b.uses_vcc, 1
	.set _ZN9rocsparseL27csrmvn_lrb_long_rows_kernelIliDF16_DF16_ffEEvbT_PjPT0_S4_jNS_24const_host_device_scalarIT4_EEPKS1_PKS3_PKT1_PKT2_S7_PT3_21rocsparse_index_base_b.uses_flat_scratch, 0
	.set _ZN9rocsparseL27csrmvn_lrb_long_rows_kernelIliDF16_DF16_ffEEvbT_PjPT0_S4_jNS_24const_host_device_scalarIT4_EEPKS1_PKS3_PKT1_PKT2_S7_PT3_21rocsparse_index_base_b.has_dyn_sized_stack, 0
	.set _ZN9rocsparseL27csrmvn_lrb_long_rows_kernelIliDF16_DF16_ffEEvbT_PjPT0_S4_jNS_24const_host_device_scalarIT4_EEPKS1_PKS3_PKT1_PKT2_S7_PT3_21rocsparse_index_base_b.has_recursion, 0
	.set _ZN9rocsparseL27csrmvn_lrb_long_rows_kernelIliDF16_DF16_ffEEvbT_PjPT0_S4_jNS_24const_host_device_scalarIT4_EEPKS1_PKS3_PKT1_PKT2_S7_PT3_21rocsparse_index_base_b.has_indirect_call, 0
	.section	.AMDGPU.csdata,"",@progbits
; Kernel info:
; codeLenInByte = 1548
; TotalNumSgprs: 30
; NumVgprs: 12
; ScratchSize: 0
; MemoryBound: 0
; FloatMode: 240
; IeeeMode: 1
; LDSByteSize: 1024 bytes/workgroup (compile time only)
; SGPRBlocks: 0
; VGPRBlocks: 0
; NumSGPRsForWavesPerEU: 30
; NumVGPRsForWavesPerEU: 12
; NamedBarCnt: 0
; Occupancy: 16
; WaveLimiterHint : 1
; COMPUTE_PGM_RSRC2:SCRATCH_EN: 0
; COMPUTE_PGM_RSRC2:USER_SGPR: 2
; COMPUTE_PGM_RSRC2:TRAP_HANDLER: 0
; COMPUTE_PGM_RSRC2:TGID_X_EN: 1
; COMPUTE_PGM_RSRC2:TGID_Y_EN: 0
; COMPUTE_PGM_RSRC2:TGID_Z_EN: 0
; COMPUTE_PGM_RSRC2:TIDIG_COMP_CNT: 0
	.section	.text._ZN9rocsparseL28csrmvn_lrb_short_rows_kernelIllDF16_DF16_ffEEvbT_PT0_S3_jNS_24const_host_device_scalarIT4_EEPKS1_PKS2_PKT1_PKT2_S6_PT3_21rocsparse_index_base_b,"axG",@progbits,_ZN9rocsparseL28csrmvn_lrb_short_rows_kernelIllDF16_DF16_ffEEvbT_PT0_S3_jNS_24const_host_device_scalarIT4_EEPKS1_PKS2_PKT1_PKT2_S6_PT3_21rocsparse_index_base_b,comdat
	.globl	_ZN9rocsparseL28csrmvn_lrb_short_rows_kernelIllDF16_DF16_ffEEvbT_PT0_S3_jNS_24const_host_device_scalarIT4_EEPKS1_PKS2_PKT1_PKT2_S6_PT3_21rocsparse_index_base_b ; -- Begin function _ZN9rocsparseL28csrmvn_lrb_short_rows_kernelIllDF16_DF16_ffEEvbT_PT0_S3_jNS_24const_host_device_scalarIT4_EEPKS1_PKS2_PKT1_PKT2_S6_PT3_21rocsparse_index_base_b
	.p2align	8
	.type	_ZN9rocsparseL28csrmvn_lrb_short_rows_kernelIllDF16_DF16_ffEEvbT_PT0_S3_jNS_24const_host_device_scalarIT4_EEPKS1_PKS2_PKT1_PKT2_S6_PT3_21rocsparse_index_base_b,@function
_ZN9rocsparseL28csrmvn_lrb_short_rows_kernelIllDF16_DF16_ffEEvbT_PT0_S3_jNS_24const_host_device_scalarIT4_EEPKS1_PKS2_PKT1_PKT2_S6_PT3_21rocsparse_index_base_b: ; @_ZN9rocsparseL28csrmvn_lrb_short_rows_kernelIllDF16_DF16_ffEEvbT_PT0_S3_jNS_24const_host_device_scalarIT4_EEPKS1_PKS2_PKT1_PKT2_S6_PT3_21rocsparse_index_base_b
; %bb.0:
	s_clause 0x2
	s_load_b64 s[16:17], s[0:1], 0x60
	s_load_b64 s[18:19], s[0:1], 0x28
	;; [unrolled: 1-line block ×3, first 2 shown]
	s_wait_kmcnt 0x0
	s_bitcmp1_b32 s17, 0
	s_cselect_b32 s4, -1, 0
	s_delay_alu instid0(SALU_CYCLE_1)
	s_and_b32 vcc_lo, exec_lo, s4
	s_xor_b32 s4, s4, -1
	s_cbranch_vccnz .LBB128_2
; %bb.1:
	s_load_b32 s18, s[18:19], 0x0
.LBB128_2:
	s_and_not1_b32 vcc_lo, exec_lo, s4
	s_cbranch_vccnz .LBB128_4
; %bb.3:
	s_load_b32 s2, s[2:3], 0x0
.LBB128_4:
	s_wait_kmcnt 0x0
	s_cmp_neq_f32 s18, 0
	s_mov_b32 s5, 0
	s_cselect_b32 s3, -1, 0
	s_cmp_neq_f32 s2, 1.0
	s_cselect_b32 s4, -1, 0
	s_delay_alu instid0(SALU_CYCLE_1) | instskip(NEXT) | instid1(SALU_CYCLE_1)
	s_or_b32 s3, s3, s4
	s_and_not1_b32 vcc_lo, exec_lo, s3
	s_cbranch_vccnz .LBB128_18
; %bb.5:
	s_clause 0x1
	s_load_b32 s3, s[0:1], 0x20
	s_load_b128 s[12:15], s[0:1], 0x10
	s_getreg_b32 s7, hwreg(HW_REG_IB_STS2, 6, 4)
	s_wait_kmcnt 0x0
	s_add_co_i32 s4, s3, 1
	s_delay_alu instid0(SALU_CYCLE_1) | instskip(NEXT) | instid1(SALU_CYCLE_1)
	s_lshl_b64 s[4:5], s[4:5], 3
	s_add_nc_u64 s[4:5], s[14:15], s[4:5]
	s_clause 0x1
	s_load_b64 s[20:21], s[14:15], s3 offset:0x0 scale_offset
	s_load_b32 s6, s[4:5], 0x0
	s_wait_xcnt 0x0
	s_bfe_u32 s4, ttmp6, 0x4000c
	s_and_b32 s5, ttmp6, 15
	s_add_co_i32 s4, s4, 1
	s_delay_alu instid0(SALU_CYCLE_1) | instskip(NEXT) | instid1(SALU_CYCLE_1)
	s_mul_i32 s4, ttmp9, s4
	s_add_co_i32 s5, s5, s4
	s_wait_kmcnt 0x0
	s_sub_co_i32 s6, s6, s20
	s_cmp_eq_u32 s7, 0
	s_cselect_b32 s4, ttmp9, s5
	s_delay_alu instid0(SALU_CYCLE_1) | instskip(NEXT) | instid1(SALU_CYCLE_1)
	s_lshl_b32 s14, s4, 8
	s_add_co_i32 s4, s14, 0x100
	s_delay_alu instid0(SALU_CYCLE_1)
	s_min_u32 s15, s6, s4
	s_cmp_gt_u32 s3, 23
	s_cbranch_scc1 .LBB128_12
; %bb.6:
	s_load_b256 s[4:11], s[0:1], 0x30
	v_bfe_u32 v6, v0, 0, s3
	v_mov_b32_e32 v7, 0
	v_lshl_add_u32 v1, v0, 2, 0
	s_lshl_b64 s[22:23], s[20:21], 3
	s_mov_b32 s17, 0
	s_lshl_b32 s19, 0x100, s3
	s_add_nc_u64 s[22:23], s[12:13], s[22:23]
	s_mov_b32 s24, s17
	s_branch .LBB128_9
.LBB128_7:                              ;   in Loop: Header=BB128_9 Depth=1
	s_or_b32 exec_lo, exec_lo, s26
	ds_store_b32 v1, v4
.LBB128_8:                              ;   in Loop: Header=BB128_9 Depth=1
	s_or_b32 exec_lo, exec_lo, s25
	v_add_nc_u32_e32 v1, 0x400, v1
	s_addk_co_i32 s24, 0x100
	s_delay_alu instid0(SALU_CYCLE_1)
	s_cmp_ge_u32 s24, s19
	s_cbranch_scc1 .LBB128_12
.LBB128_9:                              ; =>This Inner Loop Header: Depth=1
	v_add_nc_u32_e32 v2, s24, v0
	s_mov_b32 s25, exec_lo
	s_delay_alu instid0(VALU_DEP_1) | instskip(NEXT) | instid1(VALU_DEP_1)
	v_lshrrev_b32_e32 v2, s3, v2
	v_add_nc_u32_e32 v2, s14, v2
	s_delay_alu instid0(VALU_DEP_1)
	v_cmpx_gt_u32_e64 s15, v2
	s_cbranch_execz .LBB128_8
; %bb.10:                               ;   in Loop: Header=BB128_9 Depth=1
	global_load_b64 v[2:3], v2, s[22:23] scale_offset
	s_wait_loadcnt 0x0
	s_wait_kmcnt 0x0
	s_wait_xcnt 0x0
	v_lshl_add_u64 v[2:3], v[2:3], 3, s[4:5]
	global_load_b128 v[2:5], v[2:3], off
	s_wait_loadcnt 0x0
	v_sub_nc_u64_e32 v[4:5], v[4:5], v[2:3]
	s_delay_alu instid0(VALU_DEP_1)
	v_cmp_gt_i64_e32 vcc_lo, v[4:5], v[6:7]
	v_mov_b32_e32 v4, 0
	s_wait_xcnt 0x0
	s_and_saveexec_b32 s26, vcc_lo
	s_cbranch_execz .LBB128_7
; %bb.11:                               ;   in Loop: Header=BB128_9 Depth=1
	v_sub_nc_u64_e64 v[2:3], v[2:3], s[16:17]
	s_delay_alu instid0(VALU_DEP_1) | instskip(NEXT) | instid1(VALU_DEP_1)
	v_add_nc_u64_e32 v[2:3], v[2:3], v[6:7]
	v_lshl_add_u64 v[4:5], v[2:3], 3, s[6:7]
	v_lshl_add_u64 v[2:3], v[2:3], 1, s[8:9]
	global_load_b64 v[4:5], v[4:5], off
	global_load_u16 v8, v[2:3], off
	s_wait_loadcnt 0x1
	s_wait_xcnt 0x1
	v_sub_nc_u64_e64 v[4:5], v[4:5], s[16:17]
	s_wait_xcnt 0x0
	s_delay_alu instid0(VALU_DEP_1) | instskip(SKIP_4) | instid1(VALU_DEP_1)
	v_lshl_add_u64 v[2:3], v[4:5], 1, s[10:11]
	global_load_u16 v2, v[2:3], off
	s_wait_loadcnt 0x1
	s_wait_xcnt 0x0
	v_cvt_f32_f16_e32 v3, v8
	v_mul_f32_e32 v3, s18, v3
	s_wait_loadcnt 0x0
	v_cvt_f32_f16_e32 v2, v2
	s_delay_alu instid0(VALU_DEP_1)
	v_mul_f32_e32 v4, v3, v2
	s_branch .LBB128_7
.LBB128_12:
	s_wait_kmcnt 0x0
	s_sub_co_i32 s4, s15, s14
	s_wait_dscnt 0x0
	v_cmp_gt_u32_e32 vcc_lo, s4, v0
	s_barrier_signal -1
	s_barrier_wait -1
	s_and_saveexec_b32 s4, vcc_lo
	s_cbranch_execz .LBB128_18
; %bb.13:
	s_lshl_b64 s[4:5], s[20:21], 3
	s_mov_b32 s15, 0
	s_add_nc_u64 s[4:5], s[12:13], s[4:5]
	s_lshl_b64 s[6:7], s[14:15], 3
	s_load_b64 s[0:1], s[0:1], 0x58
	s_add_nc_u64 s[4:5], s[4:5], s[6:7]
	v_mov_b32_e32 v4, 0
	global_load_b64 v[2:3], v0, s[4:5] scale_offset
	s_wait_xcnt 0x0
	v_lshlrev_b32_e32 v0, s3, v0
	s_mov_b32 s4, 1
	s_delay_alu instid0(VALU_DEP_1)
	v_lshl_add_u32 v0, v0, 2, 0
.LBB128_14:                             ; =>This Inner Loop Header: Depth=1
	ds_load_b32 v1, v0
	v_add_nc_u32_e32 v0, 4, v0
	s_lshr_b32 s5, s4, s3
	s_add_co_i32 s4, s4, 1
	s_cmp_lg_u32 s5, 0
	s_wait_dscnt 0x0
	v_add_f32_e32 v4, v4, v1
	s_cbranch_scc0 .LBB128_14
; %bb.15:
	s_wait_loadcnt 0x0
	s_wait_kmcnt 0x0
	v_lshl_add_u64 v[0:1], v[2:3], 2, s[0:1]
	s_cmp_neq_f32 s2, 0
	s_cbranch_scc0 .LBB128_17
; %bb.16:
	global_load_b32 v2, v[0:1], off
	s_wait_loadcnt 0x0
	v_fmac_f32_e32 v4, s2, v2
.LBB128_17:
	global_store_b32 v[0:1], v4, off
.LBB128_18:
	s_endpgm
	.section	.rodata,"a",@progbits
	.p2align	6, 0x0
	.amdhsa_kernel _ZN9rocsparseL28csrmvn_lrb_short_rows_kernelIllDF16_DF16_ffEEvbT_PT0_S3_jNS_24const_host_device_scalarIT4_EEPKS1_PKS2_PKT1_PKT2_S6_PT3_21rocsparse_index_base_b
		.amdhsa_group_segment_fixed_size 0
		.amdhsa_private_segment_fixed_size 0
		.amdhsa_kernarg_size 104
		.amdhsa_user_sgpr_count 2
		.amdhsa_user_sgpr_dispatch_ptr 0
		.amdhsa_user_sgpr_queue_ptr 0
		.amdhsa_user_sgpr_kernarg_segment_ptr 1
		.amdhsa_user_sgpr_dispatch_id 0
		.amdhsa_user_sgpr_kernarg_preload_length 0
		.amdhsa_user_sgpr_kernarg_preload_offset 0
		.amdhsa_user_sgpr_private_segment_size 0
		.amdhsa_wavefront_size32 1
		.amdhsa_uses_dynamic_stack 0
		.amdhsa_enable_private_segment 0
		.amdhsa_system_sgpr_workgroup_id_x 1
		.amdhsa_system_sgpr_workgroup_id_y 0
		.amdhsa_system_sgpr_workgroup_id_z 0
		.amdhsa_system_sgpr_workgroup_info 0
		.amdhsa_system_vgpr_workitem_id 0
		.amdhsa_next_free_vgpr 9
		.amdhsa_next_free_sgpr 27
		.amdhsa_named_barrier_count 0
		.amdhsa_reserve_vcc 1
		.amdhsa_float_round_mode_32 0
		.amdhsa_float_round_mode_16_64 0
		.amdhsa_float_denorm_mode_32 3
		.amdhsa_float_denorm_mode_16_64 3
		.amdhsa_fp16_overflow 0
		.amdhsa_memory_ordered 1
		.amdhsa_forward_progress 1
		.amdhsa_inst_pref_size 7
		.amdhsa_round_robin_scheduling 0
		.amdhsa_exception_fp_ieee_invalid_op 0
		.amdhsa_exception_fp_denorm_src 0
		.amdhsa_exception_fp_ieee_div_zero 0
		.amdhsa_exception_fp_ieee_overflow 0
		.amdhsa_exception_fp_ieee_underflow 0
		.amdhsa_exception_fp_ieee_inexact 0
		.amdhsa_exception_int_div_zero 0
	.end_amdhsa_kernel
	.section	.text._ZN9rocsparseL28csrmvn_lrb_short_rows_kernelIllDF16_DF16_ffEEvbT_PT0_S3_jNS_24const_host_device_scalarIT4_EEPKS1_PKS2_PKT1_PKT2_S6_PT3_21rocsparse_index_base_b,"axG",@progbits,_ZN9rocsparseL28csrmvn_lrb_short_rows_kernelIllDF16_DF16_ffEEvbT_PT0_S3_jNS_24const_host_device_scalarIT4_EEPKS1_PKS2_PKT1_PKT2_S6_PT3_21rocsparse_index_base_b,comdat
.Lfunc_end128:
	.size	_ZN9rocsparseL28csrmvn_lrb_short_rows_kernelIllDF16_DF16_ffEEvbT_PT0_S3_jNS_24const_host_device_scalarIT4_EEPKS1_PKS2_PKT1_PKT2_S6_PT3_21rocsparse_index_base_b, .Lfunc_end128-_ZN9rocsparseL28csrmvn_lrb_short_rows_kernelIllDF16_DF16_ffEEvbT_PT0_S3_jNS_24const_host_device_scalarIT4_EEPKS1_PKS2_PKT1_PKT2_S6_PT3_21rocsparse_index_base_b
                                        ; -- End function
	.set _ZN9rocsparseL28csrmvn_lrb_short_rows_kernelIllDF16_DF16_ffEEvbT_PT0_S3_jNS_24const_host_device_scalarIT4_EEPKS1_PKS2_PKT1_PKT2_S6_PT3_21rocsparse_index_base_b.num_vgpr, 9
	.set _ZN9rocsparseL28csrmvn_lrb_short_rows_kernelIllDF16_DF16_ffEEvbT_PT0_S3_jNS_24const_host_device_scalarIT4_EEPKS1_PKS2_PKT1_PKT2_S6_PT3_21rocsparse_index_base_b.num_agpr, 0
	.set _ZN9rocsparseL28csrmvn_lrb_short_rows_kernelIllDF16_DF16_ffEEvbT_PT0_S3_jNS_24const_host_device_scalarIT4_EEPKS1_PKS2_PKT1_PKT2_S6_PT3_21rocsparse_index_base_b.numbered_sgpr, 27
	.set _ZN9rocsparseL28csrmvn_lrb_short_rows_kernelIllDF16_DF16_ffEEvbT_PT0_S3_jNS_24const_host_device_scalarIT4_EEPKS1_PKS2_PKT1_PKT2_S6_PT3_21rocsparse_index_base_b.num_named_barrier, 0
	.set _ZN9rocsparseL28csrmvn_lrb_short_rows_kernelIllDF16_DF16_ffEEvbT_PT0_S3_jNS_24const_host_device_scalarIT4_EEPKS1_PKS2_PKT1_PKT2_S6_PT3_21rocsparse_index_base_b.private_seg_size, 0
	.set _ZN9rocsparseL28csrmvn_lrb_short_rows_kernelIllDF16_DF16_ffEEvbT_PT0_S3_jNS_24const_host_device_scalarIT4_EEPKS1_PKS2_PKT1_PKT2_S6_PT3_21rocsparse_index_base_b.uses_vcc, 1
	.set _ZN9rocsparseL28csrmvn_lrb_short_rows_kernelIllDF16_DF16_ffEEvbT_PT0_S3_jNS_24const_host_device_scalarIT4_EEPKS1_PKS2_PKT1_PKT2_S6_PT3_21rocsparse_index_base_b.uses_flat_scratch, 0
	.set _ZN9rocsparseL28csrmvn_lrb_short_rows_kernelIllDF16_DF16_ffEEvbT_PT0_S3_jNS_24const_host_device_scalarIT4_EEPKS1_PKS2_PKT1_PKT2_S6_PT3_21rocsparse_index_base_b.has_dyn_sized_stack, 0
	.set _ZN9rocsparseL28csrmvn_lrb_short_rows_kernelIllDF16_DF16_ffEEvbT_PT0_S3_jNS_24const_host_device_scalarIT4_EEPKS1_PKS2_PKT1_PKT2_S6_PT3_21rocsparse_index_base_b.has_recursion, 0
	.set _ZN9rocsparseL28csrmvn_lrb_short_rows_kernelIllDF16_DF16_ffEEvbT_PT0_S3_jNS_24const_host_device_scalarIT4_EEPKS1_PKS2_PKT1_PKT2_S6_PT3_21rocsparse_index_base_b.has_indirect_call, 0
	.section	.AMDGPU.csdata,"",@progbits
; Kernel info:
; codeLenInByte = 804
; TotalNumSgprs: 29
; NumVgprs: 9
; ScratchSize: 0
; MemoryBound: 0
; FloatMode: 240
; IeeeMode: 1
; LDSByteSize: 0 bytes/workgroup (compile time only)
; SGPRBlocks: 0
; VGPRBlocks: 0
; NumSGPRsForWavesPerEU: 29
; NumVGPRsForWavesPerEU: 9
; NamedBarCnt: 0
; Occupancy: 16
; WaveLimiterHint : 1
; COMPUTE_PGM_RSRC2:SCRATCH_EN: 0
; COMPUTE_PGM_RSRC2:USER_SGPR: 2
; COMPUTE_PGM_RSRC2:TRAP_HANDLER: 0
; COMPUTE_PGM_RSRC2:TGID_X_EN: 1
; COMPUTE_PGM_RSRC2:TGID_Y_EN: 0
; COMPUTE_PGM_RSRC2:TGID_Z_EN: 0
; COMPUTE_PGM_RSRC2:TIDIG_COMP_CNT: 0
	.section	.text._ZN9rocsparseL30csrmvn_lrb_short_rows_2_kernelIllDF16_DF16_ffEEvbT_PT0_S3_jNS_24const_host_device_scalarIT4_EEPKS1_PKS2_PKT1_PKT2_S6_PT3_21rocsparse_index_base_b,"axG",@progbits,_ZN9rocsparseL30csrmvn_lrb_short_rows_2_kernelIllDF16_DF16_ffEEvbT_PT0_S3_jNS_24const_host_device_scalarIT4_EEPKS1_PKS2_PKT1_PKT2_S6_PT3_21rocsparse_index_base_b,comdat
	.globl	_ZN9rocsparseL30csrmvn_lrb_short_rows_2_kernelIllDF16_DF16_ffEEvbT_PT0_S3_jNS_24const_host_device_scalarIT4_EEPKS1_PKS2_PKT1_PKT2_S6_PT3_21rocsparse_index_base_b ; -- Begin function _ZN9rocsparseL30csrmvn_lrb_short_rows_2_kernelIllDF16_DF16_ffEEvbT_PT0_S3_jNS_24const_host_device_scalarIT4_EEPKS1_PKS2_PKT1_PKT2_S6_PT3_21rocsparse_index_base_b
	.p2align	8
	.type	_ZN9rocsparseL30csrmvn_lrb_short_rows_2_kernelIllDF16_DF16_ffEEvbT_PT0_S3_jNS_24const_host_device_scalarIT4_EEPKS1_PKS2_PKT1_PKT2_S6_PT3_21rocsparse_index_base_b,@function
_ZN9rocsparseL30csrmvn_lrb_short_rows_2_kernelIllDF16_DF16_ffEEvbT_PT0_S3_jNS_24const_host_device_scalarIT4_EEPKS1_PKS2_PKT1_PKT2_S6_PT3_21rocsparse_index_base_b: ; @_ZN9rocsparseL30csrmvn_lrb_short_rows_2_kernelIllDF16_DF16_ffEEvbT_PT0_S3_jNS_24const_host_device_scalarIT4_EEPKS1_PKS2_PKT1_PKT2_S6_PT3_21rocsparse_index_base_b
; %bb.0:
	s_clause 0x2
	s_load_b64 s[16:17], s[0:1], 0x60
	s_load_b64 s[14:15], s[0:1], 0x28
	;; [unrolled: 1-line block ×3, first 2 shown]
	s_wait_kmcnt 0x0
	s_bitcmp1_b32 s17, 0
	s_cselect_b32 s4, -1, 0
	s_delay_alu instid0(SALU_CYCLE_1)
	s_and_b32 vcc_lo, exec_lo, s4
	s_xor_b32 s4, s4, -1
	s_cbranch_vccnz .LBB129_2
; %bb.1:
	s_load_b32 s14, s[14:15], 0x0
.LBB129_2:
	s_and_not1_b32 vcc_lo, exec_lo, s4
	s_cbranch_vccnz .LBB129_4
; %bb.3:
	s_load_b32 s2, s[2:3], 0x0
.LBB129_4:
	s_wait_kmcnt 0x0
	s_cmp_neq_f32 s14, 0
	s_mov_b32 s17, 0
	s_cselect_b32 s3, -1, 0
	s_cmp_neq_f32 s2, 1.0
	s_cselect_b32 s4, -1, 0
	s_delay_alu instid0(SALU_CYCLE_1) | instskip(NEXT) | instid1(SALU_CYCLE_1)
	s_or_b32 s3, s3, s4
	s_and_not1_b32 vcc_lo, exec_lo, s3
	s_cbranch_vccnz .LBB129_30
; %bb.5:
	s_clause 0x1
	s_load_b32 s3, s[0:1], 0x20
	s_load_b128 s[24:27], s[0:1], 0x10
	s_mov_b32 s5, s17
	s_bfe_u32 s13, ttmp6, 0x4000c
	s_and_b32 s15, ttmp6, 15
	s_add_co_i32 s13, s13, 1
	s_getreg_b32 s20, hwreg(HW_REG_IB_STS2, 6, 4)
	s_mul_i32 s13, ttmp9, s13
	v_mov_b32_e32 v7, 0
	s_add_co_i32 s13, s15, s13
	s_wait_kmcnt 0x0
	s_add_co_i32 s4, s3, 1
	s_lshr_b32 s15, 0x400, s3
	s_lshl_b64 s[4:5], s[4:5], 3
	v_lshrrev_b32_e32 v1, s3, v0
	s_add_nc_u64 s[4:5], s[26:27], s[4:5]
	s_clause 0x1
	s_load_b64 s[18:19], s[26:27], s3 offset:0x0 scale_offset
	s_load_b32 s12, s[4:5], 0x0
	v_bfe_u32 v6, v0, 0, s3
	s_wait_xcnt 0x0
	s_load_b256 s[4:11], s[0:1], 0x30
	s_wait_kmcnt 0x0
	s_sub_co_i32 s21, s12, s18
	s_cmp_eq_u32 s20, 0
	s_cselect_b32 s12, ttmp9, s13
	s_lshl_b64 s[18:19], s[18:19], 3
	s_mul_i32 s12, s15, s12
	s_add_nc_u64 s[18:19], s[24:25], s[18:19]
	v_add_nc_u32_e32 v1, s12, v1
	s_add_co_i32 s13, s12, s15
	s_delay_alu instid0(SALU_CYCLE_1) | instskip(SKIP_1) | instid1(VALU_DEP_1)
	s_min_u32 s20, s21, s13
	s_mov_b32 s13, exec_lo
	v_cmpx_gt_u32_e64 s20, v1
	s_cbranch_execz .LBB129_9
; %bb.6:
	global_load_b64 v[2:3], v1, s[18:19] scale_offset
	s_wait_xcnt 0x0
	v_mov_b32_e32 v1, v7
	s_mov_b32 s21, exec_lo
	s_wait_loadcnt 0x0
	v_lshl_add_u64 v[2:3], v[2:3], 3, s[4:5]
	global_load_b128 v[2:5], v[2:3], off
	s_wait_loadcnt 0x0
	v_sub_nc_u64_e32 v[4:5], v[4:5], v[2:3]
	s_delay_alu instid0(VALU_DEP_1)
	v_cmpx_gt_i64_e64 v[4:5], v[6:7]
	s_cbranch_execz .LBB129_8
; %bb.7:
	v_sub_nc_u64_e64 v[2:3], v[2:3], s[16:17]
	s_delay_alu instid0(VALU_DEP_1) | instskip(NEXT) | instid1(VALU_DEP_1)
	v_add_nc_u64_e32 v[2:3], v[2:3], v[6:7]
	v_lshl_add_u64 v[4:5], v[2:3], 3, s[6:7]
	v_lshl_add_u64 v[2:3], v[2:3], 1, s[8:9]
	global_load_b64 v[4:5], v[4:5], off
	global_load_u16 v1, v[2:3], off
	s_wait_loadcnt 0x1
	s_wait_xcnt 0x1
	v_sub_nc_u64_e64 v[4:5], v[4:5], s[16:17]
	s_wait_loadcnt 0x0
	v_cvt_f32_f16_e32 v1, v1
	s_delay_alu instid0(VALU_DEP_1) | instskip(NEXT) | instid1(VALU_DEP_3)
	v_mul_f32_e32 v1, s14, v1
	v_lshl_add_u64 v[2:3], v[4:5], 1, s[10:11]
	global_load_u16 v2, v[2:3], off
	s_wait_loadcnt 0x0
	v_cvt_f32_f16_e32 v2, v2
	s_delay_alu instid0(VALU_DEP_1)
	v_mul_f32_e32 v1, v1, v2
.LBB129_8:
	s_or_b32 exec_lo, exec_lo, s21
	v_lshlrev_b32_e32 v2, 2, v0
	ds_store_b32 v2, v1
.LBB129_9:
	s_or_b32 exec_lo, exec_lo, s13
	s_load_b64 s[0:1], s[0:1], 0x58
	v_or_b32_e32 v1, 0x100, v0
	s_mov_b32 s13, exec_lo
	s_delay_alu instid0(VALU_DEP_1) | instskip(NEXT) | instid1(VALU_DEP_1)
	v_lshrrev_b32_e32 v1, s3, v1
	v_add_nc_u32_e32 v1, s12, v1
	s_delay_alu instid0(VALU_DEP_1)
	v_cmpx_gt_u32_e64 s20, v1
	s_cbranch_execz .LBB129_13
; %bb.10:
	global_load_b64 v[2:3], v1, s[18:19] scale_offset
	s_wait_xcnt 0x0
	v_mov_b32_e32 v1, 0
	s_mov_b32 s21, exec_lo
	s_wait_loadcnt 0x0
	v_lshl_add_u64 v[2:3], v[2:3], 3, s[4:5]
	global_load_b128 v[2:5], v[2:3], off
	s_wait_loadcnt 0x0
	v_sub_nc_u64_e32 v[4:5], v[4:5], v[2:3]
	s_delay_alu instid0(VALU_DEP_1)
	v_cmpx_gt_i64_e64 v[4:5], v[6:7]
	s_cbranch_execz .LBB129_12
; %bb.11:
	v_sub_nc_u64_e64 v[2:3], v[2:3], s[16:17]
	s_delay_alu instid0(VALU_DEP_1) | instskip(NEXT) | instid1(VALU_DEP_1)
	v_add_nc_u64_e32 v[2:3], v[2:3], v[6:7]
	v_lshl_add_u64 v[4:5], v[2:3], 3, s[6:7]
	v_lshl_add_u64 v[2:3], v[2:3], 1, s[8:9]
	global_load_b64 v[4:5], v[4:5], off
	global_load_u16 v1, v[2:3], off
	s_wait_loadcnt 0x1
	s_wait_xcnt 0x1
	v_sub_nc_u64_e64 v[4:5], v[4:5], s[16:17]
	s_wait_loadcnt 0x0
	v_cvt_f32_f16_e32 v1, v1
	s_delay_alu instid0(VALU_DEP_1) | instskip(NEXT) | instid1(VALU_DEP_3)
	v_mul_f32_e32 v1, s14, v1
	v_lshl_add_u64 v[2:3], v[4:5], 1, s[10:11]
	global_load_u16 v2, v[2:3], off
	s_wait_loadcnt 0x0
	v_cvt_f32_f16_e32 v2, v2
	s_delay_alu instid0(VALU_DEP_1)
	v_mul_f32_e32 v1, v1, v2
.LBB129_12:
	s_or_b32 exec_lo, exec_lo, s21
	v_lshlrev_b32_e32 v2, 2, v0
	ds_store_b32 v2, v1 offset:1024
.LBB129_13:
	s_or_b32 exec_lo, exec_lo, s13
	v_or_b32_e32 v1, 0x200, v0
	s_mov_b32 s13, exec_lo
	s_delay_alu instid0(VALU_DEP_1) | instskip(NEXT) | instid1(VALU_DEP_1)
	v_lshrrev_b32_e32 v1, s3, v1
	v_add_nc_u32_e32 v1, s12, v1
	s_delay_alu instid0(VALU_DEP_1)
	v_cmpx_gt_u32_e64 s20, v1
	s_cbranch_execz .LBB129_17
; %bb.14:
	global_load_b64 v[2:3], v1, s[18:19] scale_offset
	s_wait_xcnt 0x0
	v_mov_b32_e32 v1, 0
	s_mov_b32 s21, exec_lo
	s_wait_loadcnt 0x0
	v_lshl_add_u64 v[2:3], v[2:3], 3, s[4:5]
	global_load_b128 v[2:5], v[2:3], off
	s_wait_loadcnt 0x0
	v_sub_nc_u64_e32 v[4:5], v[4:5], v[2:3]
	s_delay_alu instid0(VALU_DEP_1)
	v_cmpx_gt_i64_e64 v[4:5], v[6:7]
	s_cbranch_execz .LBB129_16
; %bb.15:
	v_sub_nc_u64_e64 v[2:3], v[2:3], s[16:17]
	s_delay_alu instid0(VALU_DEP_1) | instskip(NEXT) | instid1(VALU_DEP_1)
	v_add_nc_u64_e32 v[2:3], v[2:3], v[6:7]
	v_lshl_add_u64 v[4:5], v[2:3], 3, s[6:7]
	v_lshl_add_u64 v[2:3], v[2:3], 1, s[8:9]
	global_load_b64 v[4:5], v[4:5], off
	global_load_u16 v1, v[2:3], off
	s_wait_loadcnt 0x1
	s_wait_xcnt 0x1
	v_sub_nc_u64_e64 v[4:5], v[4:5], s[16:17]
	s_wait_loadcnt 0x0
	v_cvt_f32_f16_e32 v1, v1
	s_delay_alu instid0(VALU_DEP_1) | instskip(NEXT) | instid1(VALU_DEP_3)
	v_mul_f32_e32 v1, s14, v1
	v_lshl_add_u64 v[2:3], v[4:5], 1, s[10:11]
	global_load_u16 v2, v[2:3], off
	s_wait_loadcnt 0x0
	v_cvt_f32_f16_e32 v2, v2
	s_delay_alu instid0(VALU_DEP_1)
	v_mul_f32_e32 v1, v1, v2
.LBB129_16:
	s_or_b32 exec_lo, exec_lo, s21
	v_lshlrev_b32_e32 v2, 2, v0
	ds_store_b32 v2, v1 offset:2048
.LBB129_17:
	s_or_b32 exec_lo, exec_lo, s13
	v_or_b32_e32 v1, 0x300, v0
	s_mov_b32 s13, exec_lo
	s_delay_alu instid0(VALU_DEP_1) | instskip(NEXT) | instid1(VALU_DEP_1)
	v_lshrrev_b32_e32 v1, s3, v1
	v_add_nc_u32_e32 v1, s12, v1
	s_delay_alu instid0(VALU_DEP_1)
	v_cmpx_gt_u32_e64 s20, v1
	s_cbranch_execz .LBB129_21
; %bb.18:
	global_load_b64 v[2:3], v1, s[18:19] scale_offset
	s_wait_xcnt 0x0
	v_mov_b32_e32 v1, 0
	s_wait_loadcnt 0x0
	v_lshl_add_u64 v[2:3], v[2:3], 3, s[4:5]
	s_mov_b32 s4, exec_lo
	global_load_b128 v[2:5], v[2:3], off
	s_wait_loadcnt 0x0
	v_sub_nc_u64_e32 v[4:5], v[4:5], v[2:3]
	s_delay_alu instid0(VALU_DEP_1)
	v_cmpx_gt_i64_e64 v[4:5], v[6:7]
	s_cbranch_execz .LBB129_20
; %bb.19:
	v_sub_nc_u64_e64 v[2:3], v[2:3], s[16:17]
	s_delay_alu instid0(VALU_DEP_1) | instskip(NEXT) | instid1(VALU_DEP_1)
	v_add_nc_u64_e32 v[2:3], v[2:3], v[6:7]
	v_lshl_add_u64 v[4:5], v[2:3], 3, s[6:7]
	v_lshl_add_u64 v[2:3], v[2:3], 1, s[8:9]
	global_load_b64 v[4:5], v[4:5], off
	global_load_u16 v1, v[2:3], off
	s_wait_loadcnt 0x1
	s_wait_xcnt 0x1
	v_sub_nc_u64_e64 v[4:5], v[4:5], s[16:17]
	s_wait_loadcnt 0x0
	v_cvt_f32_f16_e32 v1, v1
	s_delay_alu instid0(VALU_DEP_1) | instskip(NEXT) | instid1(VALU_DEP_3)
	v_mul_f32_e32 v1, s14, v1
	v_lshl_add_u64 v[2:3], v[4:5], 1, s[10:11]
	global_load_u16 v2, v[2:3], off
	s_wait_loadcnt 0x0
	v_cvt_f32_f16_e32 v2, v2
	s_delay_alu instid0(VALU_DEP_1)
	v_mul_f32_e32 v1, v1, v2
.LBB129_20:
	s_or_b32 exec_lo, exec_lo, s4
	v_lshlrev_b32_e32 v2, 2, v0
	ds_store_b32 v2, v1 offset:3072
.LBB129_21:
	s_or_b32 exec_lo, exec_lo, s13
	s_cmp_lt_u32 s3, 11
	s_wait_dscnt 0x0
	s_barrier_signal -1
	s_barrier_wait -1
	s_cbranch_scc0 .LBB129_30
; %bb.22:
	s_mov_b32 s13, 0
	s_sub_co_i32 s6, s20, s12
	s_lshl_b64 s[4:5], s[12:13], 3
	s_cmp_neq_f32 s2, 0
	s_add_nc_u64 s[4:5], s[18:19], s[4:5]
	s_cselect_b32 s7, -1, 0
	s_branch .LBB129_25
.LBB129_23:                             ;   in Loop: Header=BB129_25 Depth=1
	global_store_b32 v[2:3], v1, off
.LBB129_24:                             ;   in Loop: Header=BB129_25 Depth=1
	s_wait_xcnt 0x0
	s_or_b32 exec_lo, exec_lo, s8
	s_addk_co_i32 s13, 0x100
	s_delay_alu instid0(SALU_CYCLE_1)
	s_cmp_lt_u32 s13, s15
	s_cbranch_scc0 .LBB129_30
.LBB129_25:                             ; =>This Loop Header: Depth=1
                                        ;     Child Loop BB129_27 Depth 2
	v_add_nc_u32_e32 v1, s13, v0
	s_mov_b32 s8, exec_lo
	s_delay_alu instid0(VALU_DEP_1)
	v_cmpx_gt_u32_e64 s6, v1
	s_cbranch_execz .LBB129_24
; %bb.26:                               ;   in Loop: Header=BB129_25 Depth=1
	global_load_b64 v[2:3], v1, s[4:5] scale_offset
	s_wait_xcnt 0x0
	v_lshlrev_b32_e32 v1, s3, v1
	s_mov_b32 s9, 1
	s_delay_alu instid0(VALU_DEP_1)
	v_dual_mov_b32 v1, 0 :: v_dual_lshlrev_b32 v4, 2, v1
.LBB129_27:                             ;   Parent Loop BB129_25 Depth=1
                                        ; =>  This Inner Loop Header: Depth=2
	ds_load_b32 v5, v4
	v_add_nc_u32_e32 v4, 4, v4
	s_lshr_b32 s10, s9, s3
	s_add_co_i32 s9, s9, 1
	s_cmp_lg_u32 s10, 0
	s_wait_dscnt 0x0
	v_add_f32_e32 v1, v1, v5
	s_cbranch_scc0 .LBB129_27
; %bb.28:                               ;   in Loop: Header=BB129_25 Depth=1
	s_wait_loadcnt 0x0
	s_wait_kmcnt 0x0
	v_lshl_add_u64 v[2:3], v[2:3], 2, s[0:1]
	s_and_b32 vcc_lo, exec_lo, s7
	s_cbranch_vccz .LBB129_23
; %bb.29:                               ;   in Loop: Header=BB129_25 Depth=1
	global_load_b32 v4, v[2:3], off
	s_wait_loadcnt 0x0
	v_fmac_f32_e32 v1, s2, v4
	s_branch .LBB129_23
.LBB129_30:
	s_endpgm
	.section	.rodata,"a",@progbits
	.p2align	6, 0x0
	.amdhsa_kernel _ZN9rocsparseL30csrmvn_lrb_short_rows_2_kernelIllDF16_DF16_ffEEvbT_PT0_S3_jNS_24const_host_device_scalarIT4_EEPKS1_PKS2_PKT1_PKT2_S6_PT3_21rocsparse_index_base_b
		.amdhsa_group_segment_fixed_size 4096
		.amdhsa_private_segment_fixed_size 0
		.amdhsa_kernarg_size 104
		.amdhsa_user_sgpr_count 2
		.amdhsa_user_sgpr_dispatch_ptr 0
		.amdhsa_user_sgpr_queue_ptr 0
		.amdhsa_user_sgpr_kernarg_segment_ptr 1
		.amdhsa_user_sgpr_dispatch_id 0
		.amdhsa_user_sgpr_kernarg_preload_length 0
		.amdhsa_user_sgpr_kernarg_preload_offset 0
		.amdhsa_user_sgpr_private_segment_size 0
		.amdhsa_wavefront_size32 1
		.amdhsa_uses_dynamic_stack 0
		.amdhsa_enable_private_segment 0
		.amdhsa_system_sgpr_workgroup_id_x 1
		.amdhsa_system_sgpr_workgroup_id_y 0
		.amdhsa_system_sgpr_workgroup_id_z 0
		.amdhsa_system_sgpr_workgroup_info 0
		.amdhsa_system_vgpr_workitem_id 0
		.amdhsa_next_free_vgpr 8
		.amdhsa_next_free_sgpr 28
		.amdhsa_named_barrier_count 0
		.amdhsa_reserve_vcc 1
		.amdhsa_float_round_mode_32 0
		.amdhsa_float_round_mode_16_64 0
		.amdhsa_float_denorm_mode_32 3
		.amdhsa_float_denorm_mode_16_64 3
		.amdhsa_fp16_overflow 0
		.amdhsa_memory_ordered 1
		.amdhsa_forward_progress 1
		.amdhsa_inst_pref_size 12
		.amdhsa_round_robin_scheduling 0
		.amdhsa_exception_fp_ieee_invalid_op 0
		.amdhsa_exception_fp_denorm_src 0
		.amdhsa_exception_fp_ieee_div_zero 0
		.amdhsa_exception_fp_ieee_overflow 0
		.amdhsa_exception_fp_ieee_underflow 0
		.amdhsa_exception_fp_ieee_inexact 0
		.amdhsa_exception_int_div_zero 0
	.end_amdhsa_kernel
	.section	.text._ZN9rocsparseL30csrmvn_lrb_short_rows_2_kernelIllDF16_DF16_ffEEvbT_PT0_S3_jNS_24const_host_device_scalarIT4_EEPKS1_PKS2_PKT1_PKT2_S6_PT3_21rocsparse_index_base_b,"axG",@progbits,_ZN9rocsparseL30csrmvn_lrb_short_rows_2_kernelIllDF16_DF16_ffEEvbT_PT0_S3_jNS_24const_host_device_scalarIT4_EEPKS1_PKS2_PKT1_PKT2_S6_PT3_21rocsparse_index_base_b,comdat
.Lfunc_end129:
	.size	_ZN9rocsparseL30csrmvn_lrb_short_rows_2_kernelIllDF16_DF16_ffEEvbT_PT0_S3_jNS_24const_host_device_scalarIT4_EEPKS1_PKS2_PKT1_PKT2_S6_PT3_21rocsparse_index_base_b, .Lfunc_end129-_ZN9rocsparseL30csrmvn_lrb_short_rows_2_kernelIllDF16_DF16_ffEEvbT_PT0_S3_jNS_24const_host_device_scalarIT4_EEPKS1_PKS2_PKT1_PKT2_S6_PT3_21rocsparse_index_base_b
                                        ; -- End function
	.set _ZN9rocsparseL30csrmvn_lrb_short_rows_2_kernelIllDF16_DF16_ffEEvbT_PT0_S3_jNS_24const_host_device_scalarIT4_EEPKS1_PKS2_PKT1_PKT2_S6_PT3_21rocsparse_index_base_b.num_vgpr, 8
	.set _ZN9rocsparseL30csrmvn_lrb_short_rows_2_kernelIllDF16_DF16_ffEEvbT_PT0_S3_jNS_24const_host_device_scalarIT4_EEPKS1_PKS2_PKT1_PKT2_S6_PT3_21rocsparse_index_base_b.num_agpr, 0
	.set _ZN9rocsparseL30csrmvn_lrb_short_rows_2_kernelIllDF16_DF16_ffEEvbT_PT0_S3_jNS_24const_host_device_scalarIT4_EEPKS1_PKS2_PKT1_PKT2_S6_PT3_21rocsparse_index_base_b.numbered_sgpr, 28
	.set _ZN9rocsparseL30csrmvn_lrb_short_rows_2_kernelIllDF16_DF16_ffEEvbT_PT0_S3_jNS_24const_host_device_scalarIT4_EEPKS1_PKS2_PKT1_PKT2_S6_PT3_21rocsparse_index_base_b.num_named_barrier, 0
	.set _ZN9rocsparseL30csrmvn_lrb_short_rows_2_kernelIllDF16_DF16_ffEEvbT_PT0_S3_jNS_24const_host_device_scalarIT4_EEPKS1_PKS2_PKT1_PKT2_S6_PT3_21rocsparse_index_base_b.private_seg_size, 0
	.set _ZN9rocsparseL30csrmvn_lrb_short_rows_2_kernelIllDF16_DF16_ffEEvbT_PT0_S3_jNS_24const_host_device_scalarIT4_EEPKS1_PKS2_PKT1_PKT2_S6_PT3_21rocsparse_index_base_b.uses_vcc, 1
	.set _ZN9rocsparseL30csrmvn_lrb_short_rows_2_kernelIllDF16_DF16_ffEEvbT_PT0_S3_jNS_24const_host_device_scalarIT4_EEPKS1_PKS2_PKT1_PKT2_S6_PT3_21rocsparse_index_base_b.uses_flat_scratch, 0
	.set _ZN9rocsparseL30csrmvn_lrb_short_rows_2_kernelIllDF16_DF16_ffEEvbT_PT0_S3_jNS_24const_host_device_scalarIT4_EEPKS1_PKS2_PKT1_PKT2_S6_PT3_21rocsparse_index_base_b.has_dyn_sized_stack, 0
	.set _ZN9rocsparseL30csrmvn_lrb_short_rows_2_kernelIllDF16_DF16_ffEEvbT_PT0_S3_jNS_24const_host_device_scalarIT4_EEPKS1_PKS2_PKT1_PKT2_S6_PT3_21rocsparse_index_base_b.has_recursion, 0
	.set _ZN9rocsparseL30csrmvn_lrb_short_rows_2_kernelIllDF16_DF16_ffEEvbT_PT0_S3_jNS_24const_host_device_scalarIT4_EEPKS1_PKS2_PKT1_PKT2_S6_PT3_21rocsparse_index_base_b.has_indirect_call, 0
	.section	.AMDGPU.csdata,"",@progbits
; Kernel info:
; codeLenInByte = 1528
; TotalNumSgprs: 30
; NumVgprs: 8
; ScratchSize: 0
; MemoryBound: 0
; FloatMode: 240
; IeeeMode: 1
; LDSByteSize: 4096 bytes/workgroup (compile time only)
; SGPRBlocks: 0
; VGPRBlocks: 0
; NumSGPRsForWavesPerEU: 30
; NumVGPRsForWavesPerEU: 8
; NamedBarCnt: 0
; Occupancy: 16
; WaveLimiterHint : 1
; COMPUTE_PGM_RSRC2:SCRATCH_EN: 0
; COMPUTE_PGM_RSRC2:USER_SGPR: 2
; COMPUTE_PGM_RSRC2:TRAP_HANDLER: 0
; COMPUTE_PGM_RSRC2:TGID_X_EN: 1
; COMPUTE_PGM_RSRC2:TGID_Y_EN: 0
; COMPUTE_PGM_RSRC2:TGID_Z_EN: 0
; COMPUTE_PGM_RSRC2:TIDIG_COMP_CNT: 0
	.section	.text._ZN9rocsparseL41csrmvn_lrb_medium_rows_warp_reduce_kernelILj256ELj32EllDF16_DF16_ffEEvbT1_lPT2_S3_jNS_24const_host_device_scalarIT6_EEPKS1_PKS2_PKT3_PKT4_S6_PT5_21rocsparse_index_base_b,"axG",@progbits,_ZN9rocsparseL41csrmvn_lrb_medium_rows_warp_reduce_kernelILj256ELj32EllDF16_DF16_ffEEvbT1_lPT2_S3_jNS_24const_host_device_scalarIT6_EEPKS1_PKS2_PKT3_PKT4_S6_PT5_21rocsparse_index_base_b,comdat
	.globl	_ZN9rocsparseL41csrmvn_lrb_medium_rows_warp_reduce_kernelILj256ELj32EllDF16_DF16_ffEEvbT1_lPT2_S3_jNS_24const_host_device_scalarIT6_EEPKS1_PKS2_PKT3_PKT4_S6_PT5_21rocsparse_index_base_b ; -- Begin function _ZN9rocsparseL41csrmvn_lrb_medium_rows_warp_reduce_kernelILj256ELj32EllDF16_DF16_ffEEvbT1_lPT2_S3_jNS_24const_host_device_scalarIT6_EEPKS1_PKS2_PKT3_PKT4_S6_PT5_21rocsparse_index_base_b
	.p2align	8
	.type	_ZN9rocsparseL41csrmvn_lrb_medium_rows_warp_reduce_kernelILj256ELj32EllDF16_DF16_ffEEvbT1_lPT2_S3_jNS_24const_host_device_scalarIT6_EEPKS1_PKS2_PKT3_PKT4_S6_PT5_21rocsparse_index_base_b,@function
_ZN9rocsparseL41csrmvn_lrb_medium_rows_warp_reduce_kernelILj256ELj32EllDF16_DF16_ffEEvbT1_lPT2_S3_jNS_24const_host_device_scalarIT6_EEPKS1_PKS2_PKT3_PKT4_S6_PT5_21rocsparse_index_base_b: ; @_ZN9rocsparseL41csrmvn_lrb_medium_rows_warp_reduce_kernelILj256ELj32EllDF16_DF16_ffEEvbT1_lPT2_S3_jNS_24const_host_device_scalarIT6_EEPKS1_PKS2_PKT3_PKT4_S6_PT5_21rocsparse_index_base_b
; %bb.0:
	s_clause 0x2
	s_load_b64 s[4:5], s[0:1], 0x68
	s_load_b64 s[6:7], s[0:1], 0x30
	;; [unrolled: 1-line block ×3, first 2 shown]
	s_wait_kmcnt 0x0
	s_bitcmp1_b32 s5, 0
	s_cselect_b32 s5, -1, 0
	s_delay_alu instid0(SALU_CYCLE_1)
	s_and_b32 vcc_lo, exec_lo, s5
	s_xor_b32 s5, s5, -1
	s_cbranch_vccnz .LBB130_2
; %bb.1:
	s_load_b32 s6, s[6:7], 0x0
.LBB130_2:
	s_and_not1_b32 vcc_lo, exec_lo, s5
	s_cbranch_vccnz .LBB130_4
; %bb.3:
	s_load_b32 s2, s[2:3], 0x0
.LBB130_4:
	s_wait_kmcnt 0x0
	s_cmp_neq_f32 s6, 0
	s_cselect_b32 s3, -1, 0
	s_cmp_neq_f32 s2, 1.0
	s_cselect_b32 s5, -1, 0
	s_delay_alu instid0(SALU_CYCLE_1) | instskip(NEXT) | instid1(SALU_CYCLE_1)
	s_or_b32 s3, s3, s5
	s_and_not1_b32 vcc_lo, exec_lo, s3
	s_cbranch_vccnz .LBB130_14
; %bb.5:
	s_bfe_u32 s3, ttmp6, 0x4000c
	s_load_b64 s[8:9], s[0:1], 0x10
	s_add_co_i32 s3, s3, 1
	s_and_b32 s5, ttmp6, 15
	s_mul_i32 s3, ttmp9, s3
	s_getreg_b32 s7, hwreg(HW_REG_IB_STS2, 6, 4)
	v_lshrrev_b32_e32 v1, 5, v0
	s_add_co_i32 s5, s5, s3
	s_cmp_eq_u32 s7, 0
	s_cselect_b32 s3, ttmp9, s5
	s_delay_alu instid0(VALU_DEP_1) | instid1(SALU_CYCLE_1)
	v_lshl_or_b32 v2, s3, 3, v1
	s_mov_b32 s3, exec_lo
	s_delay_alu instid0(VALU_DEP_1) | instskip(SKIP_1) | instid1(VALU_DEP_1)
	v_ashrrev_i32_e32 v3, 31, v2
	s_wait_kmcnt 0x0
	v_cmpx_gt_i64_e64 s[8:9], v[2:3]
	s_cbranch_execz .LBB130_14
; %bb.6:
	s_clause 0x1
	s_load_b128 s[8:11], s[0:1], 0x18
	s_load_b32 s3, s[0:1], 0x28
	v_dual_mov_b32 v1, 0 :: v_dual_bitop2_b32 v0, 31, v0 bitop3:0x40
	s_mov_b32 s5, 0
	s_delay_alu instid0(VALU_DEP_1) | instid1(SALU_CYCLE_1)
	v_sub_nc_u64_e64 v[10:11], v[0:1], s[4:5]
	s_wait_kmcnt 0x0
	s_load_b64 s[10:11], s[10:11], s3 offset:0x0 scale_offset
	s_wait_xcnt 0x0
	s_mov_b32 s3, exec_lo
	s_wait_kmcnt 0x0
	s_lshl_b64 s[10:11], s[10:11], 3
	s_delay_alu instid0(SALU_CYCLE_1) | instskip(NEXT) | instid1(SALU_CYCLE_1)
	s_add_nc_u64 s[8:9], s[8:9], s[10:11]
	v_lshl_add_u64 v[2:3], v[2:3], 3, s[8:9]
	s_load_b64 s[8:9], s[0:1], 0x38
	global_load_b64 v[2:3], v[2:3], off
	s_wait_loadcnt 0x0
	s_wait_kmcnt 0x0
	v_lshl_add_u64 v[4:5], v[2:3], 3, s[8:9]
	global_load_b128 v[6:9], v[4:5], off
	s_wait_loadcnt 0x0
	v_sub_nc_u64_e64 v[4:5], v[8:9], s[4:5]
	v_add_nc_u64_e32 v[6:7], v[6:7], v[10:11]
	s_delay_alu instid0(VALU_DEP_1)
	v_cmpx_lt_i64_e64 v[6:7], v[4:5]
	s_cbranch_execz .LBB130_10
; %bb.7:
	s_clause 0x1
	s_load_b128 s[12:15], s[0:1], 0x40
	s_load_b64 s[8:9], s[0:1], 0x50
	v_mov_b32_e32 v1, 0
	s_mov_b32 s7, s5
	s_wait_kmcnt 0x0
	v_lshl_add_u64 v[8:9], v[6:7], 1, s[14:15]
	v_lshl_add_u64 v[10:11], v[6:7], 3, s[12:13]
.LBB130_8:                              ; =>This Inner Loop Header: Depth=1
	global_load_b64 v[12:13], v[10:11], off
	global_load_u16 v14, v[8:9], off
	v_add_nc_u64_e32 v[6:7], 32, v[6:7]
	s_wait_xcnt 0x0
	v_add_nc_u64_e32 v[8:9], 64, v[8:9]
	v_add_nc_u64_e32 v[10:11], 0x100, v[10:11]
	s_delay_alu instid0(VALU_DEP_3) | instskip(SKIP_3) | instid1(VALU_DEP_1)
	v_cmp_ge_i64_e32 vcc_lo, v[6:7], v[4:5]
	s_or_b32 s7, vcc_lo, s7
	s_wait_loadcnt 0x1
	v_sub_nc_u64_e64 v[12:13], v[12:13], s[4:5]
	v_lshl_add_u64 v[12:13], v[12:13], 1, s[8:9]
	global_load_u16 v12, v[12:13], off
	s_wait_loadcnt 0x1
	s_wait_xcnt 0x0
	v_cvt_f32_f16_e32 v13, v14
	s_delay_alu instid0(VALU_DEP_1) | instskip(SKIP_1) | instid1(VALU_DEP_1)
	v_mul_f32_e32 v13, s6, v13
	s_wait_loadcnt 0x0
	v_fma_mix_f32 v1, v13, v12, v1 op_sel_hi:[0,1,0]
	s_and_not1_b32 exec_lo, exec_lo, s7
	s_cbranch_execnz .LBB130_8
; %bb.9:
	s_or_b32 exec_lo, exec_lo, s7
.LBB130_10:
	s_delay_alu instid0(SALU_CYCLE_1) | instskip(SKIP_2) | instid1(VALU_DEP_1)
	s_or_b32 exec_lo, exec_lo, s3
	v_mbcnt_lo_u32_b32 v4, -1, 0
	s_load_b64 s[0:1], s[0:1], 0x60
	v_xor_b32_e32 v6, 8, v4
	v_xor_b32_e32 v5, 16, v4
	s_delay_alu instid0(VALU_DEP_1) | instskip(SKIP_1) | instid1(VALU_DEP_4)
	v_cmp_gt_i32_e32 vcc_lo, 32, v5
	v_cndmask_b32_e32 v5, v4, v5, vcc_lo
	v_cmp_gt_i32_e32 vcc_lo, 32, v6
	v_cndmask_b32_e32 v6, v4, v6, vcc_lo
	s_delay_alu instid0(VALU_DEP_1)
	v_dual_lshlrev_b32 v6, 2, v6 :: v_dual_lshlrev_b32 v5, 2, v5
	ds_bpermute_b32 v5, v5, v1
	s_wait_dscnt 0x0
	v_add_f32_e32 v1, v1, v5
	ds_bpermute_b32 v5, v6, v1
	v_xor_b32_e32 v6, 4, v4
	s_delay_alu instid0(VALU_DEP_1) | instskip(SKIP_2) | instid1(VALU_DEP_1)
	v_cmp_gt_i32_e32 vcc_lo, 32, v6
	s_wait_dscnt 0x0
	v_dual_cndmask_b32 v6, v4, v6 :: v_dual_add_f32 v1, v1, v5
	v_lshlrev_b32_e32 v6, 2, v6
	ds_bpermute_b32 v5, v6, v1
	s_wait_dscnt 0x0
	v_dual_add_f32 v1, v1, v5 :: v_dual_bitop2_b32 v6, 2, v4 bitop3:0x14
	s_delay_alu instid0(VALU_DEP_1) | instskip(SKIP_1) | instid1(VALU_DEP_1)
	v_cmp_gt_i32_e32 vcc_lo, 32, v6
	v_cndmask_b32_e32 v6, v4, v6, vcc_lo
	v_lshlrev_b32_e32 v6, 2, v6
	ds_bpermute_b32 v5, v6, v1
	v_xor_b32_e32 v6, 1, v4
	s_delay_alu instid0(VALU_DEP_1) | instskip(SKIP_3) | instid1(VALU_DEP_2)
	v_cmp_gt_i32_e32 vcc_lo, 32, v6
	v_cndmask_b32_e32 v4, v4, v6, vcc_lo
	v_cmp_eq_u32_e32 vcc_lo, 31, v0
	s_wait_dscnt 0x0
	v_dual_add_f32 v1, v1, v5 :: v_dual_lshlrev_b32 v4, 2, v4
	ds_bpermute_b32 v4, v4, v1
	s_and_b32 exec_lo, exec_lo, vcc_lo
	s_cbranch_execz .LBB130_14
; %bb.11:
	s_wait_dscnt 0x0
	v_add_f32_e32 v4, v1, v4
	s_wait_kmcnt 0x0
	v_lshl_add_u64 v[0:1], v[2:3], 2, s[0:1]
	s_cmp_eq_f32 s2, 0
	s_cbranch_scc1 .LBB130_13
; %bb.12:
	global_load_b32 v2, v[0:1], off
	s_wait_loadcnt 0x0
	v_fmac_f32_e32 v4, s2, v2
.LBB130_13:
	global_store_b32 v[0:1], v4, off
.LBB130_14:
	s_endpgm
	.section	.rodata,"a",@progbits
	.p2align	6, 0x0
	.amdhsa_kernel _ZN9rocsparseL41csrmvn_lrb_medium_rows_warp_reduce_kernelILj256ELj32EllDF16_DF16_ffEEvbT1_lPT2_S3_jNS_24const_host_device_scalarIT6_EEPKS1_PKS2_PKT3_PKT4_S6_PT5_21rocsparse_index_base_b
		.amdhsa_group_segment_fixed_size 0
		.amdhsa_private_segment_fixed_size 0
		.amdhsa_kernarg_size 112
		.amdhsa_user_sgpr_count 2
		.amdhsa_user_sgpr_dispatch_ptr 0
		.amdhsa_user_sgpr_queue_ptr 0
		.amdhsa_user_sgpr_kernarg_segment_ptr 1
		.amdhsa_user_sgpr_dispatch_id 0
		.amdhsa_user_sgpr_kernarg_preload_length 0
		.amdhsa_user_sgpr_kernarg_preload_offset 0
		.amdhsa_user_sgpr_private_segment_size 0
		.amdhsa_wavefront_size32 1
		.amdhsa_uses_dynamic_stack 0
		.amdhsa_enable_private_segment 0
		.amdhsa_system_sgpr_workgroup_id_x 1
		.amdhsa_system_sgpr_workgroup_id_y 0
		.amdhsa_system_sgpr_workgroup_id_z 0
		.amdhsa_system_sgpr_workgroup_info 0
		.amdhsa_system_vgpr_workitem_id 0
		.amdhsa_next_free_vgpr 15
		.amdhsa_next_free_sgpr 16
		.amdhsa_named_barrier_count 0
		.amdhsa_reserve_vcc 1
		.amdhsa_float_round_mode_32 0
		.amdhsa_float_round_mode_16_64 0
		.amdhsa_float_denorm_mode_32 3
		.amdhsa_float_denorm_mode_16_64 3
		.amdhsa_fp16_overflow 0
		.amdhsa_memory_ordered 1
		.amdhsa_forward_progress 1
		.amdhsa_inst_pref_size 7
		.amdhsa_round_robin_scheduling 0
		.amdhsa_exception_fp_ieee_invalid_op 0
		.amdhsa_exception_fp_denorm_src 0
		.amdhsa_exception_fp_ieee_div_zero 0
		.amdhsa_exception_fp_ieee_overflow 0
		.amdhsa_exception_fp_ieee_underflow 0
		.amdhsa_exception_fp_ieee_inexact 0
		.amdhsa_exception_int_div_zero 0
	.end_amdhsa_kernel
	.section	.text._ZN9rocsparseL41csrmvn_lrb_medium_rows_warp_reduce_kernelILj256ELj32EllDF16_DF16_ffEEvbT1_lPT2_S3_jNS_24const_host_device_scalarIT6_EEPKS1_PKS2_PKT3_PKT4_S6_PT5_21rocsparse_index_base_b,"axG",@progbits,_ZN9rocsparseL41csrmvn_lrb_medium_rows_warp_reduce_kernelILj256ELj32EllDF16_DF16_ffEEvbT1_lPT2_S3_jNS_24const_host_device_scalarIT6_EEPKS1_PKS2_PKT3_PKT4_S6_PT5_21rocsparse_index_base_b,comdat
.Lfunc_end130:
	.size	_ZN9rocsparseL41csrmvn_lrb_medium_rows_warp_reduce_kernelILj256ELj32EllDF16_DF16_ffEEvbT1_lPT2_S3_jNS_24const_host_device_scalarIT6_EEPKS1_PKS2_PKT3_PKT4_S6_PT5_21rocsparse_index_base_b, .Lfunc_end130-_ZN9rocsparseL41csrmvn_lrb_medium_rows_warp_reduce_kernelILj256ELj32EllDF16_DF16_ffEEvbT1_lPT2_S3_jNS_24const_host_device_scalarIT6_EEPKS1_PKS2_PKT3_PKT4_S6_PT5_21rocsparse_index_base_b
                                        ; -- End function
	.set _ZN9rocsparseL41csrmvn_lrb_medium_rows_warp_reduce_kernelILj256ELj32EllDF16_DF16_ffEEvbT1_lPT2_S3_jNS_24const_host_device_scalarIT6_EEPKS1_PKS2_PKT3_PKT4_S6_PT5_21rocsparse_index_base_b.num_vgpr, 15
	.set _ZN9rocsparseL41csrmvn_lrb_medium_rows_warp_reduce_kernelILj256ELj32EllDF16_DF16_ffEEvbT1_lPT2_S3_jNS_24const_host_device_scalarIT6_EEPKS1_PKS2_PKT3_PKT4_S6_PT5_21rocsparse_index_base_b.num_agpr, 0
	.set _ZN9rocsparseL41csrmvn_lrb_medium_rows_warp_reduce_kernelILj256ELj32EllDF16_DF16_ffEEvbT1_lPT2_S3_jNS_24const_host_device_scalarIT6_EEPKS1_PKS2_PKT3_PKT4_S6_PT5_21rocsparse_index_base_b.numbered_sgpr, 16
	.set _ZN9rocsparseL41csrmvn_lrb_medium_rows_warp_reduce_kernelILj256ELj32EllDF16_DF16_ffEEvbT1_lPT2_S3_jNS_24const_host_device_scalarIT6_EEPKS1_PKS2_PKT3_PKT4_S6_PT5_21rocsparse_index_base_b.num_named_barrier, 0
	.set _ZN9rocsparseL41csrmvn_lrb_medium_rows_warp_reduce_kernelILj256ELj32EllDF16_DF16_ffEEvbT1_lPT2_S3_jNS_24const_host_device_scalarIT6_EEPKS1_PKS2_PKT3_PKT4_S6_PT5_21rocsparse_index_base_b.private_seg_size, 0
	.set _ZN9rocsparseL41csrmvn_lrb_medium_rows_warp_reduce_kernelILj256ELj32EllDF16_DF16_ffEEvbT1_lPT2_S3_jNS_24const_host_device_scalarIT6_EEPKS1_PKS2_PKT3_PKT4_S6_PT5_21rocsparse_index_base_b.uses_vcc, 1
	.set _ZN9rocsparseL41csrmvn_lrb_medium_rows_warp_reduce_kernelILj256ELj32EllDF16_DF16_ffEEvbT1_lPT2_S3_jNS_24const_host_device_scalarIT6_EEPKS1_PKS2_PKT3_PKT4_S6_PT5_21rocsparse_index_base_b.uses_flat_scratch, 0
	.set _ZN9rocsparseL41csrmvn_lrb_medium_rows_warp_reduce_kernelILj256ELj32EllDF16_DF16_ffEEvbT1_lPT2_S3_jNS_24const_host_device_scalarIT6_EEPKS1_PKS2_PKT3_PKT4_S6_PT5_21rocsparse_index_base_b.has_dyn_sized_stack, 0
	.set _ZN9rocsparseL41csrmvn_lrb_medium_rows_warp_reduce_kernelILj256ELj32EllDF16_DF16_ffEEvbT1_lPT2_S3_jNS_24const_host_device_scalarIT6_EEPKS1_PKS2_PKT3_PKT4_S6_PT5_21rocsparse_index_base_b.has_recursion, 0
	.set _ZN9rocsparseL41csrmvn_lrb_medium_rows_warp_reduce_kernelILj256ELj32EllDF16_DF16_ffEEvbT1_lPT2_S3_jNS_24const_host_device_scalarIT6_EEPKS1_PKS2_PKT3_PKT4_S6_PT5_21rocsparse_index_base_b.has_indirect_call, 0
	.section	.AMDGPU.csdata,"",@progbits
; Kernel info:
; codeLenInByte = 836
; TotalNumSgprs: 18
; NumVgprs: 15
; ScratchSize: 0
; MemoryBound: 0
; FloatMode: 240
; IeeeMode: 1
; LDSByteSize: 0 bytes/workgroup (compile time only)
; SGPRBlocks: 0
; VGPRBlocks: 0
; NumSGPRsForWavesPerEU: 18
; NumVGPRsForWavesPerEU: 15
; NamedBarCnt: 0
; Occupancy: 16
; WaveLimiterHint : 1
; COMPUTE_PGM_RSRC2:SCRATCH_EN: 0
; COMPUTE_PGM_RSRC2:USER_SGPR: 2
; COMPUTE_PGM_RSRC2:TRAP_HANDLER: 0
; COMPUTE_PGM_RSRC2:TGID_X_EN: 1
; COMPUTE_PGM_RSRC2:TGID_Y_EN: 0
; COMPUTE_PGM_RSRC2:TGID_Z_EN: 0
; COMPUTE_PGM_RSRC2:TIDIG_COMP_CNT: 0
	.section	.text._ZN9rocsparseL41csrmvn_lrb_medium_rows_warp_reduce_kernelILj256ELj64EllDF16_DF16_ffEEvbT1_lPT2_S3_jNS_24const_host_device_scalarIT6_EEPKS1_PKS2_PKT3_PKT4_S6_PT5_21rocsparse_index_base_b,"axG",@progbits,_ZN9rocsparseL41csrmvn_lrb_medium_rows_warp_reduce_kernelILj256ELj64EllDF16_DF16_ffEEvbT1_lPT2_S3_jNS_24const_host_device_scalarIT6_EEPKS1_PKS2_PKT3_PKT4_S6_PT5_21rocsparse_index_base_b,comdat
	.globl	_ZN9rocsparseL41csrmvn_lrb_medium_rows_warp_reduce_kernelILj256ELj64EllDF16_DF16_ffEEvbT1_lPT2_S3_jNS_24const_host_device_scalarIT6_EEPKS1_PKS2_PKT3_PKT4_S6_PT5_21rocsparse_index_base_b ; -- Begin function _ZN9rocsparseL41csrmvn_lrb_medium_rows_warp_reduce_kernelILj256ELj64EllDF16_DF16_ffEEvbT1_lPT2_S3_jNS_24const_host_device_scalarIT6_EEPKS1_PKS2_PKT3_PKT4_S6_PT5_21rocsparse_index_base_b
	.p2align	8
	.type	_ZN9rocsparseL41csrmvn_lrb_medium_rows_warp_reduce_kernelILj256ELj64EllDF16_DF16_ffEEvbT1_lPT2_S3_jNS_24const_host_device_scalarIT6_EEPKS1_PKS2_PKT3_PKT4_S6_PT5_21rocsparse_index_base_b,@function
_ZN9rocsparseL41csrmvn_lrb_medium_rows_warp_reduce_kernelILj256ELj64EllDF16_DF16_ffEEvbT1_lPT2_S3_jNS_24const_host_device_scalarIT6_EEPKS1_PKS2_PKT3_PKT4_S6_PT5_21rocsparse_index_base_b: ; @_ZN9rocsparseL41csrmvn_lrb_medium_rows_warp_reduce_kernelILj256ELj64EllDF16_DF16_ffEEvbT1_lPT2_S3_jNS_24const_host_device_scalarIT6_EEPKS1_PKS2_PKT3_PKT4_S6_PT5_21rocsparse_index_base_b
; %bb.0:
	s_clause 0x2
	s_load_b64 s[4:5], s[0:1], 0x68
	s_load_b64 s[6:7], s[0:1], 0x30
	;; [unrolled: 1-line block ×3, first 2 shown]
	s_wait_kmcnt 0x0
	s_bitcmp1_b32 s5, 0
	s_cselect_b32 s5, -1, 0
	s_delay_alu instid0(SALU_CYCLE_1)
	s_and_b32 vcc_lo, exec_lo, s5
	s_xor_b32 s5, s5, -1
	s_cbranch_vccnz .LBB131_2
; %bb.1:
	s_load_b32 s6, s[6:7], 0x0
.LBB131_2:
	s_and_not1_b32 vcc_lo, exec_lo, s5
	s_cbranch_vccnz .LBB131_4
; %bb.3:
	s_load_b32 s2, s[2:3], 0x0
.LBB131_4:
	s_wait_kmcnt 0x0
	s_cmp_neq_f32 s6, 0
	s_cselect_b32 s3, -1, 0
	s_cmp_neq_f32 s2, 1.0
	s_cselect_b32 s5, -1, 0
	s_delay_alu instid0(SALU_CYCLE_1) | instskip(NEXT) | instid1(SALU_CYCLE_1)
	s_or_b32 s3, s3, s5
	s_and_not1_b32 vcc_lo, exec_lo, s3
	s_cbranch_vccnz .LBB131_14
; %bb.5:
	s_bfe_u32 s3, ttmp6, 0x4000c
	s_load_b64 s[8:9], s[0:1], 0x10
	s_add_co_i32 s3, s3, 1
	s_and_b32 s5, ttmp6, 15
	s_mul_i32 s3, ttmp9, s3
	s_getreg_b32 s7, hwreg(HW_REG_IB_STS2, 6, 4)
	v_lshrrev_b32_e32 v1, 6, v0
	s_add_co_i32 s5, s5, s3
	s_cmp_eq_u32 s7, 0
	s_cselect_b32 s3, ttmp9, s5
	s_delay_alu instid0(VALU_DEP_1) | instid1(SALU_CYCLE_1)
	v_lshl_or_b32 v2, s3, 2, v1
	s_mov_b32 s3, exec_lo
	s_delay_alu instid0(VALU_DEP_1) | instskip(SKIP_1) | instid1(VALU_DEP_1)
	v_ashrrev_i32_e32 v3, 31, v2
	s_wait_kmcnt 0x0
	v_cmpx_gt_i64_e64 s[8:9], v[2:3]
	s_cbranch_execz .LBB131_14
; %bb.6:
	s_clause 0x1
	s_load_b128 s[8:11], s[0:1], 0x18
	s_load_b32 s3, s[0:1], 0x28
	v_dual_mov_b32 v1, 0 :: v_dual_bitop2_b32 v0, 63, v0 bitop3:0x40
	s_mov_b32 s5, 0
	s_delay_alu instid0(VALU_DEP_1) | instid1(SALU_CYCLE_1)
	v_sub_nc_u64_e64 v[10:11], v[0:1], s[4:5]
	s_wait_kmcnt 0x0
	s_load_b64 s[10:11], s[10:11], s3 offset:0x0 scale_offset
	s_wait_xcnt 0x0
	s_mov_b32 s3, exec_lo
	s_wait_kmcnt 0x0
	s_lshl_b64 s[10:11], s[10:11], 3
	s_delay_alu instid0(SALU_CYCLE_1) | instskip(NEXT) | instid1(SALU_CYCLE_1)
	s_add_nc_u64 s[8:9], s[8:9], s[10:11]
	v_lshl_add_u64 v[2:3], v[2:3], 3, s[8:9]
	s_load_b64 s[8:9], s[0:1], 0x38
	global_load_b64 v[2:3], v[2:3], off
	s_wait_loadcnt 0x0
	s_wait_kmcnt 0x0
	v_lshl_add_u64 v[4:5], v[2:3], 3, s[8:9]
	global_load_b128 v[6:9], v[4:5], off
	s_wait_loadcnt 0x0
	v_sub_nc_u64_e64 v[4:5], v[8:9], s[4:5]
	v_add_nc_u64_e32 v[6:7], v[6:7], v[10:11]
	s_delay_alu instid0(VALU_DEP_1)
	v_cmpx_lt_i64_e64 v[6:7], v[4:5]
	s_cbranch_execz .LBB131_10
; %bb.7:
	s_clause 0x1
	s_load_b128 s[12:15], s[0:1], 0x40
	s_load_b64 s[8:9], s[0:1], 0x50
	v_mov_b32_e32 v1, 0
	s_mov_b32 s7, s5
	s_wait_kmcnt 0x0
	v_lshl_add_u64 v[8:9], v[6:7], 1, s[14:15]
	v_lshl_add_u64 v[10:11], v[6:7], 3, s[12:13]
.LBB131_8:                              ; =>This Inner Loop Header: Depth=1
	global_load_b64 v[12:13], v[10:11], off
	global_load_u16 v14, v[8:9], off
	v_add_nc_u64_e32 v[6:7], 64, v[6:7]
	s_wait_xcnt 0x0
	v_add_nc_u64_e32 v[8:9], 0x80, v[8:9]
	v_add_nc_u64_e32 v[10:11], 0x200, v[10:11]
	s_delay_alu instid0(VALU_DEP_3) | instskip(SKIP_3) | instid1(VALU_DEP_1)
	v_cmp_ge_i64_e32 vcc_lo, v[6:7], v[4:5]
	s_or_b32 s7, vcc_lo, s7
	s_wait_loadcnt 0x1
	v_sub_nc_u64_e64 v[12:13], v[12:13], s[4:5]
	v_lshl_add_u64 v[12:13], v[12:13], 1, s[8:9]
	global_load_u16 v12, v[12:13], off
	s_wait_loadcnt 0x1
	s_wait_xcnt 0x0
	v_cvt_f32_f16_e32 v13, v14
	s_delay_alu instid0(VALU_DEP_1) | instskip(SKIP_1) | instid1(VALU_DEP_1)
	v_mul_f32_e32 v13, s6, v13
	s_wait_loadcnt 0x0
	v_fma_mix_f32 v1, v13, v12, v1 op_sel_hi:[0,1,0]
	s_and_not1_b32 exec_lo, exec_lo, s7
	s_cbranch_execnz .LBB131_8
; %bb.9:
	s_or_b32 exec_lo, exec_lo, s7
.LBB131_10:
	s_delay_alu instid0(SALU_CYCLE_1) | instskip(SKIP_2) | instid1(VALU_DEP_1)
	s_or_b32 exec_lo, exec_lo, s3
	v_mbcnt_lo_u32_b32 v4, -1, 0
	s_load_b64 s[0:1], s[0:1], 0x60
	v_xor_b32_e32 v6, 16, v4
	v_or_b32_e32 v5, 32, v4
	s_delay_alu instid0(VALU_DEP_1) | instskip(SKIP_1) | instid1(VALU_DEP_4)
	v_cmp_gt_i32_e32 vcc_lo, 32, v5
	v_cndmask_b32_e32 v5, v4, v5, vcc_lo
	v_cmp_gt_i32_e32 vcc_lo, 32, v6
	v_cndmask_b32_e32 v6, v4, v6, vcc_lo
	s_delay_alu instid0(VALU_DEP_1)
	v_dual_lshlrev_b32 v6, 2, v6 :: v_dual_lshlrev_b32 v5, 2, v5
	ds_bpermute_b32 v5, v5, v1
	s_wait_dscnt 0x0
	v_add_f32_e32 v1, v1, v5
	ds_bpermute_b32 v5, v6, v1
	v_xor_b32_e32 v6, 8, v4
	s_delay_alu instid0(VALU_DEP_1) | instskip(SKIP_2) | instid1(VALU_DEP_1)
	v_cmp_gt_i32_e32 vcc_lo, 32, v6
	s_wait_dscnt 0x0
	v_dual_cndmask_b32 v6, v4, v6 :: v_dual_add_f32 v1, v1, v5
	v_lshlrev_b32_e32 v6, 2, v6
	ds_bpermute_b32 v5, v6, v1
	s_wait_dscnt 0x0
	v_dual_add_f32 v1, v1, v5 :: v_dual_bitop2_b32 v6, 4, v4 bitop3:0x14
	s_delay_alu instid0(VALU_DEP_1) | instskip(SKIP_1) | instid1(VALU_DEP_1)
	v_cmp_gt_i32_e32 vcc_lo, 32, v6
	v_cndmask_b32_e32 v6, v4, v6, vcc_lo
	v_lshlrev_b32_e32 v6, 2, v6
	ds_bpermute_b32 v5, v6, v1
	v_xor_b32_e32 v6, 2, v4
	s_delay_alu instid0(VALU_DEP_1) | instskip(SKIP_2) | instid1(VALU_DEP_1)
	v_cmp_gt_i32_e32 vcc_lo, 32, v6
	v_cndmask_b32_e32 v6, v4, v6, vcc_lo
	s_wait_dscnt 0x0
	v_dual_add_f32 v1, v1, v5 :: v_dual_lshlrev_b32 v6, 2, v6
	ds_bpermute_b32 v5, v6, v1
	v_xor_b32_e32 v6, 1, v4
	s_delay_alu instid0(VALU_DEP_1) | instskip(SKIP_3) | instid1(VALU_DEP_2)
	v_cmp_gt_i32_e32 vcc_lo, 32, v6
	v_cndmask_b32_e32 v4, v4, v6, vcc_lo
	v_cmp_eq_u32_e32 vcc_lo, 63, v0
	s_wait_dscnt 0x0
	v_dual_add_f32 v1, v1, v5 :: v_dual_lshlrev_b32 v4, 2, v4
	ds_bpermute_b32 v4, v4, v1
	s_and_b32 exec_lo, exec_lo, vcc_lo
	s_cbranch_execz .LBB131_14
; %bb.11:
	s_wait_dscnt 0x0
	v_add_f32_e32 v4, v1, v4
	s_wait_kmcnt 0x0
	v_lshl_add_u64 v[0:1], v[2:3], 2, s[0:1]
	s_cmp_eq_f32 s2, 0
	s_cbranch_scc1 .LBB131_13
; %bb.12:
	global_load_b32 v2, v[0:1], off
	s_wait_loadcnt 0x0
	v_fmac_f32_e32 v4, s2, v2
.LBB131_13:
	global_store_b32 v[0:1], v4, off
.LBB131_14:
	s_endpgm
	.section	.rodata,"a",@progbits
	.p2align	6, 0x0
	.amdhsa_kernel _ZN9rocsparseL41csrmvn_lrb_medium_rows_warp_reduce_kernelILj256ELj64EllDF16_DF16_ffEEvbT1_lPT2_S3_jNS_24const_host_device_scalarIT6_EEPKS1_PKS2_PKT3_PKT4_S6_PT5_21rocsparse_index_base_b
		.amdhsa_group_segment_fixed_size 0
		.amdhsa_private_segment_fixed_size 0
		.amdhsa_kernarg_size 112
		.amdhsa_user_sgpr_count 2
		.amdhsa_user_sgpr_dispatch_ptr 0
		.amdhsa_user_sgpr_queue_ptr 0
		.amdhsa_user_sgpr_kernarg_segment_ptr 1
		.amdhsa_user_sgpr_dispatch_id 0
		.amdhsa_user_sgpr_kernarg_preload_length 0
		.amdhsa_user_sgpr_kernarg_preload_offset 0
		.amdhsa_user_sgpr_private_segment_size 0
		.amdhsa_wavefront_size32 1
		.amdhsa_uses_dynamic_stack 0
		.amdhsa_enable_private_segment 0
		.amdhsa_system_sgpr_workgroup_id_x 1
		.amdhsa_system_sgpr_workgroup_id_y 0
		.amdhsa_system_sgpr_workgroup_id_z 0
		.amdhsa_system_sgpr_workgroup_info 0
		.amdhsa_system_vgpr_workitem_id 0
		.amdhsa_next_free_vgpr 15
		.amdhsa_next_free_sgpr 16
		.amdhsa_named_barrier_count 0
		.amdhsa_reserve_vcc 1
		.amdhsa_float_round_mode_32 0
		.amdhsa_float_round_mode_16_64 0
		.amdhsa_float_denorm_mode_32 3
		.amdhsa_float_denorm_mode_16_64 3
		.amdhsa_fp16_overflow 0
		.amdhsa_memory_ordered 1
		.amdhsa_forward_progress 1
		.amdhsa_inst_pref_size 7
		.amdhsa_round_robin_scheduling 0
		.amdhsa_exception_fp_ieee_invalid_op 0
		.amdhsa_exception_fp_denorm_src 0
		.amdhsa_exception_fp_ieee_div_zero 0
		.amdhsa_exception_fp_ieee_overflow 0
		.amdhsa_exception_fp_ieee_underflow 0
		.amdhsa_exception_fp_ieee_inexact 0
		.amdhsa_exception_int_div_zero 0
	.end_amdhsa_kernel
	.section	.text._ZN9rocsparseL41csrmvn_lrb_medium_rows_warp_reduce_kernelILj256ELj64EllDF16_DF16_ffEEvbT1_lPT2_S3_jNS_24const_host_device_scalarIT6_EEPKS1_PKS2_PKT3_PKT4_S6_PT5_21rocsparse_index_base_b,"axG",@progbits,_ZN9rocsparseL41csrmvn_lrb_medium_rows_warp_reduce_kernelILj256ELj64EllDF16_DF16_ffEEvbT1_lPT2_S3_jNS_24const_host_device_scalarIT6_EEPKS1_PKS2_PKT3_PKT4_S6_PT5_21rocsparse_index_base_b,comdat
.Lfunc_end131:
	.size	_ZN9rocsparseL41csrmvn_lrb_medium_rows_warp_reduce_kernelILj256ELj64EllDF16_DF16_ffEEvbT1_lPT2_S3_jNS_24const_host_device_scalarIT6_EEPKS1_PKS2_PKT3_PKT4_S6_PT5_21rocsparse_index_base_b, .Lfunc_end131-_ZN9rocsparseL41csrmvn_lrb_medium_rows_warp_reduce_kernelILj256ELj64EllDF16_DF16_ffEEvbT1_lPT2_S3_jNS_24const_host_device_scalarIT6_EEPKS1_PKS2_PKT3_PKT4_S6_PT5_21rocsparse_index_base_b
                                        ; -- End function
	.set _ZN9rocsparseL41csrmvn_lrb_medium_rows_warp_reduce_kernelILj256ELj64EllDF16_DF16_ffEEvbT1_lPT2_S3_jNS_24const_host_device_scalarIT6_EEPKS1_PKS2_PKT3_PKT4_S6_PT5_21rocsparse_index_base_b.num_vgpr, 15
	.set _ZN9rocsparseL41csrmvn_lrb_medium_rows_warp_reduce_kernelILj256ELj64EllDF16_DF16_ffEEvbT1_lPT2_S3_jNS_24const_host_device_scalarIT6_EEPKS1_PKS2_PKT3_PKT4_S6_PT5_21rocsparse_index_base_b.num_agpr, 0
	.set _ZN9rocsparseL41csrmvn_lrb_medium_rows_warp_reduce_kernelILj256ELj64EllDF16_DF16_ffEEvbT1_lPT2_S3_jNS_24const_host_device_scalarIT6_EEPKS1_PKS2_PKT3_PKT4_S6_PT5_21rocsparse_index_base_b.numbered_sgpr, 16
	.set _ZN9rocsparseL41csrmvn_lrb_medium_rows_warp_reduce_kernelILj256ELj64EllDF16_DF16_ffEEvbT1_lPT2_S3_jNS_24const_host_device_scalarIT6_EEPKS1_PKS2_PKT3_PKT4_S6_PT5_21rocsparse_index_base_b.num_named_barrier, 0
	.set _ZN9rocsparseL41csrmvn_lrb_medium_rows_warp_reduce_kernelILj256ELj64EllDF16_DF16_ffEEvbT1_lPT2_S3_jNS_24const_host_device_scalarIT6_EEPKS1_PKS2_PKT3_PKT4_S6_PT5_21rocsparse_index_base_b.private_seg_size, 0
	.set _ZN9rocsparseL41csrmvn_lrb_medium_rows_warp_reduce_kernelILj256ELj64EllDF16_DF16_ffEEvbT1_lPT2_S3_jNS_24const_host_device_scalarIT6_EEPKS1_PKS2_PKT3_PKT4_S6_PT5_21rocsparse_index_base_b.uses_vcc, 1
	.set _ZN9rocsparseL41csrmvn_lrb_medium_rows_warp_reduce_kernelILj256ELj64EllDF16_DF16_ffEEvbT1_lPT2_S3_jNS_24const_host_device_scalarIT6_EEPKS1_PKS2_PKT3_PKT4_S6_PT5_21rocsparse_index_base_b.uses_flat_scratch, 0
	.set _ZN9rocsparseL41csrmvn_lrb_medium_rows_warp_reduce_kernelILj256ELj64EllDF16_DF16_ffEEvbT1_lPT2_S3_jNS_24const_host_device_scalarIT6_EEPKS1_PKS2_PKT3_PKT4_S6_PT5_21rocsparse_index_base_b.has_dyn_sized_stack, 0
	.set _ZN9rocsparseL41csrmvn_lrb_medium_rows_warp_reduce_kernelILj256ELj64EllDF16_DF16_ffEEvbT1_lPT2_S3_jNS_24const_host_device_scalarIT6_EEPKS1_PKS2_PKT3_PKT4_S6_PT5_21rocsparse_index_base_b.has_recursion, 0
	.set _ZN9rocsparseL41csrmvn_lrb_medium_rows_warp_reduce_kernelILj256ELj64EllDF16_DF16_ffEEvbT1_lPT2_S3_jNS_24const_host_device_scalarIT6_EEPKS1_PKS2_PKT3_PKT4_S6_PT5_21rocsparse_index_base_b.has_indirect_call, 0
	.section	.AMDGPU.csdata,"",@progbits
; Kernel info:
; codeLenInByte = 876
; TotalNumSgprs: 18
; NumVgprs: 15
; ScratchSize: 0
; MemoryBound: 0
; FloatMode: 240
; IeeeMode: 1
; LDSByteSize: 0 bytes/workgroup (compile time only)
; SGPRBlocks: 0
; VGPRBlocks: 0
; NumSGPRsForWavesPerEU: 18
; NumVGPRsForWavesPerEU: 15
; NamedBarCnt: 0
; Occupancy: 16
; WaveLimiterHint : 1
; COMPUTE_PGM_RSRC2:SCRATCH_EN: 0
; COMPUTE_PGM_RSRC2:USER_SGPR: 2
; COMPUTE_PGM_RSRC2:TRAP_HANDLER: 0
; COMPUTE_PGM_RSRC2:TGID_X_EN: 1
; COMPUTE_PGM_RSRC2:TGID_Y_EN: 0
; COMPUTE_PGM_RSRC2:TGID_Z_EN: 0
; COMPUTE_PGM_RSRC2:TIDIG_COMP_CNT: 0
	.section	.text._ZN9rocsparseL29csrmvn_lrb_medium_rows_kernelILj256EllDF16_DF16_ffEEvbT0_PT1_S3_jNS_24const_host_device_scalarIT5_EEPKS1_PKS2_PKT2_PKT3_S6_PT4_21rocsparse_index_base_b,"axG",@progbits,_ZN9rocsparseL29csrmvn_lrb_medium_rows_kernelILj256EllDF16_DF16_ffEEvbT0_PT1_S3_jNS_24const_host_device_scalarIT5_EEPKS1_PKS2_PKT2_PKT3_S6_PT4_21rocsparse_index_base_b,comdat
	.globl	_ZN9rocsparseL29csrmvn_lrb_medium_rows_kernelILj256EllDF16_DF16_ffEEvbT0_PT1_S3_jNS_24const_host_device_scalarIT5_EEPKS1_PKS2_PKT2_PKT3_S6_PT4_21rocsparse_index_base_b ; -- Begin function _ZN9rocsparseL29csrmvn_lrb_medium_rows_kernelILj256EllDF16_DF16_ffEEvbT0_PT1_S3_jNS_24const_host_device_scalarIT5_EEPKS1_PKS2_PKT2_PKT3_S6_PT4_21rocsparse_index_base_b
	.p2align	8
	.type	_ZN9rocsparseL29csrmvn_lrb_medium_rows_kernelILj256EllDF16_DF16_ffEEvbT0_PT1_S3_jNS_24const_host_device_scalarIT5_EEPKS1_PKS2_PKT2_PKT3_S6_PT4_21rocsparse_index_base_b,@function
_ZN9rocsparseL29csrmvn_lrb_medium_rows_kernelILj256EllDF16_DF16_ffEEvbT0_PT1_S3_jNS_24const_host_device_scalarIT5_EEPKS1_PKS2_PKT2_PKT3_S6_PT4_21rocsparse_index_base_b: ; @_ZN9rocsparseL29csrmvn_lrb_medium_rows_kernelILj256EllDF16_DF16_ffEEvbT0_PT1_S3_jNS_24const_host_device_scalarIT5_EEPKS1_PKS2_PKT2_PKT3_S6_PT4_21rocsparse_index_base_b
; %bb.0:
	s_clause 0x2
	s_load_b64 s[6:7], s[0:1], 0x60
	s_load_b64 s[8:9], s[0:1], 0x28
	;; [unrolled: 1-line block ×3, first 2 shown]
	s_wait_kmcnt 0x0
	s_bitcmp1_b32 s7, 0
	s_cselect_b32 s4, -1, 0
	s_delay_alu instid0(SALU_CYCLE_1)
	s_and_b32 vcc_lo, exec_lo, s4
	s_xor_b32 s4, s4, -1
	s_cbranch_vccnz .LBB132_2
; %bb.1:
	s_load_b32 s8, s[8:9], 0x0
.LBB132_2:
	s_and_not1_b32 vcc_lo, exec_lo, s4
	s_cbranch_vccnz .LBB132_4
; %bb.3:
	s_load_b32 s2, s[2:3], 0x0
.LBB132_4:
	s_wait_kmcnt 0x0
	s_cmp_neq_f32 s8, 0
	s_mov_b32 s7, 0
	s_cselect_b32 s3, -1, 0
	s_cmp_neq_f32 s2, 1.0
	s_cselect_b32 s4, -1, 0
	s_delay_alu instid0(SALU_CYCLE_1) | instskip(NEXT) | instid1(SALU_CYCLE_1)
	s_or_b32 s3, s3, s4
	s_and_not1_b32 vcc_lo, exec_lo, s3
	s_cbranch_vccnz .LBB132_29
; %bb.5:
	s_clause 0x1
	s_load_b128 s[12:15], s[0:1], 0x10
	s_load_b32 s3, s[0:1], 0x20
	s_and_b32 s9, ttmp6, 15
	s_getreg_b32 s10, hwreg(HW_REG_IB_STS2, 6, 4)
	v_mov_b32_e32 v1, 0
	s_delay_alu instid0(VALU_DEP_1) | instskip(SKIP_4) | instid1(SALU_CYCLE_1)
	v_sub_nc_u64_e64 v[2:3], v[0:1], s[6:7]
	s_wait_kmcnt 0x0
	s_load_b64 s[4:5], s[14:15], s3 offset:0x0 scale_offset
	s_wait_xcnt 0x0
	s_bfe_u32 s3, ttmp6, 0x4000c
	s_add_co_i32 s3, s3, 1
	s_delay_alu instid0(SALU_CYCLE_1) | instskip(NEXT) | instid1(SALU_CYCLE_1)
	s_mul_i32 s3, ttmp9, s3
	s_add_co_i32 s9, s9, s3
	s_cmp_eq_u32 s10, 0
	s_mov_b32 s3, exec_lo
	s_cselect_b32 s10, ttmp9, s9
	s_delay_alu instid0(SALU_CYCLE_1) | instskip(NEXT) | instid1(SALU_CYCLE_1)
	s_ashr_i32 s11, s10, 31
	s_lshl_b64 s[10:11], s[10:11], 3
	s_wait_kmcnt 0x0
	s_lshl_b64 s[4:5], s[4:5], 3
	s_delay_alu instid0(SALU_CYCLE_1) | instskip(NEXT) | instid1(SALU_CYCLE_1)
	s_add_nc_u64 s[4:5], s[12:13], s[4:5]
	s_add_nc_u64 s[10:11], s[4:5], s[10:11]
	s_load_b64 s[4:5], s[10:11], 0x0
	s_load_b64 s[12:13], s[0:1], 0x30
	s_wait_kmcnt 0x0
	s_lshl_b64 s[10:11], s[4:5], 3
	s_delay_alu instid0(SALU_CYCLE_1)
	s_add_nc_u64 s[10:11], s[12:13], s[10:11]
	s_load_b128 s[12:15], s[10:11], 0x0
	s_wait_kmcnt 0x0
	v_add_nc_u64_e32 v[2:3], s[12:13], v[2:3]
	s_sub_nc_u64 s[10:11], s[14:15], s[6:7]
	s_delay_alu instid0(VALU_DEP_1) | instid1(SALU_CYCLE_1)
	v_cmpx_gt_i64_e64 s[10:11], v[2:3]
	s_cbranch_execz .LBB132_9
; %bb.6:
	s_clause 0x1
	s_load_b128 s[16:19], s[0:1], 0x38
	s_load_b64 s[12:13], s[0:1], 0x48
	v_mov_b32_e32 v1, 0
	s_mov_b32 s9, 0
	s_wait_kmcnt 0x0
	v_lshl_add_u64 v[4:5], v[2:3], 1, s[18:19]
	v_lshl_add_u64 v[6:7], v[2:3], 3, s[16:17]
.LBB132_7:                              ; =>This Inner Loop Header: Depth=1
	global_load_b64 v[8:9], v[6:7], off
	global_load_u16 v10, v[4:5], off
	v_add_nc_u64_e32 v[2:3], 0x100, v[2:3]
	s_wait_xcnt 0x0
	v_add_nc_u64_e32 v[4:5], 0x200, v[4:5]
	v_add_nc_u64_e32 v[6:7], 0x800, v[6:7]
	s_delay_alu instid0(VALU_DEP_3) | instskip(SKIP_3) | instid1(VALU_DEP_1)
	v_cmp_le_i64_e32 vcc_lo, s[10:11], v[2:3]
	s_or_b32 s9, vcc_lo, s9
	s_wait_loadcnt 0x1
	v_sub_nc_u64_e64 v[8:9], v[8:9], s[6:7]
	v_lshl_add_u64 v[8:9], v[8:9], 1, s[12:13]
	global_load_u16 v8, v[8:9], off
	s_wait_loadcnt 0x1
	s_wait_xcnt 0x0
	v_cvt_f32_f16_e32 v9, v10
	s_delay_alu instid0(VALU_DEP_1) | instskip(SKIP_1) | instid1(VALU_DEP_1)
	v_mul_f32_e32 v9, s8, v9
	s_wait_loadcnt 0x0
	v_fma_mix_f32 v1, v9, v8, v1 op_sel_hi:[0,1,0]
	s_and_not1_b32 exec_lo, exec_lo, s9
	s_cbranch_execnz .LBB132_7
; %bb.8:
	s_or_b32 exec_lo, exec_lo, s9
.LBB132_9:
	s_delay_alu instid0(SALU_CYCLE_1)
	s_or_b32 exec_lo, exec_lo, s3
	s_load_b64 s[0:1], s[0:1], 0x58
	v_lshlrev_b32_e32 v2, 2, v0
	s_mov_b32 s3, exec_lo
	ds_store_b32 v2, v1
	s_wait_dscnt 0x0
	s_barrier_signal -1
	s_barrier_wait -1
	v_cmpx_gt_u32_e32 0x80, v0
	s_cbranch_execz .LBB132_11
; %bb.10:
	ds_load_2addr_stride64_b32 v[4:5], v2 offset1:2
	s_wait_dscnt 0x0
	v_add_f32_e32 v1, v4, v5
	ds_store_b32 v2, v1
.LBB132_11:
	s_or_b32 exec_lo, exec_lo, s3
	s_delay_alu instid0(SALU_CYCLE_1)
	s_mov_b32 s3, exec_lo
	s_wait_dscnt 0x0
	s_barrier_signal -1
	s_barrier_wait -1
	v_cmpx_gt_u32_e32 64, v0
	s_cbranch_execz .LBB132_13
; %bb.12:
	ds_load_2addr_stride64_b32 v[4:5], v2 offset1:1
	s_wait_dscnt 0x0
	v_add_f32_e32 v1, v4, v5
	ds_store_b32 v2, v1
.LBB132_13:
	s_or_b32 exec_lo, exec_lo, s3
	s_delay_alu instid0(SALU_CYCLE_1)
	s_mov_b32 s3, exec_lo
	s_wait_dscnt 0x0
	s_barrier_signal -1
	s_barrier_wait -1
	v_cmpx_gt_u32_e32 32, v0
	s_cbranch_execz .LBB132_15
; %bb.14:
	ds_load_2addr_b32 v[4:5], v2 offset1:32
	s_wait_dscnt 0x0
	v_add_f32_e32 v1, v4, v5
	ds_store_b32 v2, v1
.LBB132_15:
	s_or_b32 exec_lo, exec_lo, s3
	s_delay_alu instid0(SALU_CYCLE_1)
	s_mov_b32 s3, exec_lo
	s_wait_dscnt 0x0
	s_barrier_signal -1
	s_barrier_wait -1
	v_cmpx_gt_u32_e32 16, v0
	s_cbranch_execz .LBB132_17
; %bb.16:
	ds_load_2addr_b32 v[4:5], v2 offset1:16
	s_wait_dscnt 0x0
	v_add_f32_e32 v1, v4, v5
	ds_store_b32 v2, v1
.LBB132_17:
	;; [unrolled: 14-line block ×5, first 2 shown]
	s_or_b32 exec_lo, exec_lo, s3
	v_cmp_eq_u32_e32 vcc_lo, 0, v0
	s_wait_dscnt 0x0
	s_barrier_signal -1
	s_barrier_wait -1
	s_and_saveexec_b32 s3, vcc_lo
	s_cbranch_execz .LBB132_25
; %bb.24:
	v_mov_b32_e32 v2, 0
	ds_load_b64 v[0:1], v2
	s_wait_dscnt 0x0
	v_add_f32_e32 v0, v0, v1
	ds_store_b32 v2, v0
.LBB132_25:
	s_or_b32 exec_lo, exec_lo, s3
	s_wait_dscnt 0x0
	s_barrier_signal -1
	s_barrier_wait -1
	s_and_saveexec_b32 s3, vcc_lo
	s_cbranch_execz .LBB132_29
; %bb.26:
	v_mov_b32_e32 v0, 0
	s_cmp_eq_f32 s2, 0
	ds_load_b32 v1, v0
	s_cbranch_scc1 .LBB132_28
; %bb.27:
	s_lshl_b64 s[6:7], s[4:5], 2
	s_wait_kmcnt 0x0
	s_add_nc_u64 s[6:7], s[0:1], s[6:7]
	s_load_b32 s3, s[6:7], 0x0
	s_wait_dscnt 0x0
	s_wait_kmcnt 0x0
	v_fmac_f32_e64 v1, s2, s3
.LBB132_28:
	s_lshl_b64 s[2:3], s[4:5], 2
	s_wait_kmcnt 0x0
	s_add_nc_u64 s[0:1], s[0:1], s[2:3]
	s_wait_dscnt 0x0
	global_store_b32 v0, v1, s[0:1]
.LBB132_29:
	s_endpgm
	.section	.rodata,"a",@progbits
	.p2align	6, 0x0
	.amdhsa_kernel _ZN9rocsparseL29csrmvn_lrb_medium_rows_kernelILj256EllDF16_DF16_ffEEvbT0_PT1_S3_jNS_24const_host_device_scalarIT5_EEPKS1_PKS2_PKT2_PKT3_S6_PT4_21rocsparse_index_base_b
		.amdhsa_group_segment_fixed_size 1024
		.amdhsa_private_segment_fixed_size 0
		.amdhsa_kernarg_size 104
		.amdhsa_user_sgpr_count 2
		.amdhsa_user_sgpr_dispatch_ptr 0
		.amdhsa_user_sgpr_queue_ptr 0
		.amdhsa_user_sgpr_kernarg_segment_ptr 1
		.amdhsa_user_sgpr_dispatch_id 0
		.amdhsa_user_sgpr_kernarg_preload_length 0
		.amdhsa_user_sgpr_kernarg_preload_offset 0
		.amdhsa_user_sgpr_private_segment_size 0
		.amdhsa_wavefront_size32 1
		.amdhsa_uses_dynamic_stack 0
		.amdhsa_enable_private_segment 0
		.amdhsa_system_sgpr_workgroup_id_x 1
		.amdhsa_system_sgpr_workgroup_id_y 0
		.amdhsa_system_sgpr_workgroup_id_z 0
		.amdhsa_system_sgpr_workgroup_info 0
		.amdhsa_system_vgpr_workitem_id 0
		.amdhsa_next_free_vgpr 11
		.amdhsa_next_free_sgpr 20
		.amdhsa_named_barrier_count 0
		.amdhsa_reserve_vcc 1
		.amdhsa_float_round_mode_32 0
		.amdhsa_float_round_mode_16_64 0
		.amdhsa_float_denorm_mode_32 3
		.amdhsa_float_denorm_mode_16_64 3
		.amdhsa_fp16_overflow 0
		.amdhsa_memory_ordered 1
		.amdhsa_forward_progress 1
		.amdhsa_inst_pref_size 9
		.amdhsa_round_robin_scheduling 0
		.amdhsa_exception_fp_ieee_invalid_op 0
		.amdhsa_exception_fp_denorm_src 0
		.amdhsa_exception_fp_ieee_div_zero 0
		.amdhsa_exception_fp_ieee_overflow 0
		.amdhsa_exception_fp_ieee_underflow 0
		.amdhsa_exception_fp_ieee_inexact 0
		.amdhsa_exception_int_div_zero 0
	.end_amdhsa_kernel
	.section	.text._ZN9rocsparseL29csrmvn_lrb_medium_rows_kernelILj256EllDF16_DF16_ffEEvbT0_PT1_S3_jNS_24const_host_device_scalarIT5_EEPKS1_PKS2_PKT2_PKT3_S6_PT4_21rocsparse_index_base_b,"axG",@progbits,_ZN9rocsparseL29csrmvn_lrb_medium_rows_kernelILj256EllDF16_DF16_ffEEvbT0_PT1_S3_jNS_24const_host_device_scalarIT5_EEPKS1_PKS2_PKT2_PKT3_S6_PT4_21rocsparse_index_base_b,comdat
.Lfunc_end132:
	.size	_ZN9rocsparseL29csrmvn_lrb_medium_rows_kernelILj256EllDF16_DF16_ffEEvbT0_PT1_S3_jNS_24const_host_device_scalarIT5_EEPKS1_PKS2_PKT2_PKT3_S6_PT4_21rocsparse_index_base_b, .Lfunc_end132-_ZN9rocsparseL29csrmvn_lrb_medium_rows_kernelILj256EllDF16_DF16_ffEEvbT0_PT1_S3_jNS_24const_host_device_scalarIT5_EEPKS1_PKS2_PKT2_PKT3_S6_PT4_21rocsparse_index_base_b
                                        ; -- End function
	.set _ZN9rocsparseL29csrmvn_lrb_medium_rows_kernelILj256EllDF16_DF16_ffEEvbT0_PT1_S3_jNS_24const_host_device_scalarIT5_EEPKS1_PKS2_PKT2_PKT3_S6_PT4_21rocsparse_index_base_b.num_vgpr, 11
	.set _ZN9rocsparseL29csrmvn_lrb_medium_rows_kernelILj256EllDF16_DF16_ffEEvbT0_PT1_S3_jNS_24const_host_device_scalarIT5_EEPKS1_PKS2_PKT2_PKT3_S6_PT4_21rocsparse_index_base_b.num_agpr, 0
	.set _ZN9rocsparseL29csrmvn_lrb_medium_rows_kernelILj256EllDF16_DF16_ffEEvbT0_PT1_S3_jNS_24const_host_device_scalarIT5_EEPKS1_PKS2_PKT2_PKT3_S6_PT4_21rocsparse_index_base_b.numbered_sgpr, 20
	.set _ZN9rocsparseL29csrmvn_lrb_medium_rows_kernelILj256EllDF16_DF16_ffEEvbT0_PT1_S3_jNS_24const_host_device_scalarIT5_EEPKS1_PKS2_PKT2_PKT3_S6_PT4_21rocsparse_index_base_b.num_named_barrier, 0
	.set _ZN9rocsparseL29csrmvn_lrb_medium_rows_kernelILj256EllDF16_DF16_ffEEvbT0_PT1_S3_jNS_24const_host_device_scalarIT5_EEPKS1_PKS2_PKT2_PKT3_S6_PT4_21rocsparse_index_base_b.private_seg_size, 0
	.set _ZN9rocsparseL29csrmvn_lrb_medium_rows_kernelILj256EllDF16_DF16_ffEEvbT0_PT1_S3_jNS_24const_host_device_scalarIT5_EEPKS1_PKS2_PKT2_PKT3_S6_PT4_21rocsparse_index_base_b.uses_vcc, 1
	.set _ZN9rocsparseL29csrmvn_lrb_medium_rows_kernelILj256EllDF16_DF16_ffEEvbT0_PT1_S3_jNS_24const_host_device_scalarIT5_EEPKS1_PKS2_PKT2_PKT3_S6_PT4_21rocsparse_index_base_b.uses_flat_scratch, 0
	.set _ZN9rocsparseL29csrmvn_lrb_medium_rows_kernelILj256EllDF16_DF16_ffEEvbT0_PT1_S3_jNS_24const_host_device_scalarIT5_EEPKS1_PKS2_PKT2_PKT3_S6_PT4_21rocsparse_index_base_b.has_dyn_sized_stack, 0
	.set _ZN9rocsparseL29csrmvn_lrb_medium_rows_kernelILj256EllDF16_DF16_ffEEvbT0_PT1_S3_jNS_24const_host_device_scalarIT5_EEPKS1_PKS2_PKT2_PKT3_S6_PT4_21rocsparse_index_base_b.has_recursion, 0
	.set _ZN9rocsparseL29csrmvn_lrb_medium_rows_kernelILj256EllDF16_DF16_ffEEvbT0_PT1_S3_jNS_24const_host_device_scalarIT5_EEPKS1_PKS2_PKT2_PKT3_S6_PT4_21rocsparse_index_base_b.has_indirect_call, 0
	.section	.AMDGPU.csdata,"",@progbits
; Kernel info:
; codeLenInByte = 1088
; TotalNumSgprs: 22
; NumVgprs: 11
; ScratchSize: 0
; MemoryBound: 0
; FloatMode: 240
; IeeeMode: 1
; LDSByteSize: 1024 bytes/workgroup (compile time only)
; SGPRBlocks: 0
; VGPRBlocks: 0
; NumSGPRsForWavesPerEU: 22
; NumVGPRsForWavesPerEU: 11
; NamedBarCnt: 0
; Occupancy: 16
; WaveLimiterHint : 1
; COMPUTE_PGM_RSRC2:SCRATCH_EN: 0
; COMPUTE_PGM_RSRC2:USER_SGPR: 2
; COMPUTE_PGM_RSRC2:TRAP_HANDLER: 0
; COMPUTE_PGM_RSRC2:TGID_X_EN: 1
; COMPUTE_PGM_RSRC2:TGID_Y_EN: 0
; COMPUTE_PGM_RSRC2:TGID_Z_EN: 0
; COMPUTE_PGM_RSRC2:TIDIG_COMP_CNT: 0
	.section	.text._ZN9rocsparseL27csrmvn_lrb_long_rows_kernelIllDF16_DF16_ffEEvbT_PjPT0_S4_jNS_24const_host_device_scalarIT4_EEPKS1_PKS3_PKT1_PKT2_S7_PT3_21rocsparse_index_base_b,"axG",@progbits,_ZN9rocsparseL27csrmvn_lrb_long_rows_kernelIllDF16_DF16_ffEEvbT_PjPT0_S4_jNS_24const_host_device_scalarIT4_EEPKS1_PKS3_PKT1_PKT2_S7_PT3_21rocsparse_index_base_b,comdat
	.globl	_ZN9rocsparseL27csrmvn_lrb_long_rows_kernelIllDF16_DF16_ffEEvbT_PjPT0_S4_jNS_24const_host_device_scalarIT4_EEPKS1_PKS3_PKT1_PKT2_S7_PT3_21rocsparse_index_base_b ; -- Begin function _ZN9rocsparseL27csrmvn_lrb_long_rows_kernelIllDF16_DF16_ffEEvbT_PjPT0_S4_jNS_24const_host_device_scalarIT4_EEPKS1_PKS3_PKT1_PKT2_S7_PT3_21rocsparse_index_base_b
	.p2align	8
	.type	_ZN9rocsparseL27csrmvn_lrb_long_rows_kernelIllDF16_DF16_ffEEvbT_PjPT0_S4_jNS_24const_host_device_scalarIT4_EEPKS1_PKS3_PKT1_PKT2_S7_PT3_21rocsparse_index_base_b,@function
_ZN9rocsparseL27csrmvn_lrb_long_rows_kernelIllDF16_DF16_ffEEvbT_PjPT0_S4_jNS_24const_host_device_scalarIT4_EEPKS1_PKS3_PKT1_PKT2_S7_PT3_21rocsparse_index_base_b: ; @_ZN9rocsparseL27csrmvn_lrb_long_rows_kernelIllDF16_DF16_ffEEvbT_PjPT0_S4_jNS_24const_host_device_scalarIT4_EEPKS1_PKS3_PKT1_PKT2_S7_PT3_21rocsparse_index_base_b
; %bb.0:
	s_clause 0x2
	s_load_b64 s[18:19], s[0:1], 0x68
	s_load_b64 s[20:21], s[0:1], 0x30
	;; [unrolled: 1-line block ×3, first 2 shown]
	s_wait_kmcnt 0x0
	s_bitcmp1_b32 s19, 0
	s_cselect_b32 s2, -1, 0
	s_delay_alu instid0(SALU_CYCLE_1)
	s_and_b32 vcc_lo, exec_lo, s2
	s_xor_b32 s2, s2, -1
	s_cbranch_vccnz .LBB133_2
; %bb.1:
	s_load_b32 s20, s[20:21], 0x0
.LBB133_2:
	s_and_not1_b32 vcc_lo, exec_lo, s2
	s_cbranch_vccnz .LBB133_4
; %bb.3:
	s_load_b32 s22, s[22:23], 0x0
.LBB133_4:
	s_wait_kmcnt 0x0
	s_cmp_neq_f32 s20, 0
	s_cselect_b32 s2, -1, 0
	s_cmp_neq_f32 s22, 1.0
	s_cselect_b32 s3, -1, 0
	s_delay_alu instid0(SALU_CYCLE_1)
	s_or_b32 s2, s2, s3
	s_mov_b32 s3, 0
	s_and_not1_b32 vcc_lo, exec_lo, s2
	s_cbranch_vccnz .LBB133_38
; %bb.5:
	s_clause 0x1
	s_load_b96 s[8:10], s[0:1], 0x20
	s_load_b128 s[4:7], s[0:1], 0x10
	s_bfe_u32 s13, ttmp6, 0x4000c
	s_and_b32 s12, ttmp6, 15
	s_add_co_i32 s13, s13, 1
	s_getreg_b32 s14, hwreg(HW_REG_IB_STS2, 6, 4)
	s_mul_i32 s13, ttmp9, s13
	v_mov_b32_e32 v10, 0
	s_add_co_i32 s12, s12, s13
	s_wait_kmcnt 0x0
	s_lshl_b32 s2, -1, s10
	s_load_b64 s[8:9], s[8:9], s10 offset:0x0 scale_offset
	s_not_b32 s2, s2
	s_delay_alu instid0(SALU_CYCLE_1) | instskip(NEXT) | instid1(SALU_CYCLE_1)
	s_mul_hi_u32 s2, s2, 0x2aaaaaab
	s_lshr_b32 s2, s2, 7
	s_delay_alu instid0(SALU_CYCLE_1) | instskip(SKIP_2) | instid1(SALU_CYCLE_3)
	s_add_co_i32 s19, s2, 1
	s_not_b32 s2, s2
	s_cvt_f32_u32 s11, s19
	v_rcp_iflag_f32_e32 v1, s11
	v_nop
	s_delay_alu instid0(TRANS32_DEP_1) | instskip(SKIP_1) | instid1(SALU_CYCLE_3)
	v_readfirstlane_b32 s11, v1
	s_mul_f32 s11, s11, 0x4f7ffffe
	s_cvt_u32_f32 s11, s11
	s_delay_alu instid0(SALU_CYCLE_3) | instskip(NEXT) | instid1(SALU_CYCLE_1)
	s_mul_i32 s2, s2, s11
	s_mul_hi_u32 s2, s11, s2
	s_delay_alu instid0(SALU_CYCLE_1) | instskip(SKIP_2) | instid1(SALU_CYCLE_1)
	s_add_co_i32 s11, s11, s2
	s_cmp_eq_u32 s14, 0
	s_cselect_b32 s16, ttmp9, s12
	s_mul_hi_u32 s2, s16, s11
	s_wait_xcnt 0x0
	s_mul_i32 s10, s2, s19
	s_add_co_i32 s11, s2, 1
	s_sub_co_i32 s10, s16, s10
	s_delay_alu instid0(SALU_CYCLE_1)
	s_sub_co_i32 s12, s10, s19
	s_cmp_ge_u32 s10, s19
	s_cselect_b32 s2, s11, s2
	s_cselect_b32 s10, s12, s10
	s_add_co_i32 s11, s2, 1
	s_cmp_ge_u32 s10, s19
	s_cselect_b32 s2, s11, s2
	s_wait_kmcnt 0x0
	s_lshl_b64 s[8:9], s[8:9], 3
	s_ashr_i32 s17, s16, 31
	s_add_nc_u64 s[8:9], s[6:7], s[8:9]
	s_load_b64 s[6:7], s[8:9], s2 offset:0x0 scale_offset
	s_clause 0x1
	s_load_b64 s[10:11], s[0:1], 0x38
	s_load_b64 s[12:13], s[0:1], 0x60
	s_lshl_b64 s[14:15], s[16:17], 2
	s_wait_xcnt 0x0
	s_mul_i32 s2, s2, s19
	s_add_nc_u64 s[14:15], s[4:5], s[14:15]
	s_sub_co_i32 s2, s16, s2
	s_delay_alu instid0(SALU_CYCLE_1) | instskip(SKIP_1) | instid1(VALU_DEP_1)
	v_or_b32_e32 v1, s2, v0
	s_sub_nc_u64 s[16:17], s[16:17], s[2:3]
	v_cmp_eq_u32_e32 vcc_lo, 0, v1
	v_mov_b32_e32 v1, 0
	s_wait_kmcnt 0x0
	s_lshl_b64 s[8:9], s[6:7], 3
	s_delay_alu instid0(SALU_CYCLE_1)
	s_add_nc_u64 s[24:25], s[10:11], s[8:9]
	s_load_b128 s[8:11], s[24:25], 0x0
	s_load_b32 s21, s[14:15], 0x0
	s_and_saveexec_b32 s19, vcc_lo
	s_cbranch_execz .LBB133_9
; %bb.6:
	s_wait_xcnt 0x0
	s_lshl_b64 s[24:25], s[6:7], 2
	s_add_f32 s22, s22, -1.0
	s_add_nc_u64 s[24:25], s[12:13], s[24:25]
	s_mov_b32 s23, exec_lo
	s_load_b32 s24, s[24:25], 0x0
	v_mbcnt_lo_u32_b32 v2, s23, 0
	global_wb scope:SCOPE_DEV
	s_wait_storecnt 0x0
	global_inv scope:SCOPE_DEV
	s_wait_kmcnt 0x0
	s_mul_f32 s22, s22, s24
	s_mov_b32 s24, exec_lo
	v_cmpx_eq_u32_e32 0, v2
	s_cbranch_execz .LBB133_8
; %bb.7:
	s_bcnt1_i32_b32 s23, s23
	s_lshl_b64 s[26:27], s[16:17], 2
	s_and_b32 s23, s23, 1
	s_delay_alu instid0(SALU_CYCLE_1)
	v_dual_mov_b32 v2, 0 :: v_dual_mov_b32 v3, s23
	s_add_nc_u64 s[26:27], s[4:5], s[26:27]
	global_atomic_xor_b32 v2, v3, s[26:27] scope:SCOPE_DEV
.LBB133_8:
	s_wait_xcnt 0x0
	s_or_b32 exec_lo, exec_lo, s24
	v_mov_b32_e32 v10, s22
.LBB133_9:
	s_or_b32 exec_lo, exec_lo, s19
	s_mov_b32 s19, 0
	s_mul_u64 s[22:23], s[2:3], 0x300
	s_wait_kmcnt 0x0
	s_sub_nc_u64 s[8:9], s[8:9], s[18:19]
	s_sub_nc_u64 s[10:11], s[10:11], s[18:19]
	s_add_nc_u64 s[8:9], s[8:9], s[22:23]
	s_mov_b32 s3, exec_lo
	s_add_nc_u64 s[22:23], s[8:9], 0x300
	v_add_nc_u64_e32 v[4:5], s[8:9], v[0:1]
	v_min_i64 v[2:3], s[22:23], s[10:11]
	s_delay_alu instid0(VALU_DEP_1)
	v_cmpx_lt_i64_e64 v[4:5], v[2:3]
	s_cbranch_execz .LBB133_13
; %bb.10:
	s_clause 0x1
	s_load_b128 s[24:27], s[0:1], 0x40
	s_load_b64 s[8:9], s[0:1], 0x50
	s_wait_xcnt 0x0
	s_mov_b32 s0, s19
	s_wait_kmcnt 0x0
	v_lshl_add_u64 v[6:7], v[4:5], 1, s[26:27]
	v_lshl_add_u64 v[8:9], v[4:5], 3, s[24:25]
.LBB133_11:                             ; =>This Inner Loop Header: Depth=1
	global_load_b64 v[12:13], v[8:9], off
	global_load_u16 v1, v[6:7], off
	v_add_nc_u64_e32 v[4:5], 0x100, v[4:5]
	s_wait_xcnt 0x0
	v_add_nc_u64_e32 v[6:7], 0x200, v[6:7]
	v_add_nc_u64_e32 v[8:9], 0x800, v[8:9]
	s_delay_alu instid0(VALU_DEP_3)
	v_cmp_ge_i64_e32 vcc_lo, v[4:5], v[2:3]
	s_or_b32 s0, vcc_lo, s0
	s_wait_loadcnt 0x1
	v_sub_nc_u64_e64 v[12:13], v[12:13], s[18:19]
	s_wait_loadcnt 0x0
	v_cvt_f32_f16_e32 v1, v1
	s_delay_alu instid0(VALU_DEP_1) | instskip(NEXT) | instid1(VALU_DEP_3)
	v_mul_f32_e32 v1, s20, v1
	v_lshl_add_u64 v[12:13], v[12:13], 1, s[8:9]
	global_load_u16 v11, v[12:13], off
	s_wait_loadcnt 0x0
	v_fma_mix_f32 v10, v1, v11, v10 op_sel_hi:[0,1,0]
	s_wait_xcnt 0x0
	s_and_not1_b32 exec_lo, exec_lo, s0
	s_cbranch_execnz .LBB133_11
; %bb.12:
	s_or_b32 exec_lo, exec_lo, s0
.LBB133_13:
	s_delay_alu instid0(SALU_CYCLE_1)
	s_or_b32 exec_lo, exec_lo, s3
	v_lshlrev_b32_e32 v1, 2, v0
	s_mov_b32 s0, exec_lo
	ds_store_b32 v1, v10
	s_wait_storecnt 0x0
	s_wait_loadcnt_dscnt 0x0
	s_barrier_signal -1
	s_barrier_wait -1
	v_cmpx_gt_u32_e32 0x80, v0
	s_cbranch_execz .LBB133_15
; %bb.14:
	ds_load_2addr_stride64_b32 v[2:3], v1 offset1:2
	s_wait_dscnt 0x0
	v_add_f32_e32 v2, v2, v3
	ds_store_b32 v1, v2
.LBB133_15:
	s_or_b32 exec_lo, exec_lo, s0
	s_delay_alu instid0(SALU_CYCLE_1)
	s_mov_b32 s0, exec_lo
	s_wait_dscnt 0x0
	s_barrier_signal -1
	s_barrier_wait -1
	v_cmpx_gt_u32_e32 64, v0
	s_cbranch_execz .LBB133_17
; %bb.16:
	ds_load_2addr_stride64_b32 v[2:3], v1 offset1:1
	s_wait_dscnt 0x0
	v_add_f32_e32 v2, v2, v3
	ds_store_b32 v1, v2
.LBB133_17:
	s_or_b32 exec_lo, exec_lo, s0
	s_delay_alu instid0(SALU_CYCLE_1)
	s_mov_b32 s0, exec_lo
	s_wait_dscnt 0x0
	s_barrier_signal -1
	s_barrier_wait -1
	v_cmpx_gt_u32_e32 32, v0
	s_cbranch_execz .LBB133_19
; %bb.18:
	ds_load_2addr_b32 v[2:3], v1 offset1:32
	s_wait_dscnt 0x0
	v_add_f32_e32 v2, v2, v3
	ds_store_b32 v1, v2
.LBB133_19:
	s_or_b32 exec_lo, exec_lo, s0
	s_delay_alu instid0(SALU_CYCLE_1)
	s_mov_b32 s0, exec_lo
	s_wait_dscnt 0x0
	s_barrier_signal -1
	s_barrier_wait -1
	v_cmpx_gt_u32_e32 16, v0
	s_cbranch_execz .LBB133_21
; %bb.20:
	ds_load_2addr_b32 v[2:3], v1 offset1:16
	s_wait_dscnt 0x0
	v_add_f32_e32 v2, v2, v3
	ds_store_b32 v1, v2
.LBB133_21:
	;; [unrolled: 14-line block ×5, first 2 shown]
	s_or_b32 exec_lo, exec_lo, s0
	v_cmp_eq_u32_e32 vcc_lo, 0, v0
	s_wait_dscnt 0x0
	s_barrier_signal -1
	s_barrier_wait -1
	s_and_saveexec_b32 s0, vcc_lo
	s_cbranch_execz .LBB133_29
; %bb.28:
	v_mov_b32_e32 v2, 0
	ds_load_b64 v[0:1], v2
	s_wait_dscnt 0x0
	v_add_f32_e32 v0, v0, v1
	ds_store_b32 v2, v0
.LBB133_29:
	s_or_b32 exec_lo, exec_lo, s0
	s_wait_dscnt 0x0
	s_barrier_signal -1
	s_barrier_wait -1
	s_and_saveexec_b32 s0, vcc_lo
	s_cbranch_execz .LBB133_38
; %bb.30:
	s_cmp_eq_u32 s2, 0
	s_cbranch_scc1 .LBB133_36
; %bb.31:
	v_mov_b32_e32 v0, 0
	s_lshl_b64 s[0:1], s[16:17], 2
	s_delay_alu instid0(SALU_CYCLE_1)
	s_add_nc_u64 s[0:1], s[4:5], s[0:1]
	s_branch .LBB133_33
.LBB133_32:                             ;   in Loop: Header=BB133_33 Depth=1
	s_wait_xcnt 0x0
	s_or_b32 exec_lo, exec_lo, s2
	s_wait_loadcnt 0x0
	v_readfirstlane_b32 s2, v1
	s_cmp_eq_u32 s2, s21
	s_cbranch_scc0 .LBB133_35
.LBB133_33:                             ; =>This Inner Loop Header: Depth=1
	v_mbcnt_lo_u32_b32 v1, exec_lo, 0
	s_delay_alu instid0(VALU_DEP_1)
	v_cmp_eq_u32_e32 vcc_lo, 0, v1
                                        ; implicit-def: $vgpr1
	s_and_saveexec_b32 s2, vcc_lo
	s_cbranch_execz .LBB133_32
; %bb.34:                               ;   in Loop: Header=BB133_33 Depth=1
	global_load_b32 v1, v0, s[0:1] scope:SCOPE_DEV
	s_branch .LBB133_32
.LBB133_35:
	v_mov_b32_e32 v0, 0
	global_load_u16 v1, v0, s[14:15]
	s_wait_loadcnt 0x0
	v_xor_b32_e32 v1, 1, v1
	global_store_b16 v0, v1, s[14:15]
.LBB133_36:
	s_mov_b32 s0, exec_lo
	s_wait_xcnt 0x0
	v_mbcnt_lo_u32_b32 v0, s0, 0
	s_delay_alu instid0(VALU_DEP_1) | instskip(SKIP_1) | instid1(SALU_CYCLE_1)
	v_cmp_eq_u32_e32 vcc_lo, 0, v0
	s_and_b32 s1, exec_lo, vcc_lo
	s_mov_b32 exec_lo, s1
	s_cbranch_execz .LBB133_38
; %bb.37:
	s_bcnt1_i32_b32 s0, s0
	s_delay_alu instid0(SALU_CYCLE_1) | instskip(SKIP_2) | instid1(SALU_CYCLE_1)
	v_cvt_f32_ubyte0_e32 v2, s0
	v_mov_b32_e32 v0, 0
	s_lshl_b64 s[0:1], s[6:7], 2
	s_add_nc_u64 s[0:1], s[12:13], s[0:1]
	ds_load_b32 v1, v0
	s_wait_dscnt 0x0
	v_mul_f32_e32 v1, v1, v2
	global_atomic_add_f32 v0, v1, s[0:1] scope:SCOPE_DEV
.LBB133_38:
	s_endpgm
	.section	.rodata,"a",@progbits
	.p2align	6, 0x0
	.amdhsa_kernel _ZN9rocsparseL27csrmvn_lrb_long_rows_kernelIllDF16_DF16_ffEEvbT_PjPT0_S4_jNS_24const_host_device_scalarIT4_EEPKS1_PKS3_PKT1_PKT2_S7_PT3_21rocsparse_index_base_b
		.amdhsa_group_segment_fixed_size 1024
		.amdhsa_private_segment_fixed_size 0
		.amdhsa_kernarg_size 112
		.amdhsa_user_sgpr_count 2
		.amdhsa_user_sgpr_dispatch_ptr 0
		.amdhsa_user_sgpr_queue_ptr 0
		.amdhsa_user_sgpr_kernarg_segment_ptr 1
		.amdhsa_user_sgpr_dispatch_id 0
		.amdhsa_user_sgpr_kernarg_preload_length 0
		.amdhsa_user_sgpr_kernarg_preload_offset 0
		.amdhsa_user_sgpr_private_segment_size 0
		.amdhsa_wavefront_size32 1
		.amdhsa_uses_dynamic_stack 0
		.amdhsa_enable_private_segment 0
		.amdhsa_system_sgpr_workgroup_id_x 1
		.amdhsa_system_sgpr_workgroup_id_y 0
		.amdhsa_system_sgpr_workgroup_id_z 0
		.amdhsa_system_sgpr_workgroup_info 0
		.amdhsa_system_vgpr_workitem_id 0
		.amdhsa_next_free_vgpr 14
		.amdhsa_next_free_sgpr 28
		.amdhsa_named_barrier_count 0
		.amdhsa_reserve_vcc 1
		.amdhsa_float_round_mode_32 0
		.amdhsa_float_round_mode_16_64 0
		.amdhsa_float_denorm_mode_32 3
		.amdhsa_float_denorm_mode_16_64 3
		.amdhsa_fp16_overflow 0
		.amdhsa_memory_ordered 1
		.amdhsa_forward_progress 1
		.amdhsa_inst_pref_size 13
		.amdhsa_round_robin_scheduling 0
		.amdhsa_exception_fp_ieee_invalid_op 0
		.amdhsa_exception_fp_denorm_src 0
		.amdhsa_exception_fp_ieee_div_zero 0
		.amdhsa_exception_fp_ieee_overflow 0
		.amdhsa_exception_fp_ieee_underflow 0
		.amdhsa_exception_fp_ieee_inexact 0
		.amdhsa_exception_int_div_zero 0
	.end_amdhsa_kernel
	.section	.text._ZN9rocsparseL27csrmvn_lrb_long_rows_kernelIllDF16_DF16_ffEEvbT_PjPT0_S4_jNS_24const_host_device_scalarIT4_EEPKS1_PKS3_PKT1_PKT2_S7_PT3_21rocsparse_index_base_b,"axG",@progbits,_ZN9rocsparseL27csrmvn_lrb_long_rows_kernelIllDF16_DF16_ffEEvbT_PjPT0_S4_jNS_24const_host_device_scalarIT4_EEPKS1_PKS3_PKT1_PKT2_S7_PT3_21rocsparse_index_base_b,comdat
.Lfunc_end133:
	.size	_ZN9rocsparseL27csrmvn_lrb_long_rows_kernelIllDF16_DF16_ffEEvbT_PjPT0_S4_jNS_24const_host_device_scalarIT4_EEPKS1_PKS3_PKT1_PKT2_S7_PT3_21rocsparse_index_base_b, .Lfunc_end133-_ZN9rocsparseL27csrmvn_lrb_long_rows_kernelIllDF16_DF16_ffEEvbT_PjPT0_S4_jNS_24const_host_device_scalarIT4_EEPKS1_PKS3_PKT1_PKT2_S7_PT3_21rocsparse_index_base_b
                                        ; -- End function
	.set _ZN9rocsparseL27csrmvn_lrb_long_rows_kernelIllDF16_DF16_ffEEvbT_PjPT0_S4_jNS_24const_host_device_scalarIT4_EEPKS1_PKS3_PKT1_PKT2_S7_PT3_21rocsparse_index_base_b.num_vgpr, 14
	.set _ZN9rocsparseL27csrmvn_lrb_long_rows_kernelIllDF16_DF16_ffEEvbT_PjPT0_S4_jNS_24const_host_device_scalarIT4_EEPKS1_PKS3_PKT1_PKT2_S7_PT3_21rocsparse_index_base_b.num_agpr, 0
	.set _ZN9rocsparseL27csrmvn_lrb_long_rows_kernelIllDF16_DF16_ffEEvbT_PjPT0_S4_jNS_24const_host_device_scalarIT4_EEPKS1_PKS3_PKT1_PKT2_S7_PT3_21rocsparse_index_base_b.numbered_sgpr, 28
	.set _ZN9rocsparseL27csrmvn_lrb_long_rows_kernelIllDF16_DF16_ffEEvbT_PjPT0_S4_jNS_24const_host_device_scalarIT4_EEPKS1_PKS3_PKT1_PKT2_S7_PT3_21rocsparse_index_base_b.num_named_barrier, 0
	.set _ZN9rocsparseL27csrmvn_lrb_long_rows_kernelIllDF16_DF16_ffEEvbT_PjPT0_S4_jNS_24const_host_device_scalarIT4_EEPKS1_PKS3_PKT1_PKT2_S7_PT3_21rocsparse_index_base_b.private_seg_size, 0
	.set _ZN9rocsparseL27csrmvn_lrb_long_rows_kernelIllDF16_DF16_ffEEvbT_PjPT0_S4_jNS_24const_host_device_scalarIT4_EEPKS1_PKS3_PKT1_PKT2_S7_PT3_21rocsparse_index_base_b.uses_vcc, 1
	.set _ZN9rocsparseL27csrmvn_lrb_long_rows_kernelIllDF16_DF16_ffEEvbT_PjPT0_S4_jNS_24const_host_device_scalarIT4_EEPKS1_PKS3_PKT1_PKT2_S7_PT3_21rocsparse_index_base_b.uses_flat_scratch, 0
	.set _ZN9rocsparseL27csrmvn_lrb_long_rows_kernelIllDF16_DF16_ffEEvbT_PjPT0_S4_jNS_24const_host_device_scalarIT4_EEPKS1_PKS3_PKT1_PKT2_S7_PT3_21rocsparse_index_base_b.has_dyn_sized_stack, 0
	.set _ZN9rocsparseL27csrmvn_lrb_long_rows_kernelIllDF16_DF16_ffEEvbT_PjPT0_S4_jNS_24const_host_device_scalarIT4_EEPKS1_PKS3_PKT1_PKT2_S7_PT3_21rocsparse_index_base_b.has_recursion, 0
	.set _ZN9rocsparseL27csrmvn_lrb_long_rows_kernelIllDF16_DF16_ffEEvbT_PjPT0_S4_jNS_24const_host_device_scalarIT4_EEPKS1_PKS3_PKT1_PKT2_S7_PT3_21rocsparse_index_base_b.has_indirect_call, 0
	.section	.AMDGPU.csdata,"",@progbits
; Kernel info:
; codeLenInByte = 1564
; TotalNumSgprs: 30
; NumVgprs: 14
; ScratchSize: 0
; MemoryBound: 0
; FloatMode: 240
; IeeeMode: 1
; LDSByteSize: 1024 bytes/workgroup (compile time only)
; SGPRBlocks: 0
; VGPRBlocks: 0
; NumSGPRsForWavesPerEU: 30
; NumVGPRsForWavesPerEU: 14
; NamedBarCnt: 0
; Occupancy: 16
; WaveLimiterHint : 1
; COMPUTE_PGM_RSRC2:SCRATCH_EN: 0
; COMPUTE_PGM_RSRC2:USER_SGPR: 2
; COMPUTE_PGM_RSRC2:TRAP_HANDLER: 0
; COMPUTE_PGM_RSRC2:TGID_X_EN: 1
; COMPUTE_PGM_RSRC2:TGID_Y_EN: 0
; COMPUTE_PGM_RSRC2:TGID_Z_EN: 0
; COMPUTE_PGM_RSRC2:TIDIG_COMP_CNT: 0
	.section	.text._ZN9rocsparseL28csrmvn_lrb_short_rows_kernelIii18rocsparse_bfloat16S1_ffEEvbT_PT0_S4_jNS_24const_host_device_scalarIT4_EEPKS2_PKS3_PKT1_PKT2_S7_PT3_21rocsparse_index_base_b,"axG",@progbits,_ZN9rocsparseL28csrmvn_lrb_short_rows_kernelIii18rocsparse_bfloat16S1_ffEEvbT_PT0_S4_jNS_24const_host_device_scalarIT4_EEPKS2_PKS3_PKT1_PKT2_S7_PT3_21rocsparse_index_base_b,comdat
	.globl	_ZN9rocsparseL28csrmvn_lrb_short_rows_kernelIii18rocsparse_bfloat16S1_ffEEvbT_PT0_S4_jNS_24const_host_device_scalarIT4_EEPKS2_PKS3_PKT1_PKT2_S7_PT3_21rocsparse_index_base_b ; -- Begin function _ZN9rocsparseL28csrmvn_lrb_short_rows_kernelIii18rocsparse_bfloat16S1_ffEEvbT_PT0_S4_jNS_24const_host_device_scalarIT4_EEPKS2_PKS3_PKT1_PKT2_S7_PT3_21rocsparse_index_base_b
	.p2align	8
	.type	_ZN9rocsparseL28csrmvn_lrb_short_rows_kernelIii18rocsparse_bfloat16S1_ffEEvbT_PT0_S4_jNS_24const_host_device_scalarIT4_EEPKS2_PKS3_PKT1_PKT2_S7_PT3_21rocsparse_index_base_b,@function
_ZN9rocsparseL28csrmvn_lrb_short_rows_kernelIii18rocsparse_bfloat16S1_ffEEvbT_PT0_S4_jNS_24const_host_device_scalarIT4_EEPKS2_PKS3_PKT1_PKT2_S7_PT3_21rocsparse_index_base_b: ; @_ZN9rocsparseL28csrmvn_lrb_short_rows_kernelIii18rocsparse_bfloat16S1_ffEEvbT_PT0_S4_jNS_24const_host_device_scalarIT4_EEPKS2_PKS3_PKT1_PKT2_S7_PT3_21rocsparse_index_base_b
; %bb.0:
	s_clause 0x2
	s_load_b64 s[16:17], s[0:1], 0x58
	s_load_b64 s[18:19], s[0:1], 0x20
	;; [unrolled: 1-line block ×3, first 2 shown]
	s_wait_kmcnt 0x0
	s_bitcmp1_b32 s17, 0
	s_cselect_b32 s4, -1, 0
	s_delay_alu instid0(SALU_CYCLE_1)
	s_and_b32 vcc_lo, exec_lo, s4
	s_xor_b32 s4, s4, -1
	s_cbranch_vccnz .LBB134_2
; %bb.1:
	s_load_b32 s18, s[18:19], 0x0
.LBB134_2:
	s_and_not1_b32 vcc_lo, exec_lo, s4
	s_cbranch_vccnz .LBB134_4
; %bb.3:
	s_load_b32 s2, s[2:3], 0x0
.LBB134_4:
	s_wait_kmcnt 0x0
	s_cmp_neq_f32 s18, 0
	s_cselect_b32 s3, -1, 0
	s_cmp_neq_f32 s2, 1.0
	s_cselect_b32 s4, -1, 0
	s_delay_alu instid0(SALU_CYCLE_1) | instskip(NEXT) | instid1(SALU_CYCLE_1)
	s_or_b32 s3, s3, s4
	s_and_not1_b32 vcc_lo, exec_lo, s3
	s_cbranch_vccnz .LBB134_18
; %bb.5:
	s_clause 0x1
	s_load_b32 s3, s[0:1], 0x18
	s_load_b128 s[12:15], s[0:1], 0x8
	s_and_b32 s6, ttmp6, 15
	s_getreg_b32 s7, hwreg(HW_REG_IB_STS2, 6, 4)
	s_wait_kmcnt 0x0
	s_add_co_i32 s4, s3, 1
	s_clause 0x1
	s_load_b32 s17, s[14:15], s3 offset:0x0 scale_offset
	s_load_b32 s5, s[14:15], s4 offset:0x0 scale_offset
	s_wait_xcnt 0x0
	s_bfe_u32 s4, ttmp6, 0x4000c
	s_delay_alu instid0(SALU_CYCLE_1) | instskip(NEXT) | instid1(SALU_CYCLE_1)
	s_add_co_i32 s4, s4, 1
	s_mul_i32 s4, ttmp9, s4
	s_delay_alu instid0(SALU_CYCLE_1) | instskip(SKIP_4) | instid1(SALU_CYCLE_1)
	s_add_co_i32 s6, s6, s4
	s_wait_kmcnt 0x0
	s_sub_co_i32 s5, s5, s17
	s_cmp_eq_u32 s7, 0
	s_cselect_b32 s4, ttmp9, s6
	s_lshl_b32 s14, s4, 8
	s_delay_alu instid0(SALU_CYCLE_1) | instskip(NEXT) | instid1(SALU_CYCLE_1)
	s_add_co_i32 s4, s14, 0x100
	s_min_u32 s15, s5, s4
	s_cmp_gt_u32 s3, 23
	s_cbranch_scc1 .LBB134_12
; %bb.6:
	s_load_b256 s[4:11], s[0:1], 0x28
	v_bfe_u32 v1, v0, 0, s3
	v_lshl_add_u32 v5, v0, 2, 0
	s_lshl_b32 s19, 0x100, s3
	s_mov_b32 s20, 0
	s_delay_alu instid0(VALU_DEP_2)
	v_subrev_nc_u32_e32 v4, s16, v1
	s_branch .LBB134_9
.LBB134_7:                              ;   in Loop: Header=BB134_9 Depth=1
	s_or_b32 exec_lo, exec_lo, s22
	ds_store_b32 v5, v3
.LBB134_8:                              ;   in Loop: Header=BB134_9 Depth=1
	s_or_b32 exec_lo, exec_lo, s21
	v_add_nc_u32_e32 v5, 0x400, v5
	s_addk_co_i32 s20, 0x100
	s_delay_alu instid0(SALU_CYCLE_1)
	s_cmp_ge_u32 s20, s19
	s_cbranch_scc1 .LBB134_12
.LBB134_9:                              ; =>This Inner Loop Header: Depth=1
	v_add_nc_u32_e32 v2, s20, v0
	s_mov_b32 s21, exec_lo
	s_delay_alu instid0(VALU_DEP_1) | instskip(NEXT) | instid1(VALU_DEP_1)
	v_lshrrev_b32_e32 v2, s3, v2
	v_add_nc_u32_e32 v2, s14, v2
	s_delay_alu instid0(VALU_DEP_1)
	v_cmpx_gt_u32_e64 s15, v2
	s_cbranch_execz .LBB134_8
; %bb.10:                               ;   in Loop: Header=BB134_9 Depth=1
	v_add_nc_u32_e32 v2, s17, v2
	global_load_b32 v2, v2, s[12:13] scale_offset
	s_wait_loadcnt 0x0
	v_ashrrev_i32_e32 v3, 31, v2
	s_wait_kmcnt 0x0
	s_wait_xcnt 0x0
	s_delay_alu instid0(VALU_DEP_1) | instskip(SKIP_4) | instid1(VALU_DEP_1)
	v_lshl_add_u64 v[2:3], v[2:3], 2, s[4:5]
	global_load_b64 v[2:3], v[2:3], off
	s_wait_loadcnt 0x0
	s_wait_xcnt 0x0
	v_sub_nc_u32_e32 v3, v3, v2
	v_cmp_lt_u32_e32 vcc_lo, v1, v3
	v_mov_b32_e32 v3, 0
	s_and_saveexec_b32 s22, vcc_lo
	s_cbranch_execz .LBB134_7
; %bb.11:                               ;   in Loop: Header=BB134_9 Depth=1
	v_add_nc_u32_e32 v2, v4, v2
	s_clause 0x1
	global_load_b32 v3, v2, s[6:7] scale_offset
	global_load_u16 v6, v2, s[8:9] scale_offset
	s_wait_loadcnt 0x1
	s_wait_xcnt 0x0
	v_subrev_nc_u32_e32 v2, s16, v3
	s_wait_loadcnt 0x0
	v_lshlrev_b32_e32 v3, 16, v6
	global_load_u16 v2, v2, s[10:11] scale_offset
	s_wait_loadcnt 0x0
	s_wait_xcnt 0x0
	v_dual_mul_f32 v3, s18, v3 :: v_dual_lshlrev_b32 v2, 16, v2
	s_delay_alu instid0(VALU_DEP_1)
	v_mul_f32_e32 v3, v3, v2
	s_branch .LBB134_7
.LBB134_12:
	s_wait_kmcnt 0x0
	s_sub_co_i32 s4, s15, s14
	s_wait_dscnt 0x0
	v_cmp_gt_u32_e32 vcc_lo, s4, v0
	s_barrier_signal -1
	s_barrier_wait -1
	s_and_saveexec_b32 s4, vcc_lo
	s_cbranch_execz .LBB134_18
; %bb.13:
	v_add3_u32 v1, s17, s14, v0
	s_load_b64 s[0:1], s[0:1], 0x50
	v_dual_lshlrev_b32 v0, s3, v0 :: v_dual_mov_b32 v4, 0
	s_mov_b32 s4, 1
	global_load_b32 v2, v1, s[12:13] scale_offset
	v_lshl_add_u32 v0, v0, 2, 0
.LBB134_14:                             ; =>This Inner Loop Header: Depth=1
	s_wait_xcnt 0x0
	ds_load_b32 v1, v0
	v_add_nc_u32_e32 v0, 4, v0
	s_lshr_b32 s5, s4, s3
	s_add_co_i32 s4, s4, 1
	s_cmp_lg_u32 s5, 0
	s_wait_dscnt 0x0
	v_add_f32_e32 v4, v4, v1
	s_cbranch_scc0 .LBB134_14
; %bb.15:
	s_wait_loadcnt 0x0
	v_ashrrev_i32_e32 v3, 31, v2
	s_cmp_neq_f32 s2, 0
	s_wait_kmcnt 0x0
	s_delay_alu instid0(VALU_DEP_1)
	v_lshl_add_u64 v[0:1], v[2:3], 2, s[0:1]
	s_cbranch_scc0 .LBB134_17
; %bb.16:
	global_load_b32 v2, v[0:1], off
	s_wait_loadcnt 0x0
	v_fmac_f32_e32 v4, s2, v2
.LBB134_17:
	global_store_b32 v[0:1], v4, off
.LBB134_18:
	s_endpgm
	.section	.rodata,"a",@progbits
	.p2align	6, 0x0
	.amdhsa_kernel _ZN9rocsparseL28csrmvn_lrb_short_rows_kernelIii18rocsparse_bfloat16S1_ffEEvbT_PT0_S4_jNS_24const_host_device_scalarIT4_EEPKS2_PKS3_PKT1_PKT2_S7_PT3_21rocsparse_index_base_b
		.amdhsa_group_segment_fixed_size 0
		.amdhsa_private_segment_fixed_size 0
		.amdhsa_kernarg_size 96
		.amdhsa_user_sgpr_count 2
		.amdhsa_user_sgpr_dispatch_ptr 0
		.amdhsa_user_sgpr_queue_ptr 0
		.amdhsa_user_sgpr_kernarg_segment_ptr 1
		.amdhsa_user_sgpr_dispatch_id 0
		.amdhsa_user_sgpr_kernarg_preload_length 0
		.amdhsa_user_sgpr_kernarg_preload_offset 0
		.amdhsa_user_sgpr_private_segment_size 0
		.amdhsa_wavefront_size32 1
		.amdhsa_uses_dynamic_stack 0
		.amdhsa_enable_private_segment 0
		.amdhsa_system_sgpr_workgroup_id_x 1
		.amdhsa_system_sgpr_workgroup_id_y 0
		.amdhsa_system_sgpr_workgroup_id_z 0
		.amdhsa_system_sgpr_workgroup_info 0
		.amdhsa_system_vgpr_workitem_id 0
		.amdhsa_next_free_vgpr 7
		.amdhsa_next_free_sgpr 23
		.amdhsa_named_barrier_count 0
		.amdhsa_reserve_vcc 1
		.amdhsa_float_round_mode_32 0
		.amdhsa_float_round_mode_16_64 0
		.amdhsa_float_denorm_mode_32 3
		.amdhsa_float_denorm_mode_16_64 3
		.amdhsa_fp16_overflow 0
		.amdhsa_memory_ordered 1
		.amdhsa_forward_progress 1
		.amdhsa_inst_pref_size 6
		.amdhsa_round_robin_scheduling 0
		.amdhsa_exception_fp_ieee_invalid_op 0
		.amdhsa_exception_fp_denorm_src 0
		.amdhsa_exception_fp_ieee_div_zero 0
		.amdhsa_exception_fp_ieee_overflow 0
		.amdhsa_exception_fp_ieee_underflow 0
		.amdhsa_exception_fp_ieee_inexact 0
		.amdhsa_exception_int_div_zero 0
	.end_amdhsa_kernel
	.section	.text._ZN9rocsparseL28csrmvn_lrb_short_rows_kernelIii18rocsparse_bfloat16S1_ffEEvbT_PT0_S4_jNS_24const_host_device_scalarIT4_EEPKS2_PKS3_PKT1_PKT2_S7_PT3_21rocsparse_index_base_b,"axG",@progbits,_ZN9rocsparseL28csrmvn_lrb_short_rows_kernelIii18rocsparse_bfloat16S1_ffEEvbT_PT0_S4_jNS_24const_host_device_scalarIT4_EEPKS2_PKS3_PKT1_PKT2_S7_PT3_21rocsparse_index_base_b,comdat
.Lfunc_end134:
	.size	_ZN9rocsparseL28csrmvn_lrb_short_rows_kernelIii18rocsparse_bfloat16S1_ffEEvbT_PT0_S4_jNS_24const_host_device_scalarIT4_EEPKS2_PKS3_PKT1_PKT2_S7_PT3_21rocsparse_index_base_b, .Lfunc_end134-_ZN9rocsparseL28csrmvn_lrb_short_rows_kernelIii18rocsparse_bfloat16S1_ffEEvbT_PT0_S4_jNS_24const_host_device_scalarIT4_EEPKS2_PKS3_PKT1_PKT2_S7_PT3_21rocsparse_index_base_b
                                        ; -- End function
	.set _ZN9rocsparseL28csrmvn_lrb_short_rows_kernelIii18rocsparse_bfloat16S1_ffEEvbT_PT0_S4_jNS_24const_host_device_scalarIT4_EEPKS2_PKS3_PKT1_PKT2_S7_PT3_21rocsparse_index_base_b.num_vgpr, 7
	.set _ZN9rocsparseL28csrmvn_lrb_short_rows_kernelIii18rocsparse_bfloat16S1_ffEEvbT_PT0_S4_jNS_24const_host_device_scalarIT4_EEPKS2_PKS3_PKT1_PKT2_S7_PT3_21rocsparse_index_base_b.num_agpr, 0
	.set _ZN9rocsparseL28csrmvn_lrb_short_rows_kernelIii18rocsparse_bfloat16S1_ffEEvbT_PT0_S4_jNS_24const_host_device_scalarIT4_EEPKS2_PKS3_PKT1_PKT2_S7_PT3_21rocsparse_index_base_b.numbered_sgpr, 23
	.set _ZN9rocsparseL28csrmvn_lrb_short_rows_kernelIii18rocsparse_bfloat16S1_ffEEvbT_PT0_S4_jNS_24const_host_device_scalarIT4_EEPKS2_PKS3_PKT1_PKT2_S7_PT3_21rocsparse_index_base_b.num_named_barrier, 0
	.set _ZN9rocsparseL28csrmvn_lrb_short_rows_kernelIii18rocsparse_bfloat16S1_ffEEvbT_PT0_S4_jNS_24const_host_device_scalarIT4_EEPKS2_PKS3_PKT1_PKT2_S7_PT3_21rocsparse_index_base_b.private_seg_size, 0
	.set _ZN9rocsparseL28csrmvn_lrb_short_rows_kernelIii18rocsparse_bfloat16S1_ffEEvbT_PT0_S4_jNS_24const_host_device_scalarIT4_EEPKS2_PKS3_PKT1_PKT2_S7_PT3_21rocsparse_index_base_b.uses_vcc, 1
	.set _ZN9rocsparseL28csrmvn_lrb_short_rows_kernelIii18rocsparse_bfloat16S1_ffEEvbT_PT0_S4_jNS_24const_host_device_scalarIT4_EEPKS2_PKS3_PKT1_PKT2_S7_PT3_21rocsparse_index_base_b.uses_flat_scratch, 0
	.set _ZN9rocsparseL28csrmvn_lrb_short_rows_kernelIii18rocsparse_bfloat16S1_ffEEvbT_PT0_S4_jNS_24const_host_device_scalarIT4_EEPKS2_PKS3_PKT1_PKT2_S7_PT3_21rocsparse_index_base_b.has_dyn_sized_stack, 0
	.set _ZN9rocsparseL28csrmvn_lrb_short_rows_kernelIii18rocsparse_bfloat16S1_ffEEvbT_PT0_S4_jNS_24const_host_device_scalarIT4_EEPKS2_PKS3_PKT1_PKT2_S7_PT3_21rocsparse_index_base_b.has_recursion, 0
	.set _ZN9rocsparseL28csrmvn_lrb_short_rows_kernelIii18rocsparse_bfloat16S1_ffEEvbT_PT0_S4_jNS_24const_host_device_scalarIT4_EEPKS2_PKS3_PKT1_PKT2_S7_PT3_21rocsparse_index_base_b.has_indirect_call, 0
	.section	.AMDGPU.csdata,"",@progbits
; Kernel info:
; codeLenInByte = 740
; TotalNumSgprs: 25
; NumVgprs: 7
; ScratchSize: 0
; MemoryBound: 0
; FloatMode: 240
; IeeeMode: 1
; LDSByteSize: 0 bytes/workgroup (compile time only)
; SGPRBlocks: 0
; VGPRBlocks: 0
; NumSGPRsForWavesPerEU: 25
; NumVGPRsForWavesPerEU: 7
; NamedBarCnt: 0
; Occupancy: 16
; WaveLimiterHint : 1
; COMPUTE_PGM_RSRC2:SCRATCH_EN: 0
; COMPUTE_PGM_RSRC2:USER_SGPR: 2
; COMPUTE_PGM_RSRC2:TRAP_HANDLER: 0
; COMPUTE_PGM_RSRC2:TGID_X_EN: 1
; COMPUTE_PGM_RSRC2:TGID_Y_EN: 0
; COMPUTE_PGM_RSRC2:TGID_Z_EN: 0
; COMPUTE_PGM_RSRC2:TIDIG_COMP_CNT: 0
	.section	.text._ZN9rocsparseL30csrmvn_lrb_short_rows_2_kernelIii18rocsparse_bfloat16S1_ffEEvbT_PT0_S4_jNS_24const_host_device_scalarIT4_EEPKS2_PKS3_PKT1_PKT2_S7_PT3_21rocsparse_index_base_b,"axG",@progbits,_ZN9rocsparseL30csrmvn_lrb_short_rows_2_kernelIii18rocsparse_bfloat16S1_ffEEvbT_PT0_S4_jNS_24const_host_device_scalarIT4_EEPKS2_PKS3_PKT1_PKT2_S7_PT3_21rocsparse_index_base_b,comdat
	.globl	_ZN9rocsparseL30csrmvn_lrb_short_rows_2_kernelIii18rocsparse_bfloat16S1_ffEEvbT_PT0_S4_jNS_24const_host_device_scalarIT4_EEPKS2_PKS3_PKT1_PKT2_S7_PT3_21rocsparse_index_base_b ; -- Begin function _ZN9rocsparseL30csrmvn_lrb_short_rows_2_kernelIii18rocsparse_bfloat16S1_ffEEvbT_PT0_S4_jNS_24const_host_device_scalarIT4_EEPKS2_PKS3_PKT1_PKT2_S7_PT3_21rocsparse_index_base_b
	.p2align	8
	.type	_ZN9rocsparseL30csrmvn_lrb_short_rows_2_kernelIii18rocsparse_bfloat16S1_ffEEvbT_PT0_S4_jNS_24const_host_device_scalarIT4_EEPKS2_PKS3_PKT1_PKT2_S7_PT3_21rocsparse_index_base_b,@function
_ZN9rocsparseL30csrmvn_lrb_short_rows_2_kernelIii18rocsparse_bfloat16S1_ffEEvbT_PT0_S4_jNS_24const_host_device_scalarIT4_EEPKS2_PKS3_PKT1_PKT2_S7_PT3_21rocsparse_index_base_b: ; @_ZN9rocsparseL30csrmvn_lrb_short_rows_2_kernelIii18rocsparse_bfloat16S1_ffEEvbT_PT0_S4_jNS_24const_host_device_scalarIT4_EEPKS2_PKS3_PKT1_PKT2_S7_PT3_21rocsparse_index_base_b
; %bb.0:
	s_clause 0x2
	s_load_b64 s[18:19], s[0:1], 0x58
	s_load_b64 s[16:17], s[0:1], 0x20
	;; [unrolled: 1-line block ×3, first 2 shown]
	s_wait_kmcnt 0x0
	s_bitcmp1_b32 s19, 0
	s_cselect_b32 s4, -1, 0
	s_delay_alu instid0(SALU_CYCLE_1)
	s_and_b32 vcc_lo, exec_lo, s4
	s_xor_b32 s4, s4, -1
	s_cbranch_vccnz .LBB135_2
; %bb.1:
	s_load_b32 s16, s[16:17], 0x0
.LBB135_2:
	s_and_not1_b32 vcc_lo, exec_lo, s4
	s_cbranch_vccnz .LBB135_4
; %bb.3:
	s_load_b32 s2, s[2:3], 0x0
.LBB135_4:
	s_wait_kmcnt 0x0
	s_cmp_neq_f32 s16, 0
	s_cselect_b32 s3, -1, 0
	s_cmp_neq_f32 s2, 1.0
	s_cselect_b32 s4, -1, 0
	s_delay_alu instid0(SALU_CYCLE_1) | instskip(NEXT) | instid1(SALU_CYCLE_1)
	s_or_b32 s3, s3, s4
	s_and_not1_b32 vcc_lo, exec_lo, s3
	s_cbranch_vccnz .LBB135_30
; %bb.5:
	s_clause 0x1
	s_load_b32 s3, s[0:1], 0x18
	s_load_b128 s[12:15], s[0:1], 0x8
	s_wait_kmcnt 0x0
	s_add_co_i32 s19, s3, 1
	s_clause 0x1
	s_load_b32 s17, s[14:15], s3 offset:0x0 scale_offset
	s_load_b32 s20, s[14:15], s19 offset:0x0 scale_offset
	s_load_b256 s[4:11], s[0:1], 0x28
	s_wait_xcnt 0x0
	s_bfe_u32 s14, ttmp6, 0x4000c
	s_and_b32 s15, ttmp6, 15
	s_add_co_i32 s14, s14, 1
	s_getreg_b32 s19, hwreg(HW_REG_IB_STS2, 6, 4)
	s_mul_i32 s21, ttmp9, s14
	s_lshr_b32 s14, 0x400, s3
	s_add_co_i32 s15, s15, s21
	v_lshrrev_b32_e32 v1, s3, v0
	v_bfe_u32 v4, v0, 0, s3
	s_wait_kmcnt 0x0
	s_sub_co_i32 s20, s20, s17
	s_cmp_eq_u32 s19, 0
	s_cselect_b32 s15, ttmp9, s15
	s_delay_alu instid0(SALU_CYCLE_1) | instskip(NEXT) | instid1(SALU_CYCLE_1)
	s_mul_i32 s15, s14, s15
	v_add_nc_u32_e32 v2, s15, v1
	v_subrev_nc_u32_e32 v1, s18, v4
	s_add_co_i32 s19, s15, s14
	s_delay_alu instid0(SALU_CYCLE_1)
	s_min_u32 s19, s20, s19
	s_mov_b32 s20, exec_lo
	v_cmpx_gt_u32_e64 s19, v2
	s_cbranch_execz .LBB135_9
; %bb.6:
	v_add_nc_u32_e32 v2, s17, v2
	global_load_b32 v2, v2, s[12:13] scale_offset
	s_wait_loadcnt 0x0
	v_ashrrev_i32_e32 v3, 31, v2
	s_delay_alu instid0(VALU_DEP_1) | instskip(SKIP_3) | instid1(VALU_DEP_1)
	v_lshl_add_u64 v[2:3], v[2:3], 2, s[4:5]
	global_load_b64 v[2:3], v[2:3], off
	s_wait_loadcnt 0x0
	v_sub_nc_u32_e32 v3, v3, v2
	v_cmp_lt_u32_e32 vcc_lo, v4, v3
	v_mov_b32_e32 v3, 0
	s_and_saveexec_b32 s21, vcc_lo
	s_cbranch_execz .LBB135_8
; %bb.7:
	v_add_nc_u32_e32 v2, v2, v1
	s_clause 0x1
	global_load_b32 v3, v2, s[6:7] scale_offset
	global_load_u16 v5, v2, s[8:9] scale_offset
	s_wait_loadcnt 0x1
	s_wait_xcnt 0x0
	v_subrev_nc_u32_e32 v2, s18, v3
	global_load_u16 v2, v2, s[10:11] scale_offset
	s_wait_loadcnt 0x0
	v_dual_lshlrev_b32 v3, 16, v5 :: v_dual_lshlrev_b32 v2, 16, v2
	s_delay_alu instid0(VALU_DEP_1) | instskip(NEXT) | instid1(VALU_DEP_1)
	v_mul_f32_e32 v3, s16, v3
	v_mul_f32_e32 v3, v3, v2
.LBB135_8:
	s_or_b32 exec_lo, exec_lo, s21
	v_lshlrev_b32_e32 v2, 2, v0
	ds_store_b32 v2, v3
.LBB135_9:
	s_or_b32 exec_lo, exec_lo, s20
	s_load_b64 s[0:1], s[0:1], 0x50
	v_or_b32_e32 v2, 0x100, v0
	s_mov_b32 s20, exec_lo
	s_delay_alu instid0(VALU_DEP_1) | instskip(NEXT) | instid1(VALU_DEP_1)
	v_lshrrev_b32_e32 v2, s3, v2
	v_add_nc_u32_e32 v2, s15, v2
	s_delay_alu instid0(VALU_DEP_1)
	v_cmpx_gt_u32_e64 s19, v2
	s_cbranch_execz .LBB135_13
; %bb.10:
	v_add_nc_u32_e32 v2, s17, v2
	global_load_b32 v2, v2, s[12:13] scale_offset
	s_wait_loadcnt 0x0
	v_ashrrev_i32_e32 v3, 31, v2
	s_delay_alu instid0(VALU_DEP_1) | instskip(SKIP_3) | instid1(VALU_DEP_1)
	v_lshl_add_u64 v[2:3], v[2:3], 2, s[4:5]
	global_load_b64 v[2:3], v[2:3], off
	s_wait_loadcnt 0x0
	v_sub_nc_u32_e32 v3, v3, v2
	v_cmp_lt_u32_e32 vcc_lo, v4, v3
	v_mov_b32_e32 v3, 0
	s_and_saveexec_b32 s21, vcc_lo
	s_cbranch_execz .LBB135_12
; %bb.11:
	v_add_nc_u32_e32 v2, v2, v1
	s_clause 0x1
	global_load_b32 v3, v2, s[6:7] scale_offset
	global_load_u16 v5, v2, s[8:9] scale_offset
	s_wait_loadcnt 0x1
	s_wait_xcnt 0x0
	v_subrev_nc_u32_e32 v2, s18, v3
	global_load_u16 v2, v2, s[10:11] scale_offset
	s_wait_loadcnt 0x0
	v_dual_lshlrev_b32 v3, 16, v5 :: v_dual_lshlrev_b32 v2, 16, v2
	s_delay_alu instid0(VALU_DEP_1) | instskip(NEXT) | instid1(VALU_DEP_1)
	v_mul_f32_e32 v3, s16, v3
	v_mul_f32_e32 v3, v3, v2
.LBB135_12:
	s_or_b32 exec_lo, exec_lo, s21
	v_lshlrev_b32_e32 v2, 2, v0
	ds_store_b32 v2, v3 offset:1024
.LBB135_13:
	s_or_b32 exec_lo, exec_lo, s20
	v_or_b32_e32 v2, 0x200, v0
	s_mov_b32 s20, exec_lo
	s_delay_alu instid0(VALU_DEP_1) | instskip(NEXT) | instid1(VALU_DEP_1)
	v_lshrrev_b32_e32 v2, s3, v2
	v_add_nc_u32_e32 v2, s15, v2
	s_delay_alu instid0(VALU_DEP_1)
	v_cmpx_gt_u32_e64 s19, v2
	s_cbranch_execz .LBB135_17
; %bb.14:
	v_add_nc_u32_e32 v2, s17, v2
	global_load_b32 v2, v2, s[12:13] scale_offset
	s_wait_loadcnt 0x0
	v_ashrrev_i32_e32 v3, 31, v2
	s_delay_alu instid0(VALU_DEP_1) | instskip(SKIP_3) | instid1(VALU_DEP_1)
	v_lshl_add_u64 v[2:3], v[2:3], 2, s[4:5]
	global_load_b64 v[2:3], v[2:3], off
	s_wait_loadcnt 0x0
	v_sub_nc_u32_e32 v3, v3, v2
	v_cmp_lt_u32_e32 vcc_lo, v4, v3
	v_mov_b32_e32 v3, 0
	s_and_saveexec_b32 s21, vcc_lo
	s_cbranch_execz .LBB135_16
; %bb.15:
	v_add_nc_u32_e32 v2, v2, v1
	s_clause 0x1
	global_load_b32 v3, v2, s[6:7] scale_offset
	global_load_u16 v5, v2, s[8:9] scale_offset
	s_wait_loadcnt 0x1
	s_wait_xcnt 0x0
	v_subrev_nc_u32_e32 v2, s18, v3
	global_load_u16 v2, v2, s[10:11] scale_offset
	s_wait_loadcnt 0x0
	v_dual_lshlrev_b32 v3, 16, v5 :: v_dual_lshlrev_b32 v2, 16, v2
	s_delay_alu instid0(VALU_DEP_1) | instskip(NEXT) | instid1(VALU_DEP_1)
	v_mul_f32_e32 v3, s16, v3
	v_mul_f32_e32 v3, v3, v2
.LBB135_16:
	s_or_b32 exec_lo, exec_lo, s21
	v_lshlrev_b32_e32 v2, 2, v0
	ds_store_b32 v2, v3 offset:2048
.LBB135_17:
	s_or_b32 exec_lo, exec_lo, s20
	v_or_b32_e32 v2, 0x300, v0
	s_mov_b32 s20, exec_lo
	s_delay_alu instid0(VALU_DEP_1) | instskip(NEXT) | instid1(VALU_DEP_1)
	v_lshrrev_b32_e32 v2, s3, v2
	v_add_nc_u32_e32 v2, s15, v2
	s_delay_alu instid0(VALU_DEP_1)
	v_cmpx_gt_u32_e64 s19, v2
	s_cbranch_execz .LBB135_21
; %bb.18:
	v_add_nc_u32_e32 v2, s17, v2
	global_load_b32 v2, v2, s[12:13] scale_offset
	s_wait_loadcnt 0x0
	v_ashrrev_i32_e32 v3, 31, v2
	s_delay_alu instid0(VALU_DEP_1) | instskip(SKIP_3) | instid1(VALU_DEP_1)
	v_lshl_add_u64 v[2:3], v[2:3], 2, s[4:5]
	global_load_b64 v[2:3], v[2:3], off
	s_wait_loadcnt 0x0
	v_sub_nc_u32_e32 v3, v3, v2
	v_cmp_lt_u32_e32 vcc_lo, v4, v3
	v_mov_b32_e32 v3, 0
	s_and_saveexec_b32 s4, vcc_lo
	s_cbranch_execz .LBB135_20
; %bb.19:
	v_add_nc_u32_e32 v1, v2, v1
	s_clause 0x1
	global_load_b32 v2, v1, s[6:7] scale_offset
	global_load_u16 v3, v1, s[8:9] scale_offset
	s_wait_loadcnt 0x1
	s_wait_xcnt 0x0
	v_subrev_nc_u32_e32 v1, s18, v2
	s_wait_loadcnt 0x0
	v_lshlrev_b32_e32 v2, 16, v3
	global_load_u16 v1, v1, s[10:11] scale_offset
	s_wait_loadcnt 0x0
	v_dual_mul_f32 v2, s16, v2 :: v_dual_lshlrev_b32 v1, 16, v1
	s_delay_alu instid0(VALU_DEP_1)
	v_mul_f32_e32 v3, v2, v1
.LBB135_20:
	s_or_b32 exec_lo, exec_lo, s4
	v_lshlrev_b32_e32 v1, 2, v0
	ds_store_b32 v1, v3 offset:3072
.LBB135_21:
	s_or_b32 exec_lo, exec_lo, s20
	s_cmp_lt_u32 s3, 11
	s_wait_dscnt 0x0
	s_barrier_signal -1
	s_barrier_wait -1
	s_cbranch_scc0 .LBB135_30
; %bb.22:
	s_sub_co_i32 s4, s19, s15
	s_add_co_i32 s17, s17, s15
	s_cmp_neq_f32 s2, 0
	s_mov_b32 s5, 0
	s_cselect_b32 s6, -1, 0
	s_branch .LBB135_25
.LBB135_23:                             ;   in Loop: Header=BB135_25 Depth=1
	global_store_b32 v[2:3], v1, off
.LBB135_24:                             ;   in Loop: Header=BB135_25 Depth=1
	s_wait_xcnt 0x0
	s_or_b32 exec_lo, exec_lo, s7
	s_addk_co_i32 s5, 0x100
	s_delay_alu instid0(SALU_CYCLE_1)
	s_cmp_lt_u32 s5, s14
	s_cbranch_scc0 .LBB135_30
.LBB135_25:                             ; =>This Loop Header: Depth=1
                                        ;     Child Loop BB135_27 Depth 2
	v_add_nc_u32_e32 v1, s5, v0
	s_mov_b32 s7, exec_lo
	s_delay_alu instid0(VALU_DEP_1)
	v_cmpx_gt_u32_e64 s4, v1
	s_cbranch_execz .LBB135_24
; %bb.26:                               ;   in Loop: Header=BB135_25 Depth=1
	v_dual_add_nc_u32 v2, s17, v1 :: v_dual_lshlrev_b32 v1, s3, v1
	s_mov_b32 s8, 1
	global_load_b32 v2, v2, s[12:13] scale_offset
	v_dual_lshlrev_b32 v3, 2, v1 :: v_dual_mov_b32 v1, 0
.LBB135_27:                             ;   Parent Loop BB135_25 Depth=1
                                        ; =>  This Inner Loop Header: Depth=2
	ds_load_b32 v4, v3
	v_add_nc_u32_e32 v3, 4, v3
	s_lshr_b32 s9, s8, s3
	s_add_co_i32 s8, s8, 1
	s_cmp_lg_u32 s9, 0
	s_wait_dscnt 0x0
	v_add_f32_e32 v1, v1, v4
	s_cbranch_scc0 .LBB135_27
; %bb.28:                               ;   in Loop: Header=BB135_25 Depth=1
	s_wait_loadcnt 0x0
	v_ashrrev_i32_e32 v3, 31, v2
	s_and_b32 vcc_lo, exec_lo, s6
	s_wait_kmcnt 0x0
	s_wait_xcnt 0x0
	s_delay_alu instid0(VALU_DEP_1)
	v_lshl_add_u64 v[2:3], v[2:3], 2, s[0:1]
	s_cbranch_vccz .LBB135_23
; %bb.29:                               ;   in Loop: Header=BB135_25 Depth=1
	global_load_b32 v4, v[2:3], off
	s_wait_loadcnt 0x0
	v_fmac_f32_e32 v1, s2, v4
	s_branch .LBB135_23
.LBB135_30:
	s_endpgm
	.section	.rodata,"a",@progbits
	.p2align	6, 0x0
	.amdhsa_kernel _ZN9rocsparseL30csrmvn_lrb_short_rows_2_kernelIii18rocsparse_bfloat16S1_ffEEvbT_PT0_S4_jNS_24const_host_device_scalarIT4_EEPKS2_PKS3_PKT1_PKT2_S7_PT3_21rocsparse_index_base_b
		.amdhsa_group_segment_fixed_size 4096
		.amdhsa_private_segment_fixed_size 0
		.amdhsa_kernarg_size 96
		.amdhsa_user_sgpr_count 2
		.amdhsa_user_sgpr_dispatch_ptr 0
		.amdhsa_user_sgpr_queue_ptr 0
		.amdhsa_user_sgpr_kernarg_segment_ptr 1
		.amdhsa_user_sgpr_dispatch_id 0
		.amdhsa_user_sgpr_kernarg_preload_length 0
		.amdhsa_user_sgpr_kernarg_preload_offset 0
		.amdhsa_user_sgpr_private_segment_size 0
		.amdhsa_wavefront_size32 1
		.amdhsa_uses_dynamic_stack 0
		.amdhsa_enable_private_segment 0
		.amdhsa_system_sgpr_workgroup_id_x 1
		.amdhsa_system_sgpr_workgroup_id_y 0
		.amdhsa_system_sgpr_workgroup_id_z 0
		.amdhsa_system_sgpr_workgroup_info 0
		.amdhsa_system_vgpr_workitem_id 0
		.amdhsa_next_free_vgpr 6
		.amdhsa_next_free_sgpr 22
		.amdhsa_named_barrier_count 0
		.amdhsa_reserve_vcc 1
		.amdhsa_float_round_mode_32 0
		.amdhsa_float_round_mode_16_64 0
		.amdhsa_float_denorm_mode_32 3
		.amdhsa_float_denorm_mode_16_64 3
		.amdhsa_fp16_overflow 0
		.amdhsa_memory_ordered 1
		.amdhsa_forward_progress 1
		.amdhsa_inst_pref_size 11
		.amdhsa_round_robin_scheduling 0
		.amdhsa_exception_fp_ieee_invalid_op 0
		.amdhsa_exception_fp_denorm_src 0
		.amdhsa_exception_fp_ieee_div_zero 0
		.amdhsa_exception_fp_ieee_overflow 0
		.amdhsa_exception_fp_ieee_underflow 0
		.amdhsa_exception_fp_ieee_inexact 0
		.amdhsa_exception_int_div_zero 0
	.end_amdhsa_kernel
	.section	.text._ZN9rocsparseL30csrmvn_lrb_short_rows_2_kernelIii18rocsparse_bfloat16S1_ffEEvbT_PT0_S4_jNS_24const_host_device_scalarIT4_EEPKS2_PKS3_PKT1_PKT2_S7_PT3_21rocsparse_index_base_b,"axG",@progbits,_ZN9rocsparseL30csrmvn_lrb_short_rows_2_kernelIii18rocsparse_bfloat16S1_ffEEvbT_PT0_S4_jNS_24const_host_device_scalarIT4_EEPKS2_PKS3_PKT1_PKT2_S7_PT3_21rocsparse_index_base_b,comdat
.Lfunc_end135:
	.size	_ZN9rocsparseL30csrmvn_lrb_short_rows_2_kernelIii18rocsparse_bfloat16S1_ffEEvbT_PT0_S4_jNS_24const_host_device_scalarIT4_EEPKS2_PKS3_PKT1_PKT2_S7_PT3_21rocsparse_index_base_b, .Lfunc_end135-_ZN9rocsparseL30csrmvn_lrb_short_rows_2_kernelIii18rocsparse_bfloat16S1_ffEEvbT_PT0_S4_jNS_24const_host_device_scalarIT4_EEPKS2_PKS3_PKT1_PKT2_S7_PT3_21rocsparse_index_base_b
                                        ; -- End function
	.set _ZN9rocsparseL30csrmvn_lrb_short_rows_2_kernelIii18rocsparse_bfloat16S1_ffEEvbT_PT0_S4_jNS_24const_host_device_scalarIT4_EEPKS2_PKS3_PKT1_PKT2_S7_PT3_21rocsparse_index_base_b.num_vgpr, 6
	.set _ZN9rocsparseL30csrmvn_lrb_short_rows_2_kernelIii18rocsparse_bfloat16S1_ffEEvbT_PT0_S4_jNS_24const_host_device_scalarIT4_EEPKS2_PKS3_PKT1_PKT2_S7_PT3_21rocsparse_index_base_b.num_agpr, 0
	.set _ZN9rocsparseL30csrmvn_lrb_short_rows_2_kernelIii18rocsparse_bfloat16S1_ffEEvbT_PT0_S4_jNS_24const_host_device_scalarIT4_EEPKS2_PKS3_PKT1_PKT2_S7_PT3_21rocsparse_index_base_b.numbered_sgpr, 22
	.set _ZN9rocsparseL30csrmvn_lrb_short_rows_2_kernelIii18rocsparse_bfloat16S1_ffEEvbT_PT0_S4_jNS_24const_host_device_scalarIT4_EEPKS2_PKS3_PKT1_PKT2_S7_PT3_21rocsparse_index_base_b.num_named_barrier, 0
	.set _ZN9rocsparseL30csrmvn_lrb_short_rows_2_kernelIii18rocsparse_bfloat16S1_ffEEvbT_PT0_S4_jNS_24const_host_device_scalarIT4_EEPKS2_PKS3_PKT1_PKT2_S7_PT3_21rocsparse_index_base_b.private_seg_size, 0
	.set _ZN9rocsparseL30csrmvn_lrb_short_rows_2_kernelIii18rocsparse_bfloat16S1_ffEEvbT_PT0_S4_jNS_24const_host_device_scalarIT4_EEPKS2_PKS3_PKT1_PKT2_S7_PT3_21rocsparse_index_base_b.uses_vcc, 1
	.set _ZN9rocsparseL30csrmvn_lrb_short_rows_2_kernelIii18rocsparse_bfloat16S1_ffEEvbT_PT0_S4_jNS_24const_host_device_scalarIT4_EEPKS2_PKS3_PKT1_PKT2_S7_PT3_21rocsparse_index_base_b.uses_flat_scratch, 0
	.set _ZN9rocsparseL30csrmvn_lrb_short_rows_2_kernelIii18rocsparse_bfloat16S1_ffEEvbT_PT0_S4_jNS_24const_host_device_scalarIT4_EEPKS2_PKS3_PKT1_PKT2_S7_PT3_21rocsparse_index_base_b.has_dyn_sized_stack, 0
	.set _ZN9rocsparseL30csrmvn_lrb_short_rows_2_kernelIii18rocsparse_bfloat16S1_ffEEvbT_PT0_S4_jNS_24const_host_device_scalarIT4_EEPKS2_PKS3_PKT1_PKT2_S7_PT3_21rocsparse_index_base_b.has_recursion, 0
	.set _ZN9rocsparseL30csrmvn_lrb_short_rows_2_kernelIii18rocsparse_bfloat16S1_ffEEvbT_PT0_S4_jNS_24const_host_device_scalarIT4_EEPKS2_PKS3_PKT1_PKT2_S7_PT3_21rocsparse_index_base_b.has_indirect_call, 0
	.section	.AMDGPU.csdata,"",@progbits
; Kernel info:
; codeLenInByte = 1360
; TotalNumSgprs: 24
; NumVgprs: 6
; ScratchSize: 0
; MemoryBound: 0
; FloatMode: 240
; IeeeMode: 1
; LDSByteSize: 4096 bytes/workgroup (compile time only)
; SGPRBlocks: 0
; VGPRBlocks: 0
; NumSGPRsForWavesPerEU: 24
; NumVGPRsForWavesPerEU: 6
; NamedBarCnt: 0
; Occupancy: 16
; WaveLimiterHint : 1
; COMPUTE_PGM_RSRC2:SCRATCH_EN: 0
; COMPUTE_PGM_RSRC2:USER_SGPR: 2
; COMPUTE_PGM_RSRC2:TRAP_HANDLER: 0
; COMPUTE_PGM_RSRC2:TGID_X_EN: 1
; COMPUTE_PGM_RSRC2:TGID_Y_EN: 0
; COMPUTE_PGM_RSRC2:TGID_Z_EN: 0
; COMPUTE_PGM_RSRC2:TIDIG_COMP_CNT: 0
	.section	.text._ZN9rocsparseL41csrmvn_lrb_medium_rows_warp_reduce_kernelILj256ELj32Eii18rocsparse_bfloat16S1_ffEEvbT1_lPT2_S4_jNS_24const_host_device_scalarIT6_EEPKS2_PKS3_PKT3_PKT4_S7_PT5_21rocsparse_index_base_b,"axG",@progbits,_ZN9rocsparseL41csrmvn_lrb_medium_rows_warp_reduce_kernelILj256ELj32Eii18rocsparse_bfloat16S1_ffEEvbT1_lPT2_S4_jNS_24const_host_device_scalarIT6_EEPKS2_PKS3_PKT3_PKT4_S7_PT5_21rocsparse_index_base_b,comdat
	.globl	_ZN9rocsparseL41csrmvn_lrb_medium_rows_warp_reduce_kernelILj256ELj32Eii18rocsparse_bfloat16S1_ffEEvbT1_lPT2_S4_jNS_24const_host_device_scalarIT6_EEPKS2_PKS3_PKT3_PKT4_S7_PT5_21rocsparse_index_base_b ; -- Begin function _ZN9rocsparseL41csrmvn_lrb_medium_rows_warp_reduce_kernelILj256ELj32Eii18rocsparse_bfloat16S1_ffEEvbT1_lPT2_S4_jNS_24const_host_device_scalarIT6_EEPKS2_PKS3_PKT3_PKT4_S7_PT5_21rocsparse_index_base_b
	.p2align	8
	.type	_ZN9rocsparseL41csrmvn_lrb_medium_rows_warp_reduce_kernelILj256ELj32Eii18rocsparse_bfloat16S1_ffEEvbT1_lPT2_S4_jNS_24const_host_device_scalarIT6_EEPKS2_PKS3_PKT3_PKT4_S7_PT5_21rocsparse_index_base_b,@function
_ZN9rocsparseL41csrmvn_lrb_medium_rows_warp_reduce_kernelILj256ELj32Eii18rocsparse_bfloat16S1_ffEEvbT1_lPT2_S4_jNS_24const_host_device_scalarIT6_EEPKS2_PKS3_PKT3_PKT4_S7_PT5_21rocsparse_index_base_b: ; @_ZN9rocsparseL41csrmvn_lrb_medium_rows_warp_reduce_kernelILj256ELj32Eii18rocsparse_bfloat16S1_ffEEvbT1_lPT2_S4_jNS_24const_host_device_scalarIT6_EEPKS2_PKS3_PKT3_PKT4_S7_PT5_21rocsparse_index_base_b
; %bb.0:
	s_clause 0x2
	s_load_b64 s[8:9], s[0:1], 0x60
	s_load_b64 s[10:11], s[0:1], 0x28
	;; [unrolled: 1-line block ×3, first 2 shown]
	s_wait_kmcnt 0x0
	s_bitcmp1_b32 s9, 0
	s_cselect_b32 s4, -1, 0
	s_delay_alu instid0(SALU_CYCLE_1)
	s_and_b32 vcc_lo, exec_lo, s4
	s_xor_b32 s4, s4, -1
	s_cbranch_vccnz .LBB136_2
; %bb.1:
	s_load_b32 s10, s[10:11], 0x0
.LBB136_2:
	s_and_not1_b32 vcc_lo, exec_lo, s4
	s_cbranch_vccnz .LBB136_4
; %bb.3:
	s_load_b32 s2, s[2:3], 0x0
.LBB136_4:
	s_wait_kmcnt 0x0
	s_cmp_neq_f32 s10, 0
	s_cselect_b32 s3, -1, 0
	s_cmp_neq_f32 s2, 1.0
	s_cselect_b32 s4, -1, 0
	s_delay_alu instid0(SALU_CYCLE_1) | instskip(NEXT) | instid1(SALU_CYCLE_1)
	s_or_b32 s3, s3, s4
	s_and_not1_b32 vcc_lo, exec_lo, s3
	s_cbranch_vccnz .LBB136_14
; %bb.5:
	s_bfe_u32 s3, ttmp6, 0x4000c
	s_load_b64 s[4:5], s[0:1], 0x8
	s_add_co_i32 s3, s3, 1
	s_and_b32 s6, ttmp6, 15
	s_mul_i32 s3, ttmp9, s3
	s_getreg_b32 s7, hwreg(HW_REG_IB_STS2, 6, 4)
	v_lshrrev_b32_e32 v1, 5, v0
	s_add_co_i32 s6, s6, s3
	s_cmp_eq_u32 s7, 0
	s_cselect_b32 s3, ttmp9, s6
	s_delay_alu instid0(VALU_DEP_1) | instid1(SALU_CYCLE_1)
	v_lshl_or_b32 v2, s3, 3, v1
	s_mov_b32 s3, exec_lo
	s_delay_alu instid0(VALU_DEP_1) | instskip(SKIP_1) | instid1(VALU_DEP_1)
	v_ashrrev_i32_e32 v3, 31, v2
	s_wait_kmcnt 0x0
	v_cmpx_gt_i64_e64 s[4:5], v[2:3]
	s_cbranch_execz .LBB136_14
; %bb.6:
	s_clause 0x1
	s_load_b128 s[4:7], s[0:1], 0x10
	s_load_b32 s3, s[0:1], 0x20
	s_wait_kmcnt 0x0
	s_load_b32 s3, s[6:7], s3 offset:0x0 scale_offset
	s_wait_kmcnt 0x0
	v_add_nc_u32_e32 v1, s3, v2
	s_mov_b32 s3, exec_lo
	global_load_b32 v2, v1, s[4:5] scale_offset
	s_wait_xcnt 0x0
	s_load_b64 s[4:5], s[0:1], 0x30
	s_wait_loadcnt 0x0
	v_ashrrev_i32_e32 v3, 31, v2
	s_wait_kmcnt 0x0
	s_delay_alu instid0(VALU_DEP_1) | instskip(SKIP_2) | instid1(VALU_DEP_1)
	v_lshl_add_u64 v[4:5], v[2:3], 2, s[4:5]
	global_load_b64 v[6:7], v[4:5], off
	v_and_b32_e32 v0, 31, v0
	v_subrev_nc_u32_e32 v1, s8, v0
	s_wait_loadcnt 0x0
	v_subrev_nc_u32_e32 v4, s8, v7
	s_delay_alu instid0(VALU_DEP_2) | instskip(NEXT) | instid1(VALU_DEP_1)
	v_dual_add_nc_u32 v5, v6, v1 :: v_dual_mov_b32 v1, 0
	v_cmpx_lt_i32_e64 v5, v4
	s_cbranch_execz .LBB136_10
; %bb.7:
	s_clause 0x1
	s_load_b128 s[4:7], s[0:1], 0x38
	s_load_b64 s[12:13], s[0:1], 0x48
	v_mov_b32_e32 v1, 0
	s_mov_b32 s9, 0
.LBB136_8:                              ; =>This Inner Loop Header: Depth=1
	s_wait_kmcnt 0x0
	s_clause 0x1
	global_load_b32 v6, v5, s[4:5] scale_offset
	global_load_u16 v7, v5, s[6:7] scale_offset
	s_wait_xcnt 0x0
	v_add_nc_u32_e32 v5, 32, v5
	s_delay_alu instid0(VALU_DEP_1)
	v_cmp_ge_i32_e32 vcc_lo, v5, v4
	s_or_b32 s9, vcc_lo, s9
	s_wait_loadcnt 0x1
	v_subrev_nc_u32_e32 v6, s8, v6
	s_wait_loadcnt 0x0
	v_lshlrev_b32_e32 v7, 16, v7
	global_load_u16 v6, v6, s[12:13] scale_offset
	v_mul_f32_e32 v7, s10, v7
	s_wait_loadcnt 0x0
	s_delay_alu instid0(VALU_DEP_1)
	v_fma_mix_f32_bf16 v1, v7, v6, v1 op_sel_hi:[0,1,0]
	s_and_not1_b32 exec_lo, exec_lo, s9
	s_cbranch_execnz .LBB136_8
; %bb.9:
	s_or_b32 exec_lo, exec_lo, s9
.LBB136_10:
	s_delay_alu instid0(SALU_CYCLE_1) | instskip(SKIP_2) | instid1(VALU_DEP_1)
	s_or_b32 exec_lo, exec_lo, s3
	v_mbcnt_lo_u32_b32 v4, -1, 0
	s_load_b64 s[0:1], s[0:1], 0x58
	v_xor_b32_e32 v6, 8, v4
	v_xor_b32_e32 v5, 16, v4
	s_delay_alu instid0(VALU_DEP_1) | instskip(SKIP_1) | instid1(VALU_DEP_4)
	v_cmp_gt_i32_e32 vcc_lo, 32, v5
	v_cndmask_b32_e32 v5, v4, v5, vcc_lo
	v_cmp_gt_i32_e32 vcc_lo, 32, v6
	v_cndmask_b32_e32 v6, v4, v6, vcc_lo
	s_delay_alu instid0(VALU_DEP_1)
	v_dual_lshlrev_b32 v6, 2, v6 :: v_dual_lshlrev_b32 v5, 2, v5
	ds_bpermute_b32 v5, v5, v1
	s_wait_dscnt 0x0
	v_add_f32_e32 v1, v1, v5
	ds_bpermute_b32 v5, v6, v1
	v_xor_b32_e32 v6, 4, v4
	s_delay_alu instid0(VALU_DEP_1) | instskip(SKIP_2) | instid1(VALU_DEP_1)
	v_cmp_gt_i32_e32 vcc_lo, 32, v6
	s_wait_dscnt 0x0
	v_dual_cndmask_b32 v6, v4, v6 :: v_dual_add_f32 v1, v1, v5
	v_lshlrev_b32_e32 v6, 2, v6
	ds_bpermute_b32 v5, v6, v1
	s_wait_dscnt 0x0
	v_dual_add_f32 v1, v1, v5 :: v_dual_bitop2_b32 v6, 2, v4 bitop3:0x14
	s_delay_alu instid0(VALU_DEP_1) | instskip(SKIP_1) | instid1(VALU_DEP_1)
	v_cmp_gt_i32_e32 vcc_lo, 32, v6
	v_cndmask_b32_e32 v6, v4, v6, vcc_lo
	v_lshlrev_b32_e32 v6, 2, v6
	ds_bpermute_b32 v5, v6, v1
	v_xor_b32_e32 v6, 1, v4
	s_delay_alu instid0(VALU_DEP_1) | instskip(SKIP_3) | instid1(VALU_DEP_2)
	v_cmp_gt_i32_e32 vcc_lo, 32, v6
	v_cndmask_b32_e32 v4, v4, v6, vcc_lo
	v_cmp_eq_u32_e32 vcc_lo, 31, v0
	s_wait_dscnt 0x0
	v_dual_add_f32 v1, v1, v5 :: v_dual_lshlrev_b32 v4, 2, v4
	ds_bpermute_b32 v4, v4, v1
	s_and_b32 exec_lo, exec_lo, vcc_lo
	s_cbranch_execz .LBB136_14
; %bb.11:
	s_wait_dscnt 0x0
	v_add_f32_e32 v4, v1, v4
	s_wait_kmcnt 0x0
	v_lshl_add_u64 v[0:1], v[2:3], 2, s[0:1]
	s_cmp_eq_f32 s2, 0
	s_cbranch_scc1 .LBB136_13
; %bb.12:
	global_load_b32 v2, v[0:1], off
	s_wait_loadcnt 0x0
	v_fmac_f32_e32 v4, s2, v2
.LBB136_13:
	global_store_b32 v[0:1], v4, off
.LBB136_14:
	s_endpgm
	.section	.rodata,"a",@progbits
	.p2align	6, 0x0
	.amdhsa_kernel _ZN9rocsparseL41csrmvn_lrb_medium_rows_warp_reduce_kernelILj256ELj32Eii18rocsparse_bfloat16S1_ffEEvbT1_lPT2_S4_jNS_24const_host_device_scalarIT6_EEPKS2_PKS3_PKT3_PKT4_S7_PT5_21rocsparse_index_base_b
		.amdhsa_group_segment_fixed_size 0
		.amdhsa_private_segment_fixed_size 0
		.amdhsa_kernarg_size 104
		.amdhsa_user_sgpr_count 2
		.amdhsa_user_sgpr_dispatch_ptr 0
		.amdhsa_user_sgpr_queue_ptr 0
		.amdhsa_user_sgpr_kernarg_segment_ptr 1
		.amdhsa_user_sgpr_dispatch_id 0
		.amdhsa_user_sgpr_kernarg_preload_length 0
		.amdhsa_user_sgpr_kernarg_preload_offset 0
		.amdhsa_user_sgpr_private_segment_size 0
		.amdhsa_wavefront_size32 1
		.amdhsa_uses_dynamic_stack 0
		.amdhsa_enable_private_segment 0
		.amdhsa_system_sgpr_workgroup_id_x 1
		.amdhsa_system_sgpr_workgroup_id_y 0
		.amdhsa_system_sgpr_workgroup_id_z 0
		.amdhsa_system_sgpr_workgroup_info 0
		.amdhsa_system_vgpr_workitem_id 0
		.amdhsa_next_free_vgpr 8
		.amdhsa_next_free_sgpr 14
		.amdhsa_named_barrier_count 0
		.amdhsa_reserve_vcc 1
		.amdhsa_float_round_mode_32 0
		.amdhsa_float_round_mode_16_64 0
		.amdhsa_float_denorm_mode_32 3
		.amdhsa_float_denorm_mode_16_64 3
		.amdhsa_fp16_overflow 0
		.amdhsa_memory_ordered 1
		.amdhsa_forward_progress 1
		.amdhsa_inst_pref_size 7
		.amdhsa_round_robin_scheduling 0
		.amdhsa_exception_fp_ieee_invalid_op 0
		.amdhsa_exception_fp_denorm_src 0
		.amdhsa_exception_fp_ieee_div_zero 0
		.amdhsa_exception_fp_ieee_overflow 0
		.amdhsa_exception_fp_ieee_underflow 0
		.amdhsa_exception_fp_ieee_inexact 0
		.amdhsa_exception_int_div_zero 0
	.end_amdhsa_kernel
	.section	.text._ZN9rocsparseL41csrmvn_lrb_medium_rows_warp_reduce_kernelILj256ELj32Eii18rocsparse_bfloat16S1_ffEEvbT1_lPT2_S4_jNS_24const_host_device_scalarIT6_EEPKS2_PKS3_PKT3_PKT4_S7_PT5_21rocsparse_index_base_b,"axG",@progbits,_ZN9rocsparseL41csrmvn_lrb_medium_rows_warp_reduce_kernelILj256ELj32Eii18rocsparse_bfloat16S1_ffEEvbT1_lPT2_S4_jNS_24const_host_device_scalarIT6_EEPKS2_PKS3_PKT3_PKT4_S7_PT5_21rocsparse_index_base_b,comdat
.Lfunc_end136:
	.size	_ZN9rocsparseL41csrmvn_lrb_medium_rows_warp_reduce_kernelILj256ELj32Eii18rocsparse_bfloat16S1_ffEEvbT1_lPT2_S4_jNS_24const_host_device_scalarIT6_EEPKS2_PKS3_PKT3_PKT4_S7_PT5_21rocsparse_index_base_b, .Lfunc_end136-_ZN9rocsparseL41csrmvn_lrb_medium_rows_warp_reduce_kernelILj256ELj32Eii18rocsparse_bfloat16S1_ffEEvbT1_lPT2_S4_jNS_24const_host_device_scalarIT6_EEPKS2_PKS3_PKT3_PKT4_S7_PT5_21rocsparse_index_base_b
                                        ; -- End function
	.set _ZN9rocsparseL41csrmvn_lrb_medium_rows_warp_reduce_kernelILj256ELj32Eii18rocsparse_bfloat16S1_ffEEvbT1_lPT2_S4_jNS_24const_host_device_scalarIT6_EEPKS2_PKS3_PKT3_PKT4_S7_PT5_21rocsparse_index_base_b.num_vgpr, 8
	.set _ZN9rocsparseL41csrmvn_lrb_medium_rows_warp_reduce_kernelILj256ELj32Eii18rocsparse_bfloat16S1_ffEEvbT1_lPT2_S4_jNS_24const_host_device_scalarIT6_EEPKS2_PKS3_PKT3_PKT4_S7_PT5_21rocsparse_index_base_b.num_agpr, 0
	.set _ZN9rocsparseL41csrmvn_lrb_medium_rows_warp_reduce_kernelILj256ELj32Eii18rocsparse_bfloat16S1_ffEEvbT1_lPT2_S4_jNS_24const_host_device_scalarIT6_EEPKS2_PKS3_PKT3_PKT4_S7_PT5_21rocsparse_index_base_b.numbered_sgpr, 14
	.set _ZN9rocsparseL41csrmvn_lrb_medium_rows_warp_reduce_kernelILj256ELj32Eii18rocsparse_bfloat16S1_ffEEvbT1_lPT2_S4_jNS_24const_host_device_scalarIT6_EEPKS2_PKS3_PKT3_PKT4_S7_PT5_21rocsparse_index_base_b.num_named_barrier, 0
	.set _ZN9rocsparseL41csrmvn_lrb_medium_rows_warp_reduce_kernelILj256ELj32Eii18rocsparse_bfloat16S1_ffEEvbT1_lPT2_S4_jNS_24const_host_device_scalarIT6_EEPKS2_PKS3_PKT3_PKT4_S7_PT5_21rocsparse_index_base_b.private_seg_size, 0
	.set _ZN9rocsparseL41csrmvn_lrb_medium_rows_warp_reduce_kernelILj256ELj32Eii18rocsparse_bfloat16S1_ffEEvbT1_lPT2_S4_jNS_24const_host_device_scalarIT6_EEPKS2_PKS3_PKT3_PKT4_S7_PT5_21rocsparse_index_base_b.uses_vcc, 1
	.set _ZN9rocsparseL41csrmvn_lrb_medium_rows_warp_reduce_kernelILj256ELj32Eii18rocsparse_bfloat16S1_ffEEvbT1_lPT2_S4_jNS_24const_host_device_scalarIT6_EEPKS2_PKS3_PKT3_PKT4_S7_PT5_21rocsparse_index_base_b.uses_flat_scratch, 0
	.set _ZN9rocsparseL41csrmvn_lrb_medium_rows_warp_reduce_kernelILj256ELj32Eii18rocsparse_bfloat16S1_ffEEvbT1_lPT2_S4_jNS_24const_host_device_scalarIT6_EEPKS2_PKS3_PKT3_PKT4_S7_PT5_21rocsparse_index_base_b.has_dyn_sized_stack, 0
	.set _ZN9rocsparseL41csrmvn_lrb_medium_rows_warp_reduce_kernelILj256ELj32Eii18rocsparse_bfloat16S1_ffEEvbT1_lPT2_S4_jNS_24const_host_device_scalarIT6_EEPKS2_PKS3_PKT3_PKT4_S7_PT5_21rocsparse_index_base_b.has_recursion, 0
	.set _ZN9rocsparseL41csrmvn_lrb_medium_rows_warp_reduce_kernelILj256ELj32Eii18rocsparse_bfloat16S1_ffEEvbT1_lPT2_S4_jNS_24const_host_device_scalarIT6_EEPKS2_PKS3_PKT3_PKT4_S7_PT5_21rocsparse_index_base_b.has_indirect_call, 0
	.section	.AMDGPU.csdata,"",@progbits
; Kernel info:
; codeLenInByte = 772
; TotalNumSgprs: 16
; NumVgprs: 8
; ScratchSize: 0
; MemoryBound: 0
; FloatMode: 240
; IeeeMode: 1
; LDSByteSize: 0 bytes/workgroup (compile time only)
; SGPRBlocks: 0
; VGPRBlocks: 0
; NumSGPRsForWavesPerEU: 16
; NumVGPRsForWavesPerEU: 8
; NamedBarCnt: 0
; Occupancy: 16
; WaveLimiterHint : 1
; COMPUTE_PGM_RSRC2:SCRATCH_EN: 0
; COMPUTE_PGM_RSRC2:USER_SGPR: 2
; COMPUTE_PGM_RSRC2:TRAP_HANDLER: 0
; COMPUTE_PGM_RSRC2:TGID_X_EN: 1
; COMPUTE_PGM_RSRC2:TGID_Y_EN: 0
; COMPUTE_PGM_RSRC2:TGID_Z_EN: 0
; COMPUTE_PGM_RSRC2:TIDIG_COMP_CNT: 0
	.section	.text._ZN9rocsparseL41csrmvn_lrb_medium_rows_warp_reduce_kernelILj256ELj64Eii18rocsparse_bfloat16S1_ffEEvbT1_lPT2_S4_jNS_24const_host_device_scalarIT6_EEPKS2_PKS3_PKT3_PKT4_S7_PT5_21rocsparse_index_base_b,"axG",@progbits,_ZN9rocsparseL41csrmvn_lrb_medium_rows_warp_reduce_kernelILj256ELj64Eii18rocsparse_bfloat16S1_ffEEvbT1_lPT2_S4_jNS_24const_host_device_scalarIT6_EEPKS2_PKS3_PKT3_PKT4_S7_PT5_21rocsparse_index_base_b,comdat
	.globl	_ZN9rocsparseL41csrmvn_lrb_medium_rows_warp_reduce_kernelILj256ELj64Eii18rocsparse_bfloat16S1_ffEEvbT1_lPT2_S4_jNS_24const_host_device_scalarIT6_EEPKS2_PKS3_PKT3_PKT4_S7_PT5_21rocsparse_index_base_b ; -- Begin function _ZN9rocsparseL41csrmvn_lrb_medium_rows_warp_reduce_kernelILj256ELj64Eii18rocsparse_bfloat16S1_ffEEvbT1_lPT2_S4_jNS_24const_host_device_scalarIT6_EEPKS2_PKS3_PKT3_PKT4_S7_PT5_21rocsparse_index_base_b
	.p2align	8
	.type	_ZN9rocsparseL41csrmvn_lrb_medium_rows_warp_reduce_kernelILj256ELj64Eii18rocsparse_bfloat16S1_ffEEvbT1_lPT2_S4_jNS_24const_host_device_scalarIT6_EEPKS2_PKS3_PKT3_PKT4_S7_PT5_21rocsparse_index_base_b,@function
_ZN9rocsparseL41csrmvn_lrb_medium_rows_warp_reduce_kernelILj256ELj64Eii18rocsparse_bfloat16S1_ffEEvbT1_lPT2_S4_jNS_24const_host_device_scalarIT6_EEPKS2_PKS3_PKT3_PKT4_S7_PT5_21rocsparse_index_base_b: ; @_ZN9rocsparseL41csrmvn_lrb_medium_rows_warp_reduce_kernelILj256ELj64Eii18rocsparse_bfloat16S1_ffEEvbT1_lPT2_S4_jNS_24const_host_device_scalarIT6_EEPKS2_PKS3_PKT3_PKT4_S7_PT5_21rocsparse_index_base_b
; %bb.0:
	s_clause 0x2
	s_load_b64 s[8:9], s[0:1], 0x60
	s_load_b64 s[10:11], s[0:1], 0x28
	;; [unrolled: 1-line block ×3, first 2 shown]
	s_wait_kmcnt 0x0
	s_bitcmp1_b32 s9, 0
	s_cselect_b32 s4, -1, 0
	s_delay_alu instid0(SALU_CYCLE_1)
	s_and_b32 vcc_lo, exec_lo, s4
	s_xor_b32 s4, s4, -1
	s_cbranch_vccnz .LBB137_2
; %bb.1:
	s_load_b32 s10, s[10:11], 0x0
.LBB137_2:
	s_and_not1_b32 vcc_lo, exec_lo, s4
	s_cbranch_vccnz .LBB137_4
; %bb.3:
	s_load_b32 s2, s[2:3], 0x0
.LBB137_4:
	s_wait_kmcnt 0x0
	s_cmp_neq_f32 s10, 0
	s_cselect_b32 s3, -1, 0
	s_cmp_neq_f32 s2, 1.0
	s_cselect_b32 s4, -1, 0
	s_delay_alu instid0(SALU_CYCLE_1) | instskip(NEXT) | instid1(SALU_CYCLE_1)
	s_or_b32 s3, s3, s4
	s_and_not1_b32 vcc_lo, exec_lo, s3
	s_cbranch_vccnz .LBB137_14
; %bb.5:
	s_bfe_u32 s3, ttmp6, 0x4000c
	s_load_b64 s[4:5], s[0:1], 0x8
	s_add_co_i32 s3, s3, 1
	s_and_b32 s6, ttmp6, 15
	s_mul_i32 s3, ttmp9, s3
	s_getreg_b32 s7, hwreg(HW_REG_IB_STS2, 6, 4)
	v_lshrrev_b32_e32 v1, 6, v0
	s_add_co_i32 s6, s6, s3
	s_cmp_eq_u32 s7, 0
	s_cselect_b32 s3, ttmp9, s6
	s_delay_alu instid0(VALU_DEP_1) | instid1(SALU_CYCLE_1)
	v_lshl_or_b32 v2, s3, 2, v1
	s_mov_b32 s3, exec_lo
	s_delay_alu instid0(VALU_DEP_1) | instskip(SKIP_1) | instid1(VALU_DEP_1)
	v_ashrrev_i32_e32 v3, 31, v2
	s_wait_kmcnt 0x0
	v_cmpx_gt_i64_e64 s[4:5], v[2:3]
	s_cbranch_execz .LBB137_14
; %bb.6:
	s_clause 0x1
	s_load_b128 s[4:7], s[0:1], 0x10
	s_load_b32 s3, s[0:1], 0x20
	s_wait_kmcnt 0x0
	s_load_b32 s3, s[6:7], s3 offset:0x0 scale_offset
	s_wait_kmcnt 0x0
	v_add_nc_u32_e32 v1, s3, v2
	s_mov_b32 s3, exec_lo
	global_load_b32 v2, v1, s[4:5] scale_offset
	s_wait_xcnt 0x0
	s_load_b64 s[4:5], s[0:1], 0x30
	s_wait_loadcnt 0x0
	v_ashrrev_i32_e32 v3, 31, v2
	s_wait_kmcnt 0x0
	s_delay_alu instid0(VALU_DEP_1) | instskip(SKIP_2) | instid1(VALU_DEP_1)
	v_lshl_add_u64 v[4:5], v[2:3], 2, s[4:5]
	global_load_b64 v[6:7], v[4:5], off
	v_and_b32_e32 v0, 63, v0
	v_subrev_nc_u32_e32 v1, s8, v0
	s_wait_loadcnt 0x0
	v_subrev_nc_u32_e32 v4, s8, v7
	s_delay_alu instid0(VALU_DEP_2) | instskip(NEXT) | instid1(VALU_DEP_1)
	v_dual_add_nc_u32 v5, v6, v1 :: v_dual_mov_b32 v1, 0
	v_cmpx_lt_i32_e64 v5, v4
	s_cbranch_execz .LBB137_10
; %bb.7:
	s_clause 0x1
	s_load_b128 s[4:7], s[0:1], 0x38
	s_load_b64 s[12:13], s[0:1], 0x48
	v_mov_b32_e32 v1, 0
	s_mov_b32 s9, 0
.LBB137_8:                              ; =>This Inner Loop Header: Depth=1
	s_wait_kmcnt 0x0
	s_clause 0x1
	global_load_b32 v6, v5, s[4:5] scale_offset
	global_load_u16 v7, v5, s[6:7] scale_offset
	s_wait_xcnt 0x0
	v_add_nc_u32_e32 v5, 64, v5
	s_delay_alu instid0(VALU_DEP_1)
	v_cmp_ge_i32_e32 vcc_lo, v5, v4
	s_or_b32 s9, vcc_lo, s9
	s_wait_loadcnt 0x1
	v_subrev_nc_u32_e32 v6, s8, v6
	s_wait_loadcnt 0x0
	v_lshlrev_b32_e32 v7, 16, v7
	global_load_u16 v6, v6, s[12:13] scale_offset
	v_mul_f32_e32 v7, s10, v7
	s_wait_loadcnt 0x0
	s_delay_alu instid0(VALU_DEP_1)
	v_fma_mix_f32_bf16 v1, v7, v6, v1 op_sel_hi:[0,1,0]
	s_and_not1_b32 exec_lo, exec_lo, s9
	s_cbranch_execnz .LBB137_8
; %bb.9:
	s_or_b32 exec_lo, exec_lo, s9
.LBB137_10:
	s_delay_alu instid0(SALU_CYCLE_1) | instskip(SKIP_2) | instid1(VALU_DEP_1)
	s_or_b32 exec_lo, exec_lo, s3
	v_mbcnt_lo_u32_b32 v4, -1, 0
	s_load_b64 s[0:1], s[0:1], 0x58
	v_xor_b32_e32 v6, 16, v4
	v_or_b32_e32 v5, 32, v4
	s_delay_alu instid0(VALU_DEP_1) | instskip(SKIP_1) | instid1(VALU_DEP_4)
	v_cmp_gt_i32_e32 vcc_lo, 32, v5
	v_cndmask_b32_e32 v5, v4, v5, vcc_lo
	v_cmp_gt_i32_e32 vcc_lo, 32, v6
	v_cndmask_b32_e32 v6, v4, v6, vcc_lo
	s_delay_alu instid0(VALU_DEP_1)
	v_dual_lshlrev_b32 v6, 2, v6 :: v_dual_lshlrev_b32 v5, 2, v5
	ds_bpermute_b32 v5, v5, v1
	s_wait_dscnt 0x0
	v_add_f32_e32 v1, v1, v5
	ds_bpermute_b32 v5, v6, v1
	v_xor_b32_e32 v6, 8, v4
	s_delay_alu instid0(VALU_DEP_1) | instskip(SKIP_2) | instid1(VALU_DEP_1)
	v_cmp_gt_i32_e32 vcc_lo, 32, v6
	s_wait_dscnt 0x0
	v_dual_cndmask_b32 v6, v4, v6 :: v_dual_add_f32 v1, v1, v5
	v_lshlrev_b32_e32 v6, 2, v6
	ds_bpermute_b32 v5, v6, v1
	s_wait_dscnt 0x0
	v_dual_add_f32 v1, v1, v5 :: v_dual_bitop2_b32 v6, 4, v4 bitop3:0x14
	s_delay_alu instid0(VALU_DEP_1) | instskip(SKIP_1) | instid1(VALU_DEP_1)
	v_cmp_gt_i32_e32 vcc_lo, 32, v6
	v_cndmask_b32_e32 v6, v4, v6, vcc_lo
	v_lshlrev_b32_e32 v6, 2, v6
	ds_bpermute_b32 v5, v6, v1
	v_xor_b32_e32 v6, 2, v4
	s_delay_alu instid0(VALU_DEP_1) | instskip(SKIP_2) | instid1(VALU_DEP_1)
	v_cmp_gt_i32_e32 vcc_lo, 32, v6
	v_cndmask_b32_e32 v6, v4, v6, vcc_lo
	s_wait_dscnt 0x0
	v_dual_add_f32 v1, v1, v5 :: v_dual_lshlrev_b32 v6, 2, v6
	ds_bpermute_b32 v5, v6, v1
	v_xor_b32_e32 v6, 1, v4
	s_delay_alu instid0(VALU_DEP_1) | instskip(SKIP_3) | instid1(VALU_DEP_2)
	v_cmp_gt_i32_e32 vcc_lo, 32, v6
	v_cndmask_b32_e32 v4, v4, v6, vcc_lo
	v_cmp_eq_u32_e32 vcc_lo, 63, v0
	s_wait_dscnt 0x0
	v_dual_add_f32 v1, v1, v5 :: v_dual_lshlrev_b32 v4, 2, v4
	ds_bpermute_b32 v4, v4, v1
	s_and_b32 exec_lo, exec_lo, vcc_lo
	s_cbranch_execz .LBB137_14
; %bb.11:
	s_wait_dscnt 0x0
	v_add_f32_e32 v4, v1, v4
	s_wait_kmcnt 0x0
	v_lshl_add_u64 v[0:1], v[2:3], 2, s[0:1]
	s_cmp_eq_f32 s2, 0
	s_cbranch_scc1 .LBB137_13
; %bb.12:
	global_load_b32 v2, v[0:1], off
	s_wait_loadcnt 0x0
	v_fmac_f32_e32 v4, s2, v2
.LBB137_13:
	global_store_b32 v[0:1], v4, off
.LBB137_14:
	s_endpgm
	.section	.rodata,"a",@progbits
	.p2align	6, 0x0
	.amdhsa_kernel _ZN9rocsparseL41csrmvn_lrb_medium_rows_warp_reduce_kernelILj256ELj64Eii18rocsparse_bfloat16S1_ffEEvbT1_lPT2_S4_jNS_24const_host_device_scalarIT6_EEPKS2_PKS3_PKT3_PKT4_S7_PT5_21rocsparse_index_base_b
		.amdhsa_group_segment_fixed_size 0
		.amdhsa_private_segment_fixed_size 0
		.amdhsa_kernarg_size 104
		.amdhsa_user_sgpr_count 2
		.amdhsa_user_sgpr_dispatch_ptr 0
		.amdhsa_user_sgpr_queue_ptr 0
		.amdhsa_user_sgpr_kernarg_segment_ptr 1
		.amdhsa_user_sgpr_dispatch_id 0
		.amdhsa_user_sgpr_kernarg_preload_length 0
		.amdhsa_user_sgpr_kernarg_preload_offset 0
		.amdhsa_user_sgpr_private_segment_size 0
		.amdhsa_wavefront_size32 1
		.amdhsa_uses_dynamic_stack 0
		.amdhsa_enable_private_segment 0
		.amdhsa_system_sgpr_workgroup_id_x 1
		.amdhsa_system_sgpr_workgroup_id_y 0
		.amdhsa_system_sgpr_workgroup_id_z 0
		.amdhsa_system_sgpr_workgroup_info 0
		.amdhsa_system_vgpr_workitem_id 0
		.amdhsa_next_free_vgpr 8
		.amdhsa_next_free_sgpr 14
		.amdhsa_named_barrier_count 0
		.amdhsa_reserve_vcc 1
		.amdhsa_float_round_mode_32 0
		.amdhsa_float_round_mode_16_64 0
		.amdhsa_float_denorm_mode_32 3
		.amdhsa_float_denorm_mode_16_64 3
		.amdhsa_fp16_overflow 0
		.amdhsa_memory_ordered 1
		.amdhsa_forward_progress 1
		.amdhsa_inst_pref_size 7
		.amdhsa_round_robin_scheduling 0
		.amdhsa_exception_fp_ieee_invalid_op 0
		.amdhsa_exception_fp_denorm_src 0
		.amdhsa_exception_fp_ieee_div_zero 0
		.amdhsa_exception_fp_ieee_overflow 0
		.amdhsa_exception_fp_ieee_underflow 0
		.amdhsa_exception_fp_ieee_inexact 0
		.amdhsa_exception_int_div_zero 0
	.end_amdhsa_kernel
	.section	.text._ZN9rocsparseL41csrmvn_lrb_medium_rows_warp_reduce_kernelILj256ELj64Eii18rocsparse_bfloat16S1_ffEEvbT1_lPT2_S4_jNS_24const_host_device_scalarIT6_EEPKS2_PKS3_PKT3_PKT4_S7_PT5_21rocsparse_index_base_b,"axG",@progbits,_ZN9rocsparseL41csrmvn_lrb_medium_rows_warp_reduce_kernelILj256ELj64Eii18rocsparse_bfloat16S1_ffEEvbT1_lPT2_S4_jNS_24const_host_device_scalarIT6_EEPKS2_PKS3_PKT3_PKT4_S7_PT5_21rocsparse_index_base_b,comdat
.Lfunc_end137:
	.size	_ZN9rocsparseL41csrmvn_lrb_medium_rows_warp_reduce_kernelILj256ELj64Eii18rocsparse_bfloat16S1_ffEEvbT1_lPT2_S4_jNS_24const_host_device_scalarIT6_EEPKS2_PKS3_PKT3_PKT4_S7_PT5_21rocsparse_index_base_b, .Lfunc_end137-_ZN9rocsparseL41csrmvn_lrb_medium_rows_warp_reduce_kernelILj256ELj64Eii18rocsparse_bfloat16S1_ffEEvbT1_lPT2_S4_jNS_24const_host_device_scalarIT6_EEPKS2_PKS3_PKT3_PKT4_S7_PT5_21rocsparse_index_base_b
                                        ; -- End function
	.set _ZN9rocsparseL41csrmvn_lrb_medium_rows_warp_reduce_kernelILj256ELj64Eii18rocsparse_bfloat16S1_ffEEvbT1_lPT2_S4_jNS_24const_host_device_scalarIT6_EEPKS2_PKS3_PKT3_PKT4_S7_PT5_21rocsparse_index_base_b.num_vgpr, 8
	.set _ZN9rocsparseL41csrmvn_lrb_medium_rows_warp_reduce_kernelILj256ELj64Eii18rocsparse_bfloat16S1_ffEEvbT1_lPT2_S4_jNS_24const_host_device_scalarIT6_EEPKS2_PKS3_PKT3_PKT4_S7_PT5_21rocsparse_index_base_b.num_agpr, 0
	.set _ZN9rocsparseL41csrmvn_lrb_medium_rows_warp_reduce_kernelILj256ELj64Eii18rocsparse_bfloat16S1_ffEEvbT1_lPT2_S4_jNS_24const_host_device_scalarIT6_EEPKS2_PKS3_PKT3_PKT4_S7_PT5_21rocsparse_index_base_b.numbered_sgpr, 14
	.set _ZN9rocsparseL41csrmvn_lrb_medium_rows_warp_reduce_kernelILj256ELj64Eii18rocsparse_bfloat16S1_ffEEvbT1_lPT2_S4_jNS_24const_host_device_scalarIT6_EEPKS2_PKS3_PKT3_PKT4_S7_PT5_21rocsparse_index_base_b.num_named_barrier, 0
	.set _ZN9rocsparseL41csrmvn_lrb_medium_rows_warp_reduce_kernelILj256ELj64Eii18rocsparse_bfloat16S1_ffEEvbT1_lPT2_S4_jNS_24const_host_device_scalarIT6_EEPKS2_PKS3_PKT3_PKT4_S7_PT5_21rocsparse_index_base_b.private_seg_size, 0
	.set _ZN9rocsparseL41csrmvn_lrb_medium_rows_warp_reduce_kernelILj256ELj64Eii18rocsparse_bfloat16S1_ffEEvbT1_lPT2_S4_jNS_24const_host_device_scalarIT6_EEPKS2_PKS3_PKT3_PKT4_S7_PT5_21rocsparse_index_base_b.uses_vcc, 1
	.set _ZN9rocsparseL41csrmvn_lrb_medium_rows_warp_reduce_kernelILj256ELj64Eii18rocsparse_bfloat16S1_ffEEvbT1_lPT2_S4_jNS_24const_host_device_scalarIT6_EEPKS2_PKS3_PKT3_PKT4_S7_PT5_21rocsparse_index_base_b.uses_flat_scratch, 0
	.set _ZN9rocsparseL41csrmvn_lrb_medium_rows_warp_reduce_kernelILj256ELj64Eii18rocsparse_bfloat16S1_ffEEvbT1_lPT2_S4_jNS_24const_host_device_scalarIT6_EEPKS2_PKS3_PKT3_PKT4_S7_PT5_21rocsparse_index_base_b.has_dyn_sized_stack, 0
	.set _ZN9rocsparseL41csrmvn_lrb_medium_rows_warp_reduce_kernelILj256ELj64Eii18rocsparse_bfloat16S1_ffEEvbT1_lPT2_S4_jNS_24const_host_device_scalarIT6_EEPKS2_PKS3_PKT3_PKT4_S7_PT5_21rocsparse_index_base_b.has_recursion, 0
	.set _ZN9rocsparseL41csrmvn_lrb_medium_rows_warp_reduce_kernelILj256ELj64Eii18rocsparse_bfloat16S1_ffEEvbT1_lPT2_S4_jNS_24const_host_device_scalarIT6_EEPKS2_PKS3_PKT3_PKT4_S7_PT5_21rocsparse_index_base_b.has_indirect_call, 0
	.section	.AMDGPU.csdata,"",@progbits
; Kernel info:
; codeLenInByte = 808
; TotalNumSgprs: 16
; NumVgprs: 8
; ScratchSize: 0
; MemoryBound: 0
; FloatMode: 240
; IeeeMode: 1
; LDSByteSize: 0 bytes/workgroup (compile time only)
; SGPRBlocks: 0
; VGPRBlocks: 0
; NumSGPRsForWavesPerEU: 16
; NumVGPRsForWavesPerEU: 8
; NamedBarCnt: 0
; Occupancy: 16
; WaveLimiterHint : 1
; COMPUTE_PGM_RSRC2:SCRATCH_EN: 0
; COMPUTE_PGM_RSRC2:USER_SGPR: 2
; COMPUTE_PGM_RSRC2:TRAP_HANDLER: 0
; COMPUTE_PGM_RSRC2:TGID_X_EN: 1
; COMPUTE_PGM_RSRC2:TGID_Y_EN: 0
; COMPUTE_PGM_RSRC2:TGID_Z_EN: 0
; COMPUTE_PGM_RSRC2:TIDIG_COMP_CNT: 0
	.section	.text._ZN9rocsparseL29csrmvn_lrb_medium_rows_kernelILj256Eii18rocsparse_bfloat16S1_ffEEvbT0_PT1_S4_jNS_24const_host_device_scalarIT5_EEPKS2_PKS3_PKT2_PKT3_S7_PT4_21rocsparse_index_base_b,"axG",@progbits,_ZN9rocsparseL29csrmvn_lrb_medium_rows_kernelILj256Eii18rocsparse_bfloat16S1_ffEEvbT0_PT1_S4_jNS_24const_host_device_scalarIT5_EEPKS2_PKS3_PKT2_PKT3_S7_PT4_21rocsparse_index_base_b,comdat
	.globl	_ZN9rocsparseL29csrmvn_lrb_medium_rows_kernelILj256Eii18rocsparse_bfloat16S1_ffEEvbT0_PT1_S4_jNS_24const_host_device_scalarIT5_EEPKS2_PKS3_PKT2_PKT3_S7_PT4_21rocsparse_index_base_b ; -- Begin function _ZN9rocsparseL29csrmvn_lrb_medium_rows_kernelILj256Eii18rocsparse_bfloat16S1_ffEEvbT0_PT1_S4_jNS_24const_host_device_scalarIT5_EEPKS2_PKS3_PKT2_PKT3_S7_PT4_21rocsparse_index_base_b
	.p2align	8
	.type	_ZN9rocsparseL29csrmvn_lrb_medium_rows_kernelILj256Eii18rocsparse_bfloat16S1_ffEEvbT0_PT1_S4_jNS_24const_host_device_scalarIT5_EEPKS2_PKS3_PKT2_PKT3_S7_PT4_21rocsparse_index_base_b,@function
_ZN9rocsparseL29csrmvn_lrb_medium_rows_kernelILj256Eii18rocsparse_bfloat16S1_ffEEvbT0_PT1_S4_jNS_24const_host_device_scalarIT5_EEPKS2_PKS3_PKT2_PKT3_S7_PT4_21rocsparse_index_base_b: ; @_ZN9rocsparseL29csrmvn_lrb_medium_rows_kernelILj256Eii18rocsparse_bfloat16S1_ffEEvbT0_PT1_S4_jNS_24const_host_device_scalarIT5_EEPKS2_PKS3_PKT2_PKT3_S7_PT4_21rocsparse_index_base_b
; %bb.0:
	s_clause 0x2
	s_load_b64 s[10:11], s[0:1], 0x58
	s_load_b64 s[12:13], s[0:1], 0x20
	;; [unrolled: 1-line block ×3, first 2 shown]
	s_wait_kmcnt 0x0
	s_bitcmp1_b32 s11, 0
	s_cselect_b32 s4, -1, 0
	s_delay_alu instid0(SALU_CYCLE_1)
	s_and_b32 vcc_lo, exec_lo, s4
	s_xor_b32 s4, s4, -1
	s_cbranch_vccnz .LBB138_2
; %bb.1:
	s_load_b32 s12, s[12:13], 0x0
.LBB138_2:
	s_and_not1_b32 vcc_lo, exec_lo, s4
	s_cbranch_vccnz .LBB138_4
; %bb.3:
	s_load_b32 s2, s[2:3], 0x0
.LBB138_4:
	s_wait_kmcnt 0x0
	s_cmp_neq_f32 s12, 0
	s_cselect_b32 s3, -1, 0
	s_cmp_neq_f32 s2, 1.0
	s_cselect_b32 s4, -1, 0
	s_delay_alu instid0(SALU_CYCLE_1) | instskip(NEXT) | instid1(SALU_CYCLE_1)
	s_or_b32 s3, s3, s4
	s_and_not1_b32 vcc_lo, exec_lo, s3
	s_cbranch_vccnz .LBB138_29
; %bb.5:
	s_clause 0x1
	s_load_b128 s[4:7], s[0:1], 0x8
	s_load_b32 s3, s[0:1], 0x18
	s_getreg_b32 s8, hwreg(HW_REG_IB_STS2, 6, 4)
	v_subrev_nc_u32_e32 v1, s10, v0
	v_mov_b32_e32 v2, 0
	s_wait_kmcnt 0x0
	s_load_b32 s3, s[6:7], s3 offset:0x0 scale_offset
	s_wait_xcnt 0x0
	s_bfe_u32 s6, ttmp6, 0x4000c
	s_and_b32 s7, ttmp6, 15
	s_add_co_i32 s6, s6, 1
	s_delay_alu instid0(SALU_CYCLE_1) | instskip(NEXT) | instid1(SALU_CYCLE_1)
	s_mul_i32 s6, ttmp9, s6
	s_add_co_i32 s7, s7, s6
	s_cmp_eq_u32 s8, 0
	s_cselect_b32 s6, ttmp9, s7
	s_wait_kmcnt 0x0
	s_add_co_i32 s6, s3, s6
	s_mov_b32 s3, exec_lo
	s_ashr_i32 s7, s6, 31
	s_delay_alu instid0(SALU_CYCLE_1) | instskip(NEXT) | instid1(SALU_CYCLE_1)
	s_lshl_b64 s[6:7], s[6:7], 2
	s_add_nc_u64 s[4:5], s[4:5], s[6:7]
	s_load_b32 s6, s[4:5], 0x0
	s_load_b64 s[14:15], s[0:1], 0x28
	s_wait_kmcnt 0x0
	s_ashr_i32 s7, s6, 31
	s_delay_alu instid0(SALU_CYCLE_1) | instskip(NEXT) | instid1(SALU_CYCLE_1)
	s_lshl_b64 s[8:9], s[6:7], 2
	s_add_nc_u64 s[4:5], s[14:15], s[8:9]
	s_load_b64 s[6:7], s[4:5], 0x0
	s_wait_kmcnt 0x0
	v_add_nc_u32_e32 v1, s6, v1
	s_sub_co_i32 s11, s7, s10
	s_delay_alu instid0(VALU_DEP_1) | instid1(SALU_CYCLE_1)
	v_cmpx_gt_i32_e64 s11, v1
	s_cbranch_execz .LBB138_9
; %bb.6:
	s_clause 0x1
	s_load_b128 s[4:7], s[0:1], 0x30
	s_load_b64 s[14:15], s[0:1], 0x40
	v_mov_b32_e32 v2, 0
	s_mov_b32 s13, 0
.LBB138_7:                              ; =>This Inner Loop Header: Depth=1
	s_wait_kmcnt 0x0
	s_clause 0x1
	global_load_b32 v3, v1, s[4:5] scale_offset
	global_load_u16 v4, v1, s[6:7] scale_offset
	s_wait_loadcnt 0x1
	v_subrev_nc_u32_e32 v3, s10, v3
	s_wait_loadcnt 0x0
	v_lshlrev_b32_e32 v4, 16, v4
	v_add_nc_u32_e32 v1, 0x100, v1
	global_load_u16 v3, v3, s[14:15] scale_offset
	v_mul_f32_e32 v4, s12, v4
	v_cmp_le_i32_e32 vcc_lo, s11, v1
	s_or_b32 s13, vcc_lo, s13
	s_wait_loadcnt 0x0
	s_delay_alu instid0(VALU_DEP_2)
	v_fma_mix_f32_bf16 v2, v4, v3, v2 op_sel_hi:[0,1,0]
	s_and_not1_b32 exec_lo, exec_lo, s13
	s_cbranch_execnz .LBB138_7
; %bb.8:
	s_or_b32 exec_lo, exec_lo, s13
.LBB138_9:
	s_delay_alu instid0(SALU_CYCLE_1)
	s_or_b32 exec_lo, exec_lo, s3
	s_load_b64 s[0:1], s[0:1], 0x50
	v_lshlrev_b32_e32 v1, 2, v0
	s_mov_b32 s3, exec_lo
	ds_store_b32 v1, v2
	s_wait_dscnt 0x0
	s_barrier_signal -1
	s_barrier_wait -1
	v_cmpx_gt_u32_e32 0x80, v0
	s_cbranch_execz .LBB138_11
; %bb.10:
	ds_load_2addr_stride64_b32 v[2:3], v1 offset1:2
	s_wait_dscnt 0x0
	v_add_f32_e32 v2, v2, v3
	ds_store_b32 v1, v2
.LBB138_11:
	s_or_b32 exec_lo, exec_lo, s3
	s_delay_alu instid0(SALU_CYCLE_1)
	s_mov_b32 s3, exec_lo
	s_wait_dscnt 0x0
	s_barrier_signal -1
	s_barrier_wait -1
	v_cmpx_gt_u32_e32 64, v0
	s_cbranch_execz .LBB138_13
; %bb.12:
	ds_load_2addr_stride64_b32 v[2:3], v1 offset1:1
	s_wait_dscnt 0x0
	v_add_f32_e32 v2, v2, v3
	ds_store_b32 v1, v2
.LBB138_13:
	s_or_b32 exec_lo, exec_lo, s3
	s_delay_alu instid0(SALU_CYCLE_1)
	s_mov_b32 s3, exec_lo
	s_wait_dscnt 0x0
	s_barrier_signal -1
	s_barrier_wait -1
	v_cmpx_gt_u32_e32 32, v0
	s_cbranch_execz .LBB138_15
; %bb.14:
	ds_load_2addr_b32 v[2:3], v1 offset1:32
	s_wait_dscnt 0x0
	v_add_f32_e32 v2, v2, v3
	ds_store_b32 v1, v2
.LBB138_15:
	s_or_b32 exec_lo, exec_lo, s3
	s_delay_alu instid0(SALU_CYCLE_1)
	s_mov_b32 s3, exec_lo
	s_wait_dscnt 0x0
	s_barrier_signal -1
	s_barrier_wait -1
	v_cmpx_gt_u32_e32 16, v0
	s_cbranch_execz .LBB138_17
; %bb.16:
	ds_load_2addr_b32 v[2:3], v1 offset1:16
	s_wait_dscnt 0x0
	v_add_f32_e32 v2, v2, v3
	ds_store_b32 v1, v2
.LBB138_17:
	;; [unrolled: 14-line block ×5, first 2 shown]
	s_or_b32 exec_lo, exec_lo, s3
	v_cmp_eq_u32_e32 vcc_lo, 0, v0
	s_wait_dscnt 0x0
	s_barrier_signal -1
	s_barrier_wait -1
	s_and_saveexec_b32 s3, vcc_lo
	s_cbranch_execz .LBB138_25
; %bb.24:
	v_mov_b32_e32 v2, 0
	ds_load_b64 v[0:1], v2
	s_wait_dscnt 0x0
	v_add_f32_e32 v0, v0, v1
	ds_store_b32 v2, v0
.LBB138_25:
	s_or_b32 exec_lo, exec_lo, s3
	s_wait_dscnt 0x0
	s_barrier_signal -1
	s_barrier_wait -1
	s_and_saveexec_b32 s3, vcc_lo
	s_cbranch_execz .LBB138_29
; %bb.26:
	v_mov_b32_e32 v0, 0
	s_cmp_eq_f32 s2, 0
	ds_load_b32 v1, v0
	s_cbranch_scc1 .LBB138_28
; %bb.27:
	s_wait_kmcnt 0x0
	s_add_nc_u64 s[4:5], s[0:1], s[8:9]
	s_load_b32 s3, s[4:5], 0x0
	s_wait_dscnt 0x0
	s_wait_kmcnt 0x0
	v_fmac_f32_e64 v1, s2, s3
.LBB138_28:
	s_wait_kmcnt 0x0
	s_add_nc_u64 s[0:1], s[0:1], s[8:9]
	s_wait_dscnt 0x0
	global_store_b32 v0, v1, s[0:1]
.LBB138_29:
	s_endpgm
	.section	.rodata,"a",@progbits
	.p2align	6, 0x0
	.amdhsa_kernel _ZN9rocsparseL29csrmvn_lrb_medium_rows_kernelILj256Eii18rocsparse_bfloat16S1_ffEEvbT0_PT1_S4_jNS_24const_host_device_scalarIT5_EEPKS2_PKS3_PKT2_PKT3_S7_PT4_21rocsparse_index_base_b
		.amdhsa_group_segment_fixed_size 1024
		.amdhsa_private_segment_fixed_size 0
		.amdhsa_kernarg_size 96
		.amdhsa_user_sgpr_count 2
		.amdhsa_user_sgpr_dispatch_ptr 0
		.amdhsa_user_sgpr_queue_ptr 0
		.amdhsa_user_sgpr_kernarg_segment_ptr 1
		.amdhsa_user_sgpr_dispatch_id 0
		.amdhsa_user_sgpr_kernarg_preload_length 0
		.amdhsa_user_sgpr_kernarg_preload_offset 0
		.amdhsa_user_sgpr_private_segment_size 0
		.amdhsa_wavefront_size32 1
		.amdhsa_uses_dynamic_stack 0
		.amdhsa_enable_private_segment 0
		.amdhsa_system_sgpr_workgroup_id_x 1
		.amdhsa_system_sgpr_workgroup_id_y 0
		.amdhsa_system_sgpr_workgroup_id_z 0
		.amdhsa_system_sgpr_workgroup_info 0
		.amdhsa_system_vgpr_workitem_id 0
		.amdhsa_next_free_vgpr 5
		.amdhsa_next_free_sgpr 16
		.amdhsa_named_barrier_count 0
		.amdhsa_reserve_vcc 1
		.amdhsa_float_round_mode_32 0
		.amdhsa_float_round_mode_16_64 0
		.amdhsa_float_denorm_mode_32 3
		.amdhsa_float_denorm_mode_16_64 3
		.amdhsa_fp16_overflow 0
		.amdhsa_memory_ordered 1
		.amdhsa_forward_progress 1
		.amdhsa_inst_pref_size 8
		.amdhsa_round_robin_scheduling 0
		.amdhsa_exception_fp_ieee_invalid_op 0
		.amdhsa_exception_fp_denorm_src 0
		.amdhsa_exception_fp_ieee_div_zero 0
		.amdhsa_exception_fp_ieee_overflow 0
		.amdhsa_exception_fp_ieee_underflow 0
		.amdhsa_exception_fp_ieee_inexact 0
		.amdhsa_exception_int_div_zero 0
	.end_amdhsa_kernel
	.section	.text._ZN9rocsparseL29csrmvn_lrb_medium_rows_kernelILj256Eii18rocsparse_bfloat16S1_ffEEvbT0_PT1_S4_jNS_24const_host_device_scalarIT5_EEPKS2_PKS3_PKT2_PKT3_S7_PT4_21rocsparse_index_base_b,"axG",@progbits,_ZN9rocsparseL29csrmvn_lrb_medium_rows_kernelILj256Eii18rocsparse_bfloat16S1_ffEEvbT0_PT1_S4_jNS_24const_host_device_scalarIT5_EEPKS2_PKS3_PKT2_PKT3_S7_PT4_21rocsparse_index_base_b,comdat
.Lfunc_end138:
	.size	_ZN9rocsparseL29csrmvn_lrb_medium_rows_kernelILj256Eii18rocsparse_bfloat16S1_ffEEvbT0_PT1_S4_jNS_24const_host_device_scalarIT5_EEPKS2_PKS3_PKT2_PKT3_S7_PT4_21rocsparse_index_base_b, .Lfunc_end138-_ZN9rocsparseL29csrmvn_lrb_medium_rows_kernelILj256Eii18rocsparse_bfloat16S1_ffEEvbT0_PT1_S4_jNS_24const_host_device_scalarIT5_EEPKS2_PKS3_PKT2_PKT3_S7_PT4_21rocsparse_index_base_b
                                        ; -- End function
	.set _ZN9rocsparseL29csrmvn_lrb_medium_rows_kernelILj256Eii18rocsparse_bfloat16S1_ffEEvbT0_PT1_S4_jNS_24const_host_device_scalarIT5_EEPKS2_PKS3_PKT2_PKT3_S7_PT4_21rocsparse_index_base_b.num_vgpr, 5
	.set _ZN9rocsparseL29csrmvn_lrb_medium_rows_kernelILj256Eii18rocsparse_bfloat16S1_ffEEvbT0_PT1_S4_jNS_24const_host_device_scalarIT5_EEPKS2_PKS3_PKT2_PKT3_S7_PT4_21rocsparse_index_base_b.num_agpr, 0
	.set _ZN9rocsparseL29csrmvn_lrb_medium_rows_kernelILj256Eii18rocsparse_bfloat16S1_ffEEvbT0_PT1_S4_jNS_24const_host_device_scalarIT5_EEPKS2_PKS3_PKT2_PKT3_S7_PT4_21rocsparse_index_base_b.numbered_sgpr, 16
	.set _ZN9rocsparseL29csrmvn_lrb_medium_rows_kernelILj256Eii18rocsparse_bfloat16S1_ffEEvbT0_PT1_S4_jNS_24const_host_device_scalarIT5_EEPKS2_PKS3_PKT2_PKT3_S7_PT4_21rocsparse_index_base_b.num_named_barrier, 0
	.set _ZN9rocsparseL29csrmvn_lrb_medium_rows_kernelILj256Eii18rocsparse_bfloat16S1_ffEEvbT0_PT1_S4_jNS_24const_host_device_scalarIT5_EEPKS2_PKS3_PKT2_PKT3_S7_PT4_21rocsparse_index_base_b.private_seg_size, 0
	.set _ZN9rocsparseL29csrmvn_lrb_medium_rows_kernelILj256Eii18rocsparse_bfloat16S1_ffEEvbT0_PT1_S4_jNS_24const_host_device_scalarIT5_EEPKS2_PKS3_PKT2_PKT3_S7_PT4_21rocsparse_index_base_b.uses_vcc, 1
	.set _ZN9rocsparseL29csrmvn_lrb_medium_rows_kernelILj256Eii18rocsparse_bfloat16S1_ffEEvbT0_PT1_S4_jNS_24const_host_device_scalarIT5_EEPKS2_PKS3_PKT2_PKT3_S7_PT4_21rocsparse_index_base_b.uses_flat_scratch, 0
	.set _ZN9rocsparseL29csrmvn_lrb_medium_rows_kernelILj256Eii18rocsparse_bfloat16S1_ffEEvbT0_PT1_S4_jNS_24const_host_device_scalarIT5_EEPKS2_PKS3_PKT2_PKT3_S7_PT4_21rocsparse_index_base_b.has_dyn_sized_stack, 0
	.set _ZN9rocsparseL29csrmvn_lrb_medium_rows_kernelILj256Eii18rocsparse_bfloat16S1_ffEEvbT0_PT1_S4_jNS_24const_host_device_scalarIT5_EEPKS2_PKS3_PKT2_PKT3_S7_PT4_21rocsparse_index_base_b.has_recursion, 0
	.set _ZN9rocsparseL29csrmvn_lrb_medium_rows_kernelILj256Eii18rocsparse_bfloat16S1_ffEEvbT0_PT1_S4_jNS_24const_host_device_scalarIT5_EEPKS2_PKS3_PKT2_PKT3_S7_PT4_21rocsparse_index_base_b.has_indirect_call, 0
	.section	.AMDGPU.csdata,"",@progbits
; Kernel info:
; codeLenInByte = 1012
; TotalNumSgprs: 18
; NumVgprs: 5
; ScratchSize: 0
; MemoryBound: 0
; FloatMode: 240
; IeeeMode: 1
; LDSByteSize: 1024 bytes/workgroup (compile time only)
; SGPRBlocks: 0
; VGPRBlocks: 0
; NumSGPRsForWavesPerEU: 18
; NumVGPRsForWavesPerEU: 5
; NamedBarCnt: 0
; Occupancy: 16
; WaveLimiterHint : 1
; COMPUTE_PGM_RSRC2:SCRATCH_EN: 0
; COMPUTE_PGM_RSRC2:USER_SGPR: 2
; COMPUTE_PGM_RSRC2:TRAP_HANDLER: 0
; COMPUTE_PGM_RSRC2:TGID_X_EN: 1
; COMPUTE_PGM_RSRC2:TGID_Y_EN: 0
; COMPUTE_PGM_RSRC2:TGID_Z_EN: 0
; COMPUTE_PGM_RSRC2:TIDIG_COMP_CNT: 0
	.section	.text._ZN9rocsparseL27csrmvn_lrb_long_rows_kernelIii18rocsparse_bfloat16S1_ffEEvbT_PjPT0_S5_jNS_24const_host_device_scalarIT4_EEPKS2_PKS4_PKT1_PKT2_S8_PT3_21rocsparse_index_base_b,"axG",@progbits,_ZN9rocsparseL27csrmvn_lrb_long_rows_kernelIii18rocsparse_bfloat16S1_ffEEvbT_PjPT0_S5_jNS_24const_host_device_scalarIT4_EEPKS2_PKS4_PKT1_PKT2_S8_PT3_21rocsparse_index_base_b,comdat
	.globl	_ZN9rocsparseL27csrmvn_lrb_long_rows_kernelIii18rocsparse_bfloat16S1_ffEEvbT_PjPT0_S5_jNS_24const_host_device_scalarIT4_EEPKS2_PKS4_PKT1_PKT2_S8_PT3_21rocsparse_index_base_b ; -- Begin function _ZN9rocsparseL27csrmvn_lrb_long_rows_kernelIii18rocsparse_bfloat16S1_ffEEvbT_PjPT0_S5_jNS_24const_host_device_scalarIT4_EEPKS2_PKS4_PKT1_PKT2_S8_PT3_21rocsparse_index_base_b
	.p2align	8
	.type	_ZN9rocsparseL27csrmvn_lrb_long_rows_kernelIii18rocsparse_bfloat16S1_ffEEvbT_PjPT0_S5_jNS_24const_host_device_scalarIT4_EEPKS2_PKS4_PKT1_PKT2_S8_PT3_21rocsparse_index_base_b,@function
_ZN9rocsparseL27csrmvn_lrb_long_rows_kernelIii18rocsparse_bfloat16S1_ffEEvbT_PjPT0_S5_jNS_24const_host_device_scalarIT4_EEPKS2_PKS4_PKT1_PKT2_S8_PT3_21rocsparse_index_base_b: ; @_ZN9rocsparseL27csrmvn_lrb_long_rows_kernelIii18rocsparse_bfloat16S1_ffEEvbT_PjPT0_S5_jNS_24const_host_device_scalarIT4_EEPKS2_PKS4_PKT1_PKT2_S8_PT3_21rocsparse_index_base_b
; %bb.0:
	s_clause 0x2
	s_load_b64 s[16:17], s[0:1], 0x60
	s_load_b64 s[18:19], s[0:1], 0x28
	;; [unrolled: 1-line block ×3, first 2 shown]
	s_wait_kmcnt 0x0
	s_bitcmp1_b32 s17, 0
	s_cselect_b32 s2, -1, 0
	s_delay_alu instid0(SALU_CYCLE_1)
	s_and_b32 vcc_lo, exec_lo, s2
	s_xor_b32 s2, s2, -1
	s_cbranch_vccnz .LBB139_2
; %bb.1:
	s_load_b32 s18, s[18:19], 0x0
.LBB139_2:
	s_and_not1_b32 vcc_lo, exec_lo, s2
	s_cbranch_vccnz .LBB139_4
; %bb.3:
	s_load_b32 s8, s[8:9], 0x0
.LBB139_4:
	s_wait_kmcnt 0x0
	s_cmp_neq_f32 s18, 0
	s_cselect_b32 s2, -1, 0
	s_cmp_neq_f32 s8, 1.0
	s_cselect_b32 s3, -1, 0
	s_delay_alu instid0(SALU_CYCLE_1) | instskip(NEXT) | instid1(SALU_CYCLE_1)
	s_or_b32 s2, s2, s3
	s_and_not1_b32 vcc_lo, exec_lo, s2
	s_cbranch_vccnz .LBB139_38
; %bb.5:
	s_load_b96 s[4:6], s[0:1], 0x18
	s_bfe_u32 s10, ttmp6, 0x4000c
	s_and_b32 s7, ttmp6, 15
	s_add_co_i32 s10, s10, 1
	s_getreg_b32 s11, hwreg(HW_REG_IB_STS2, 6, 4)
	s_mul_i32 s10, ttmp9, s10
	v_mov_b32_e32 v2, 0
	s_add_co_i32 s7, s7, s10
	s_wait_kmcnt 0x0
	s_lshl_b32 s2, -1, s6
	s_load_b32 s10, s[4:5], s6 offset:0x0 scale_offset
	s_not_b32 s2, s2
	s_delay_alu instid0(SALU_CYCLE_1) | instskip(NEXT) | instid1(SALU_CYCLE_1)
	s_mul_hi_u32 s2, s2, 0x2aaaaaab
	s_lshr_b32 s2, s2, 7
	s_delay_alu instid0(SALU_CYCLE_1) | instskip(SKIP_2) | instid1(SALU_CYCLE_3)
	s_add_co_i32 s9, s2, 1
	s_not_b32 s2, s2
	s_cvt_f32_u32 s3, s9
	v_rcp_iflag_f32_e32 v1, s3
	v_nop
	s_delay_alu instid0(TRANS32_DEP_1) | instskip(SKIP_1) | instid1(SALU_CYCLE_3)
	v_readfirstlane_b32 s3, v1
	s_mul_f32 s3, s3, 0x4f7ffffe
	s_cvt_u32_f32 s3, s3
	s_delay_alu instid0(SALU_CYCLE_3) | instskip(NEXT) | instid1(SALU_CYCLE_1)
	s_mul_i32 s2, s2, s3
	s_mul_hi_u32 s2, s3, s2
	s_delay_alu instid0(SALU_CYCLE_1)
	s_add_co_i32 s3, s3, s2
	s_cmp_eq_u32 s11, 0
	s_cselect_b32 s20, ttmp9, s7
	s_wait_xcnt 0x0
	s_load_b128 s[4:7], s[0:1], 0x8
	s_mul_hi_u32 s2, s20, s3
	s_delay_alu instid0(SALU_CYCLE_1) | instskip(SKIP_2) | instid1(SALU_CYCLE_1)
	s_mul_i32 s3, s2, s9
	s_add_co_i32 s11, s2, 1
	s_sub_co_i32 s3, s20, s3
	s_sub_co_i32 s12, s3, s9
	s_cmp_ge_u32 s3, s9
	s_cselect_b32 s2, s11, s2
	s_cselect_b32 s3, s12, s3
	s_add_co_i32 s11, s2, 1
	s_cmp_ge_u32 s3, s9
	s_cselect_b32 s19, s11, s2
	s_ashr_i32 s21, s20, 31
	s_wait_kmcnt 0x0
	s_add_co_i32 s2, s19, s10
	s_delay_alu instid0(SALU_CYCLE_1) | instskip(NEXT) | instid1(SALU_CYCLE_1)
	s_ashr_i32 s3, s2, 31
	s_lshl_b64 s[2:3], s[2:3], 2
	s_delay_alu instid0(SALU_CYCLE_1)
	s_add_nc_u64 s[6:7], s[6:7], s[2:3]
	s_load_b32 s10, s[6:7], 0x0
	s_clause 0x1
	s_load_b64 s[12:13], s[0:1], 0x30
	s_load_b64 s[2:3], s[0:1], 0x58
	s_wait_kmcnt 0x0
	s_ashr_i32 s11, s10, 31
	s_delay_alu instid0(SALU_CYCLE_1)
	s_lshl_b64 s[6:7], s[10:11], 2
	s_lshl_b64 s[10:11], s[20:21], 2
	s_add_nc_u64 s[14:15], s[12:13], s[6:7]
	s_add_nc_u64 s[12:13], s[4:5], s[10:11]
	s_load_b64 s[10:11], s[14:15], 0x0
	s_load_b32 s17, s[12:13], 0x0
	s_wait_xcnt 0x0
	s_mul_i32 s14, s19, s9
	s_mov_b32 s9, exec_lo
	s_sub_co_i32 s15, s20, s14
	s_delay_alu instid0(SALU_CYCLE_1) | instskip(NEXT) | instid1(VALU_DEP_1)
	v_or_b32_e32 v1, s15, v0
	v_cmpx_eq_u32_e32 0, v1
	s_cbranch_execz .LBB139_9
; %bb.6:
	s_add_nc_u64 s[20:21], s[2:3], s[6:7]
	s_add_f32 s8, s8, -1.0
	s_load_b32 s20, s[20:21], 0x0
	s_mov_b32 s19, exec_lo
	global_wb scope:SCOPE_DEV
	s_wait_storecnt 0x0
	global_inv scope:SCOPE_DEV
	v_mbcnt_lo_u32_b32 v1, s19, 0
	s_wait_kmcnt 0x0
	s_mul_f32 s8, s8, s20
	s_mov_b32 s20, exec_lo
	s_delay_alu instid0(VALU_DEP_1)
	v_cmpx_eq_u32_e32 0, v1
	s_cbranch_execz .LBB139_8
; %bb.7:
	s_bcnt1_i32_b32 s19, s19
	s_delay_alu instid0(SALU_CYCLE_1) | instskip(NEXT) | instid1(SALU_CYCLE_1)
	s_and_b32 s19, s19, 1
	v_dual_mov_b32 v1, s14 :: v_dual_mov_b32 v2, s19
	global_atomic_xor_b32 v1, v2, s[4:5] scale_offset scope:SCOPE_DEV
.LBB139_8:
	s_wait_xcnt 0x0
	s_or_b32 exec_lo, exec_lo, s20
	v_mov_b32_e32 v2, s8
.LBB139_9:
	s_or_b32 exec_lo, exec_lo, s9
	s_mul_i32 s8, s15, 0x300
	s_wait_kmcnt 0x0
	s_sub_co_i32 s9, s11, s16
	s_sub_co_i32 s8, s8, s16
	s_mov_b32 s19, exec_lo
	s_add_co_i32 s8, s8, s10
	s_delay_alu instid0(SALU_CYCLE_1) | instskip(SKIP_1) | instid1(SALU_CYCLE_1)
	v_add_nc_u32_e32 v1, s8, v0
	s_addk_co_i32 s8, 0x300
	s_min_i32 s22, s8, s9
	s_delay_alu instid0(VALU_DEP_1) | instid1(SALU_CYCLE_1)
	v_cmpx_gt_i32_e64 s22, v1
	s_cbranch_execz .LBB139_13
; %bb.10:
	s_clause 0x1
	s_load_b64 s[20:21], s[0:1], 0x48
	s_load_b128 s[8:11], s[0:1], 0x38
	s_wait_xcnt 0x0
	s_mov_b32 s0, 0
.LBB139_11:                             ; =>This Inner Loop Header: Depth=1
	s_wait_kmcnt 0x0
	s_clause 0x1
	global_load_b32 v3, v1, s[8:9] scale_offset
	global_load_u16 v4, v1, s[10:11] scale_offset
	s_wait_loadcnt 0x1
	v_subrev_nc_u32_e32 v3, s16, v3
	s_wait_loadcnt 0x0
	v_lshlrev_b32_e32 v4, 16, v4
	s_wait_xcnt 0x0
	v_add_nc_u32_e32 v1, 0x100, v1
	global_load_u16 v3, v3, s[20:21] scale_offset
	v_mul_f32_e32 v4, s18, v4
	v_cmp_le_i32_e32 vcc_lo, s22, v1
	s_or_b32 s0, vcc_lo, s0
	s_wait_loadcnt 0x0
	s_delay_alu instid0(VALU_DEP_2)
	v_fma_mix_f32_bf16 v2, v4, v3, v2 op_sel_hi:[0,1,0]
	s_wait_xcnt 0x0
	s_and_not1_b32 exec_lo, exec_lo, s0
	s_cbranch_execnz .LBB139_11
; %bb.12:
	s_or_b32 exec_lo, exec_lo, s0
.LBB139_13:
	s_delay_alu instid0(SALU_CYCLE_1)
	s_or_b32 exec_lo, exec_lo, s19
	v_lshlrev_b32_e32 v1, 2, v0
	s_mov_b32 s0, exec_lo
	ds_store_b32 v1, v2
	s_wait_storecnt 0x0
	s_wait_loadcnt_dscnt 0x0
	s_barrier_signal -1
	s_barrier_wait -1
	v_cmpx_gt_u32_e32 0x80, v0
	s_cbranch_execz .LBB139_15
; %bb.14:
	ds_load_2addr_stride64_b32 v[2:3], v1 offset1:2
	s_wait_dscnt 0x0
	v_add_f32_e32 v2, v2, v3
	ds_store_b32 v1, v2
.LBB139_15:
	s_or_b32 exec_lo, exec_lo, s0
	s_delay_alu instid0(SALU_CYCLE_1)
	s_mov_b32 s0, exec_lo
	s_wait_dscnt 0x0
	s_barrier_signal -1
	s_barrier_wait -1
	v_cmpx_gt_u32_e32 64, v0
	s_cbranch_execz .LBB139_17
; %bb.16:
	ds_load_2addr_stride64_b32 v[2:3], v1 offset1:1
	s_wait_dscnt 0x0
	v_add_f32_e32 v2, v2, v3
	ds_store_b32 v1, v2
.LBB139_17:
	s_or_b32 exec_lo, exec_lo, s0
	s_delay_alu instid0(SALU_CYCLE_1)
	s_mov_b32 s0, exec_lo
	s_wait_dscnt 0x0
	s_barrier_signal -1
	s_barrier_wait -1
	v_cmpx_gt_u32_e32 32, v0
	s_cbranch_execz .LBB139_19
; %bb.18:
	ds_load_2addr_b32 v[2:3], v1 offset1:32
	s_wait_dscnt 0x0
	v_add_f32_e32 v2, v2, v3
	ds_store_b32 v1, v2
.LBB139_19:
	s_or_b32 exec_lo, exec_lo, s0
	s_delay_alu instid0(SALU_CYCLE_1)
	s_mov_b32 s0, exec_lo
	s_wait_dscnt 0x0
	s_barrier_signal -1
	s_barrier_wait -1
	v_cmpx_gt_u32_e32 16, v0
	s_cbranch_execz .LBB139_21
; %bb.20:
	ds_load_2addr_b32 v[2:3], v1 offset1:16
	s_wait_dscnt 0x0
	v_add_f32_e32 v2, v2, v3
	ds_store_b32 v1, v2
.LBB139_21:
	;; [unrolled: 14-line block ×5, first 2 shown]
	s_or_b32 exec_lo, exec_lo, s0
	v_cmp_eq_u32_e32 vcc_lo, 0, v0
	s_wait_dscnt 0x0
	s_barrier_signal -1
	s_barrier_wait -1
	s_and_saveexec_b32 s0, vcc_lo
	s_cbranch_execz .LBB139_29
; %bb.28:
	v_mov_b32_e32 v2, 0
	ds_load_b64 v[0:1], v2
	s_wait_dscnt 0x0
	v_add_f32_e32 v0, v0, v1
	ds_store_b32 v2, v0
.LBB139_29:
	s_or_b32 exec_lo, exec_lo, s0
	s_wait_dscnt 0x0
	s_barrier_signal -1
	s_barrier_wait -1
	s_and_saveexec_b32 s0, vcc_lo
	s_cbranch_execz .LBB139_38
; %bb.30:
	s_cmp_eq_u32 s15, 0
	s_cbranch_scc1 .LBB139_36
; %bb.31:
	s_ashr_i32 s15, s14, 31
	v_mov_b32_e32 v0, 0
	s_lshl_b64 s[0:1], s[14:15], 2
	s_delay_alu instid0(SALU_CYCLE_1)
	s_add_nc_u64 s[0:1], s[4:5], s[0:1]
	s_branch .LBB139_33
.LBB139_32:                             ;   in Loop: Header=BB139_33 Depth=1
	s_wait_xcnt 0x0
	s_or_b32 exec_lo, exec_lo, s4
	s_wait_loadcnt 0x0
	v_readfirstlane_b32 s4, v1
	s_cmp_eq_u32 s4, s17
	s_cbranch_scc0 .LBB139_35
.LBB139_33:                             ; =>This Inner Loop Header: Depth=1
	v_mbcnt_lo_u32_b32 v1, exec_lo, 0
	s_delay_alu instid0(VALU_DEP_1)
	v_cmp_eq_u32_e32 vcc_lo, 0, v1
                                        ; implicit-def: $vgpr1
	s_and_saveexec_b32 s4, vcc_lo
	s_cbranch_execz .LBB139_32
; %bb.34:                               ;   in Loop: Header=BB139_33 Depth=1
	global_load_b32 v1, v0, s[0:1] scope:SCOPE_DEV
	s_branch .LBB139_32
.LBB139_35:
	v_mov_b32_e32 v0, 0
	global_load_u16 v1, v0, s[12:13]
	s_wait_loadcnt 0x0
	v_xor_b32_e32 v1, 1, v1
	global_store_b16 v0, v1, s[12:13]
.LBB139_36:
	s_mov_b32 s0, exec_lo
	s_wait_xcnt 0x0
	v_mbcnt_lo_u32_b32 v0, s0, 0
	s_delay_alu instid0(VALU_DEP_1) | instskip(SKIP_1) | instid1(SALU_CYCLE_1)
	v_cmp_eq_u32_e32 vcc_lo, 0, v0
	s_and_b32 s1, exec_lo, vcc_lo
	s_mov_b32 exec_lo, s1
	s_cbranch_execz .LBB139_38
; %bb.37:
	s_bcnt1_i32_b32 s0, s0
	s_delay_alu instid0(SALU_CYCLE_1)
	v_cvt_f32_ubyte0_e32 v2, s0
	v_mov_b32_e32 v0, 0
	s_add_nc_u64 s[0:1], s[2:3], s[6:7]
	ds_load_b32 v1, v0
	s_wait_dscnt 0x0
	v_mul_f32_e32 v1, v1, v2
	global_atomic_add_f32 v0, v1, s[0:1] scope:SCOPE_DEV
.LBB139_38:
	s_endpgm
	.section	.rodata,"a",@progbits
	.p2align	6, 0x0
	.amdhsa_kernel _ZN9rocsparseL27csrmvn_lrb_long_rows_kernelIii18rocsparse_bfloat16S1_ffEEvbT_PjPT0_S5_jNS_24const_host_device_scalarIT4_EEPKS2_PKS4_PKT1_PKT2_S8_PT3_21rocsparse_index_base_b
		.amdhsa_group_segment_fixed_size 1024
		.amdhsa_private_segment_fixed_size 0
		.amdhsa_kernarg_size 104
		.amdhsa_user_sgpr_count 2
		.amdhsa_user_sgpr_dispatch_ptr 0
		.amdhsa_user_sgpr_queue_ptr 0
		.amdhsa_user_sgpr_kernarg_segment_ptr 1
		.amdhsa_user_sgpr_dispatch_id 0
		.amdhsa_user_sgpr_kernarg_preload_length 0
		.amdhsa_user_sgpr_kernarg_preload_offset 0
		.amdhsa_user_sgpr_private_segment_size 0
		.amdhsa_wavefront_size32 1
		.amdhsa_uses_dynamic_stack 0
		.amdhsa_enable_private_segment 0
		.amdhsa_system_sgpr_workgroup_id_x 1
		.amdhsa_system_sgpr_workgroup_id_y 0
		.amdhsa_system_sgpr_workgroup_id_z 0
		.amdhsa_system_sgpr_workgroup_info 0
		.amdhsa_system_vgpr_workitem_id 0
		.amdhsa_next_free_vgpr 5
		.amdhsa_next_free_sgpr 23
		.amdhsa_named_barrier_count 0
		.amdhsa_reserve_vcc 1
		.amdhsa_float_round_mode_32 0
		.amdhsa_float_round_mode_16_64 0
		.amdhsa_float_denorm_mode_32 3
		.amdhsa_float_denorm_mode_16_64 3
		.amdhsa_fp16_overflow 0
		.amdhsa_memory_ordered 1
		.amdhsa_forward_progress 1
		.amdhsa_inst_pref_size 12
		.amdhsa_round_robin_scheduling 0
		.amdhsa_exception_fp_ieee_invalid_op 0
		.amdhsa_exception_fp_denorm_src 0
		.amdhsa_exception_fp_ieee_div_zero 0
		.amdhsa_exception_fp_ieee_overflow 0
		.amdhsa_exception_fp_ieee_underflow 0
		.amdhsa_exception_fp_ieee_inexact 0
		.amdhsa_exception_int_div_zero 0
	.end_amdhsa_kernel
	.section	.text._ZN9rocsparseL27csrmvn_lrb_long_rows_kernelIii18rocsparse_bfloat16S1_ffEEvbT_PjPT0_S5_jNS_24const_host_device_scalarIT4_EEPKS2_PKS4_PKT1_PKT2_S8_PT3_21rocsparse_index_base_b,"axG",@progbits,_ZN9rocsparseL27csrmvn_lrb_long_rows_kernelIii18rocsparse_bfloat16S1_ffEEvbT_PjPT0_S5_jNS_24const_host_device_scalarIT4_EEPKS2_PKS4_PKT1_PKT2_S8_PT3_21rocsparse_index_base_b,comdat
.Lfunc_end139:
	.size	_ZN9rocsparseL27csrmvn_lrb_long_rows_kernelIii18rocsparse_bfloat16S1_ffEEvbT_PjPT0_S5_jNS_24const_host_device_scalarIT4_EEPKS2_PKS4_PKT1_PKT2_S8_PT3_21rocsparse_index_base_b, .Lfunc_end139-_ZN9rocsparseL27csrmvn_lrb_long_rows_kernelIii18rocsparse_bfloat16S1_ffEEvbT_PjPT0_S5_jNS_24const_host_device_scalarIT4_EEPKS2_PKS4_PKT1_PKT2_S8_PT3_21rocsparse_index_base_b
                                        ; -- End function
	.set _ZN9rocsparseL27csrmvn_lrb_long_rows_kernelIii18rocsparse_bfloat16S1_ffEEvbT_PjPT0_S5_jNS_24const_host_device_scalarIT4_EEPKS2_PKS4_PKT1_PKT2_S8_PT3_21rocsparse_index_base_b.num_vgpr, 5
	.set _ZN9rocsparseL27csrmvn_lrb_long_rows_kernelIii18rocsparse_bfloat16S1_ffEEvbT_PjPT0_S5_jNS_24const_host_device_scalarIT4_EEPKS2_PKS4_PKT1_PKT2_S8_PT3_21rocsparse_index_base_b.num_agpr, 0
	.set _ZN9rocsparseL27csrmvn_lrb_long_rows_kernelIii18rocsparse_bfloat16S1_ffEEvbT_PjPT0_S5_jNS_24const_host_device_scalarIT4_EEPKS2_PKS4_PKT1_PKT2_S8_PT3_21rocsparse_index_base_b.numbered_sgpr, 23
	.set _ZN9rocsparseL27csrmvn_lrb_long_rows_kernelIii18rocsparse_bfloat16S1_ffEEvbT_PjPT0_S5_jNS_24const_host_device_scalarIT4_EEPKS2_PKS4_PKT1_PKT2_S8_PT3_21rocsparse_index_base_b.num_named_barrier, 0
	.set _ZN9rocsparseL27csrmvn_lrb_long_rows_kernelIii18rocsparse_bfloat16S1_ffEEvbT_PjPT0_S5_jNS_24const_host_device_scalarIT4_EEPKS2_PKS4_PKT1_PKT2_S8_PT3_21rocsparse_index_base_b.private_seg_size, 0
	.set _ZN9rocsparseL27csrmvn_lrb_long_rows_kernelIii18rocsparse_bfloat16S1_ffEEvbT_PjPT0_S5_jNS_24const_host_device_scalarIT4_EEPKS2_PKS4_PKT1_PKT2_S8_PT3_21rocsparse_index_base_b.uses_vcc, 1
	.set _ZN9rocsparseL27csrmvn_lrb_long_rows_kernelIii18rocsparse_bfloat16S1_ffEEvbT_PjPT0_S5_jNS_24const_host_device_scalarIT4_EEPKS2_PKS4_PKT1_PKT2_S8_PT3_21rocsparse_index_base_b.uses_flat_scratch, 0
	.set _ZN9rocsparseL27csrmvn_lrb_long_rows_kernelIii18rocsparse_bfloat16S1_ffEEvbT_PjPT0_S5_jNS_24const_host_device_scalarIT4_EEPKS2_PKS4_PKT1_PKT2_S8_PT3_21rocsparse_index_base_b.has_dyn_sized_stack, 0
	.set _ZN9rocsparseL27csrmvn_lrb_long_rows_kernelIii18rocsparse_bfloat16S1_ffEEvbT_PjPT0_S5_jNS_24const_host_device_scalarIT4_EEPKS2_PKS4_PKT1_PKT2_S8_PT3_21rocsparse_index_base_b.has_recursion, 0
	.set _ZN9rocsparseL27csrmvn_lrb_long_rows_kernelIii18rocsparse_bfloat16S1_ffEEvbT_PjPT0_S5_jNS_24const_host_device_scalarIT4_EEPKS2_PKS4_PKT1_PKT2_S8_PT3_21rocsparse_index_base_b.has_indirect_call, 0
	.section	.AMDGPU.csdata,"",@progbits
; Kernel info:
; codeLenInByte = 1504
; TotalNumSgprs: 25
; NumVgprs: 5
; ScratchSize: 0
; MemoryBound: 0
; FloatMode: 240
; IeeeMode: 1
; LDSByteSize: 1024 bytes/workgroup (compile time only)
; SGPRBlocks: 0
; VGPRBlocks: 0
; NumSGPRsForWavesPerEU: 25
; NumVGPRsForWavesPerEU: 5
; NamedBarCnt: 0
; Occupancy: 16
; WaveLimiterHint : 1
; COMPUTE_PGM_RSRC2:SCRATCH_EN: 0
; COMPUTE_PGM_RSRC2:USER_SGPR: 2
; COMPUTE_PGM_RSRC2:TRAP_HANDLER: 0
; COMPUTE_PGM_RSRC2:TGID_X_EN: 1
; COMPUTE_PGM_RSRC2:TGID_Y_EN: 0
; COMPUTE_PGM_RSRC2:TGID_Z_EN: 0
; COMPUTE_PGM_RSRC2:TIDIG_COMP_CNT: 0
	.section	.text._ZN9rocsparseL28csrmvn_lrb_short_rows_kernelIli18rocsparse_bfloat16S1_ffEEvbT_PT0_S4_jNS_24const_host_device_scalarIT4_EEPKS2_PKS3_PKT1_PKT2_S7_PT3_21rocsparse_index_base_b,"axG",@progbits,_ZN9rocsparseL28csrmvn_lrb_short_rows_kernelIli18rocsparse_bfloat16S1_ffEEvbT_PT0_S4_jNS_24const_host_device_scalarIT4_EEPKS2_PKS3_PKT1_PKT2_S7_PT3_21rocsparse_index_base_b,comdat
	.globl	_ZN9rocsparseL28csrmvn_lrb_short_rows_kernelIli18rocsparse_bfloat16S1_ffEEvbT_PT0_S4_jNS_24const_host_device_scalarIT4_EEPKS2_PKS3_PKT1_PKT2_S7_PT3_21rocsparse_index_base_b ; -- Begin function _ZN9rocsparseL28csrmvn_lrb_short_rows_kernelIli18rocsparse_bfloat16S1_ffEEvbT_PT0_S4_jNS_24const_host_device_scalarIT4_EEPKS2_PKS3_PKT1_PKT2_S7_PT3_21rocsparse_index_base_b
	.p2align	8
	.type	_ZN9rocsparseL28csrmvn_lrb_short_rows_kernelIli18rocsparse_bfloat16S1_ffEEvbT_PT0_S4_jNS_24const_host_device_scalarIT4_EEPKS2_PKS3_PKT1_PKT2_S7_PT3_21rocsparse_index_base_b,@function
_ZN9rocsparseL28csrmvn_lrb_short_rows_kernelIli18rocsparse_bfloat16S1_ffEEvbT_PT0_S4_jNS_24const_host_device_scalarIT4_EEPKS2_PKS3_PKT1_PKT2_S7_PT3_21rocsparse_index_base_b: ; @_ZN9rocsparseL28csrmvn_lrb_short_rows_kernelIli18rocsparse_bfloat16S1_ffEEvbT_PT0_S4_jNS_24const_host_device_scalarIT4_EEPKS2_PKS3_PKT1_PKT2_S7_PT3_21rocsparse_index_base_b
; %bb.0:
	s_clause 0x2
	s_load_b64 s[16:17], s[0:1], 0x60
	s_load_b64 s[18:19], s[0:1], 0x28
	;; [unrolled: 1-line block ×3, first 2 shown]
	s_wait_kmcnt 0x0
	s_bitcmp1_b32 s17, 0
	s_cselect_b32 s4, -1, 0
	s_delay_alu instid0(SALU_CYCLE_1)
	s_and_b32 vcc_lo, exec_lo, s4
	s_xor_b32 s4, s4, -1
	s_cbranch_vccnz .LBB140_2
; %bb.1:
	s_load_b32 s18, s[18:19], 0x0
.LBB140_2:
	s_and_not1_b32 vcc_lo, exec_lo, s4
	s_cbranch_vccnz .LBB140_4
; %bb.3:
	s_load_b32 s2, s[2:3], 0x0
.LBB140_4:
	s_wait_kmcnt 0x0
	s_cmp_neq_f32 s18, 0
	s_cselect_b32 s3, -1, 0
	s_cmp_neq_f32 s2, 1.0
	s_cselect_b32 s4, -1, 0
	s_delay_alu instid0(SALU_CYCLE_1) | instskip(NEXT) | instid1(SALU_CYCLE_1)
	s_or_b32 s3, s3, s4
	s_and_not1_b32 vcc_lo, exec_lo, s3
	s_cbranch_vccnz .LBB140_18
; %bb.5:
	s_clause 0x1
	s_load_b32 s3, s[0:1], 0x20
	s_load_b128 s[12:15], s[0:1], 0x10
	s_and_b32 s6, ttmp6, 15
	s_getreg_b32 s7, hwreg(HW_REG_IB_STS2, 6, 4)
	s_wait_kmcnt 0x0
	s_add_co_i32 s4, s3, 1
	s_clause 0x1
	s_load_b32 s19, s[14:15], s3 offset:0x0 scale_offset
	s_load_b32 s5, s[14:15], s4 offset:0x0 scale_offset
	s_wait_xcnt 0x0
	s_bfe_u32 s4, ttmp6, 0x4000c
	s_delay_alu instid0(SALU_CYCLE_1) | instskip(NEXT) | instid1(SALU_CYCLE_1)
	s_add_co_i32 s4, s4, 1
	s_mul_i32 s4, ttmp9, s4
	s_delay_alu instid0(SALU_CYCLE_1) | instskip(SKIP_4) | instid1(SALU_CYCLE_1)
	s_add_co_i32 s6, s6, s4
	s_wait_kmcnt 0x0
	s_sub_co_i32 s5, s5, s19
	s_cmp_eq_u32 s7, 0
	s_cselect_b32 s4, ttmp9, s6
	s_lshl_b32 s14, s4, 8
	s_delay_alu instid0(SALU_CYCLE_1) | instskip(NEXT) | instid1(SALU_CYCLE_1)
	s_add_co_i32 s4, s14, 0x100
	s_min_u32 s15, s5, s4
	s_cmp_gt_u32 s3, 23
	s_cbranch_scc1 .LBB140_12
; %bb.6:
	s_load_b256 s[4:11], s[0:1], 0x30
	v_bfe_u32 v6, v0, 0, s3
	v_mov_b32_e32 v7, 0
	v_lshl_add_u32 v1, v0, 2, 0
	s_mov_b32 s17, 0
	s_lshl_b32 s20, 0x100, s3
	s_mov_b32 s21, s17
	s_branch .LBB140_9
.LBB140_7:                              ;   in Loop: Header=BB140_9 Depth=1
	s_or_b32 exec_lo, exec_lo, s23
	ds_store_b32 v1, v4
.LBB140_8:                              ;   in Loop: Header=BB140_9 Depth=1
	s_or_b32 exec_lo, exec_lo, s22
	v_add_nc_u32_e32 v1, 0x400, v1
	s_addk_co_i32 s21, 0x100
	s_delay_alu instid0(SALU_CYCLE_1)
	s_cmp_ge_u32 s21, s20
	s_cbranch_scc1 .LBB140_12
.LBB140_9:                              ; =>This Inner Loop Header: Depth=1
	v_add_nc_u32_e32 v2, s21, v0
	s_mov_b32 s22, exec_lo
	s_delay_alu instid0(VALU_DEP_1) | instskip(NEXT) | instid1(VALU_DEP_1)
	v_lshrrev_b32_e32 v2, s3, v2
	v_add_nc_u32_e32 v2, s14, v2
	s_delay_alu instid0(VALU_DEP_1)
	v_cmpx_gt_u32_e64 s15, v2
	s_cbranch_execz .LBB140_8
; %bb.10:                               ;   in Loop: Header=BB140_9 Depth=1
	v_add_nc_u32_e32 v2, s19, v2
	global_load_b32 v2, v2, s[12:13] scale_offset
	s_wait_loadcnt 0x0
	v_ashrrev_i32_e32 v3, 31, v2
	s_wait_kmcnt 0x0
	s_wait_xcnt 0x0
	s_delay_alu instid0(VALU_DEP_1) | instskip(SKIP_3) | instid1(VALU_DEP_1)
	v_lshl_add_u64 v[2:3], v[2:3], 3, s[4:5]
	global_load_b128 v[2:5], v[2:3], off
	s_wait_loadcnt 0x0
	v_sub_nc_u64_e32 v[4:5], v[4:5], v[2:3]
	v_cmp_gt_i64_e32 vcc_lo, v[4:5], v[6:7]
	v_mov_b32_e32 v4, 0
	s_wait_xcnt 0x0
	s_and_saveexec_b32 s23, vcc_lo
	s_cbranch_execz .LBB140_7
; %bb.11:                               ;   in Loop: Header=BB140_9 Depth=1
	v_sub_nc_u64_e64 v[2:3], v[2:3], s[16:17]
	s_delay_alu instid0(VALU_DEP_1) | instskip(NEXT) | instid1(VALU_DEP_1)
	v_add_nc_u64_e32 v[2:3], v[2:3], v[6:7]
	v_lshl_add_u64 v[4:5], v[2:3], 2, s[6:7]
	v_lshl_add_u64 v[2:3], v[2:3], 1, s[8:9]
	global_load_b32 v4, v[4:5], off
	global_load_u16 v2, v[2:3], off
	s_wait_loadcnt 0x1
	s_wait_xcnt 0x0
	v_subrev_nc_u32_e32 v3, s16, v4
	global_load_u16 v3, v3, s[10:11] scale_offset
	s_wait_loadcnt 0x0
	s_wait_xcnt 0x0
	v_dual_lshlrev_b32 v2, 16, v2 :: v_dual_lshlrev_b32 v3, 16, v3
	s_delay_alu instid0(VALU_DEP_1) | instskip(NEXT) | instid1(VALU_DEP_1)
	v_mul_f32_e32 v2, s18, v2
	v_mul_f32_e32 v4, v2, v3
	s_branch .LBB140_7
.LBB140_12:
	s_wait_kmcnt 0x0
	s_sub_co_i32 s4, s15, s14
	s_wait_dscnt 0x0
	v_cmp_gt_u32_e32 vcc_lo, s4, v0
	s_barrier_signal -1
	s_barrier_wait -1
	s_and_saveexec_b32 s4, vcc_lo
	s_cbranch_execz .LBB140_18
; %bb.13:
	v_add3_u32 v1, s19, s14, v0
	s_load_b64 s[0:1], s[0:1], 0x58
	v_dual_lshlrev_b32 v0, s3, v0 :: v_dual_mov_b32 v4, 0
	s_mov_b32 s4, 1
	global_load_b32 v2, v1, s[12:13] scale_offset
	v_lshl_add_u32 v0, v0, 2, 0
.LBB140_14:                             ; =>This Inner Loop Header: Depth=1
	s_wait_xcnt 0x0
	ds_load_b32 v1, v0
	v_add_nc_u32_e32 v0, 4, v0
	s_lshr_b32 s5, s4, s3
	s_add_co_i32 s4, s4, 1
	s_cmp_lg_u32 s5, 0
	s_wait_dscnt 0x0
	v_add_f32_e32 v4, v4, v1
	s_cbranch_scc0 .LBB140_14
; %bb.15:
	s_wait_loadcnt 0x0
	v_ashrrev_i32_e32 v3, 31, v2
	s_cmp_neq_f32 s2, 0
	s_wait_kmcnt 0x0
	s_delay_alu instid0(VALU_DEP_1)
	v_lshl_add_u64 v[0:1], v[2:3], 2, s[0:1]
	s_cbranch_scc0 .LBB140_17
; %bb.16:
	global_load_b32 v2, v[0:1], off
	s_wait_loadcnt 0x0
	v_fmac_f32_e32 v4, s2, v2
.LBB140_17:
	global_store_b32 v[0:1], v4, off
.LBB140_18:
	s_endpgm
	.section	.rodata,"a",@progbits
	.p2align	6, 0x0
	.amdhsa_kernel _ZN9rocsparseL28csrmvn_lrb_short_rows_kernelIli18rocsparse_bfloat16S1_ffEEvbT_PT0_S4_jNS_24const_host_device_scalarIT4_EEPKS2_PKS3_PKT1_PKT2_S7_PT3_21rocsparse_index_base_b
		.amdhsa_group_segment_fixed_size 0
		.amdhsa_private_segment_fixed_size 0
		.amdhsa_kernarg_size 104
		.amdhsa_user_sgpr_count 2
		.amdhsa_user_sgpr_dispatch_ptr 0
		.amdhsa_user_sgpr_queue_ptr 0
		.amdhsa_user_sgpr_kernarg_segment_ptr 1
		.amdhsa_user_sgpr_dispatch_id 0
		.amdhsa_user_sgpr_kernarg_preload_length 0
		.amdhsa_user_sgpr_kernarg_preload_offset 0
		.amdhsa_user_sgpr_private_segment_size 0
		.amdhsa_wavefront_size32 1
		.amdhsa_uses_dynamic_stack 0
		.amdhsa_enable_private_segment 0
		.amdhsa_system_sgpr_workgroup_id_x 1
		.amdhsa_system_sgpr_workgroup_id_y 0
		.amdhsa_system_sgpr_workgroup_id_z 0
		.amdhsa_system_sgpr_workgroup_info 0
		.amdhsa_system_vgpr_workitem_id 0
		.amdhsa_next_free_vgpr 8
		.amdhsa_next_free_sgpr 24
		.amdhsa_named_barrier_count 0
		.amdhsa_reserve_vcc 1
		.amdhsa_float_round_mode_32 0
		.amdhsa_float_round_mode_16_64 0
		.amdhsa_float_denorm_mode_32 3
		.amdhsa_float_denorm_mode_16_64 3
		.amdhsa_fp16_overflow 0
		.amdhsa_memory_ordered 1
		.amdhsa_forward_progress 1
		.amdhsa_inst_pref_size 6
		.amdhsa_round_robin_scheduling 0
		.amdhsa_exception_fp_ieee_invalid_op 0
		.amdhsa_exception_fp_denorm_src 0
		.amdhsa_exception_fp_ieee_div_zero 0
		.amdhsa_exception_fp_ieee_overflow 0
		.amdhsa_exception_fp_ieee_underflow 0
		.amdhsa_exception_fp_ieee_inexact 0
		.amdhsa_exception_int_div_zero 0
	.end_amdhsa_kernel
	.section	.text._ZN9rocsparseL28csrmvn_lrb_short_rows_kernelIli18rocsparse_bfloat16S1_ffEEvbT_PT0_S4_jNS_24const_host_device_scalarIT4_EEPKS2_PKS3_PKT1_PKT2_S7_PT3_21rocsparse_index_base_b,"axG",@progbits,_ZN9rocsparseL28csrmvn_lrb_short_rows_kernelIli18rocsparse_bfloat16S1_ffEEvbT_PT0_S4_jNS_24const_host_device_scalarIT4_EEPKS2_PKS3_PKT1_PKT2_S7_PT3_21rocsparse_index_base_b,comdat
.Lfunc_end140:
	.size	_ZN9rocsparseL28csrmvn_lrb_short_rows_kernelIli18rocsparse_bfloat16S1_ffEEvbT_PT0_S4_jNS_24const_host_device_scalarIT4_EEPKS2_PKS3_PKT1_PKT2_S7_PT3_21rocsparse_index_base_b, .Lfunc_end140-_ZN9rocsparseL28csrmvn_lrb_short_rows_kernelIli18rocsparse_bfloat16S1_ffEEvbT_PT0_S4_jNS_24const_host_device_scalarIT4_EEPKS2_PKS3_PKT1_PKT2_S7_PT3_21rocsparse_index_base_b
                                        ; -- End function
	.set _ZN9rocsparseL28csrmvn_lrb_short_rows_kernelIli18rocsparse_bfloat16S1_ffEEvbT_PT0_S4_jNS_24const_host_device_scalarIT4_EEPKS2_PKS3_PKT1_PKT2_S7_PT3_21rocsparse_index_base_b.num_vgpr, 8
	.set _ZN9rocsparseL28csrmvn_lrb_short_rows_kernelIli18rocsparse_bfloat16S1_ffEEvbT_PT0_S4_jNS_24const_host_device_scalarIT4_EEPKS2_PKS3_PKT1_PKT2_S7_PT3_21rocsparse_index_base_b.num_agpr, 0
	.set _ZN9rocsparseL28csrmvn_lrb_short_rows_kernelIli18rocsparse_bfloat16S1_ffEEvbT_PT0_S4_jNS_24const_host_device_scalarIT4_EEPKS2_PKS3_PKT1_PKT2_S7_PT3_21rocsparse_index_base_b.numbered_sgpr, 24
	.set _ZN9rocsparseL28csrmvn_lrb_short_rows_kernelIli18rocsparse_bfloat16S1_ffEEvbT_PT0_S4_jNS_24const_host_device_scalarIT4_EEPKS2_PKS3_PKT1_PKT2_S7_PT3_21rocsparse_index_base_b.num_named_barrier, 0
	.set _ZN9rocsparseL28csrmvn_lrb_short_rows_kernelIli18rocsparse_bfloat16S1_ffEEvbT_PT0_S4_jNS_24const_host_device_scalarIT4_EEPKS2_PKS3_PKT1_PKT2_S7_PT3_21rocsparse_index_base_b.private_seg_size, 0
	.set _ZN9rocsparseL28csrmvn_lrb_short_rows_kernelIli18rocsparse_bfloat16S1_ffEEvbT_PT0_S4_jNS_24const_host_device_scalarIT4_EEPKS2_PKS3_PKT1_PKT2_S7_PT3_21rocsparse_index_base_b.uses_vcc, 1
	.set _ZN9rocsparseL28csrmvn_lrb_short_rows_kernelIli18rocsparse_bfloat16S1_ffEEvbT_PT0_S4_jNS_24const_host_device_scalarIT4_EEPKS2_PKS3_PKT1_PKT2_S7_PT3_21rocsparse_index_base_b.uses_flat_scratch, 0
	.set _ZN9rocsparseL28csrmvn_lrb_short_rows_kernelIli18rocsparse_bfloat16S1_ffEEvbT_PT0_S4_jNS_24const_host_device_scalarIT4_EEPKS2_PKS3_PKT1_PKT2_S7_PT3_21rocsparse_index_base_b.has_dyn_sized_stack, 0
	.set _ZN9rocsparseL28csrmvn_lrb_short_rows_kernelIli18rocsparse_bfloat16S1_ffEEvbT_PT0_S4_jNS_24const_host_device_scalarIT4_EEPKS2_PKS3_PKT1_PKT2_S7_PT3_21rocsparse_index_base_b.has_recursion, 0
	.set _ZN9rocsparseL28csrmvn_lrb_short_rows_kernelIli18rocsparse_bfloat16S1_ffEEvbT_PT0_S4_jNS_24const_host_device_scalarIT4_EEPKS2_PKS3_PKT1_PKT2_S7_PT3_21rocsparse_index_base_b.has_indirect_call, 0
	.section	.AMDGPU.csdata,"",@progbits
; Kernel info:
; codeLenInByte = 764
; TotalNumSgprs: 26
; NumVgprs: 8
; ScratchSize: 0
; MemoryBound: 0
; FloatMode: 240
; IeeeMode: 1
; LDSByteSize: 0 bytes/workgroup (compile time only)
; SGPRBlocks: 0
; VGPRBlocks: 0
; NumSGPRsForWavesPerEU: 26
; NumVGPRsForWavesPerEU: 8
; NamedBarCnt: 0
; Occupancy: 16
; WaveLimiterHint : 1
; COMPUTE_PGM_RSRC2:SCRATCH_EN: 0
; COMPUTE_PGM_RSRC2:USER_SGPR: 2
; COMPUTE_PGM_RSRC2:TRAP_HANDLER: 0
; COMPUTE_PGM_RSRC2:TGID_X_EN: 1
; COMPUTE_PGM_RSRC2:TGID_Y_EN: 0
; COMPUTE_PGM_RSRC2:TGID_Z_EN: 0
; COMPUTE_PGM_RSRC2:TIDIG_COMP_CNT: 0
	.section	.text._ZN9rocsparseL30csrmvn_lrb_short_rows_2_kernelIli18rocsparse_bfloat16S1_ffEEvbT_PT0_S4_jNS_24const_host_device_scalarIT4_EEPKS2_PKS3_PKT1_PKT2_S7_PT3_21rocsparse_index_base_b,"axG",@progbits,_ZN9rocsparseL30csrmvn_lrb_short_rows_2_kernelIli18rocsparse_bfloat16S1_ffEEvbT_PT0_S4_jNS_24const_host_device_scalarIT4_EEPKS2_PKS3_PKT1_PKT2_S7_PT3_21rocsparse_index_base_b,comdat
	.globl	_ZN9rocsparseL30csrmvn_lrb_short_rows_2_kernelIli18rocsparse_bfloat16S1_ffEEvbT_PT0_S4_jNS_24const_host_device_scalarIT4_EEPKS2_PKS3_PKT1_PKT2_S7_PT3_21rocsparse_index_base_b ; -- Begin function _ZN9rocsparseL30csrmvn_lrb_short_rows_2_kernelIli18rocsparse_bfloat16S1_ffEEvbT_PT0_S4_jNS_24const_host_device_scalarIT4_EEPKS2_PKS3_PKT1_PKT2_S7_PT3_21rocsparse_index_base_b
	.p2align	8
	.type	_ZN9rocsparseL30csrmvn_lrb_short_rows_2_kernelIli18rocsparse_bfloat16S1_ffEEvbT_PT0_S4_jNS_24const_host_device_scalarIT4_EEPKS2_PKS3_PKT1_PKT2_S7_PT3_21rocsparse_index_base_b,@function
_ZN9rocsparseL30csrmvn_lrb_short_rows_2_kernelIli18rocsparse_bfloat16S1_ffEEvbT_PT0_S4_jNS_24const_host_device_scalarIT4_EEPKS2_PKS3_PKT1_PKT2_S7_PT3_21rocsparse_index_base_b: ; @_ZN9rocsparseL30csrmvn_lrb_short_rows_2_kernelIli18rocsparse_bfloat16S1_ffEEvbT_PT0_S4_jNS_24const_host_device_scalarIT4_EEPKS2_PKS3_PKT1_PKT2_S7_PT3_21rocsparse_index_base_b
; %bb.0:
	s_clause 0x2
	s_load_b64 s[18:19], s[0:1], 0x60
	s_load_b64 s[16:17], s[0:1], 0x28
	;; [unrolled: 1-line block ×3, first 2 shown]
	s_wait_kmcnt 0x0
	s_bitcmp1_b32 s19, 0
	s_cselect_b32 s4, -1, 0
	s_delay_alu instid0(SALU_CYCLE_1)
	s_and_b32 vcc_lo, exec_lo, s4
	s_xor_b32 s4, s4, -1
	s_cbranch_vccnz .LBB141_2
; %bb.1:
	s_load_b32 s16, s[16:17], 0x0
.LBB141_2:
	s_and_not1_b32 vcc_lo, exec_lo, s4
	s_cbranch_vccnz .LBB141_4
; %bb.3:
	s_load_b32 s2, s[2:3], 0x0
.LBB141_4:
	s_wait_kmcnt 0x0
	s_cmp_neq_f32 s16, 0
	s_mov_b32 s19, 0
	s_cselect_b32 s3, -1, 0
	s_cmp_neq_f32 s2, 1.0
	s_cselect_b32 s4, -1, 0
	s_delay_alu instid0(SALU_CYCLE_1) | instskip(NEXT) | instid1(SALU_CYCLE_1)
	s_or_b32 s3, s3, s4
	s_and_not1_b32 vcc_lo, exec_lo, s3
	s_cbranch_vccnz .LBB141_30
; %bb.5:
	s_clause 0x1
	s_load_b32 s3, s[0:1], 0x20
	s_load_b128 s[12:15], s[0:1], 0x10
	s_getreg_b32 s21, hwreg(HW_REG_IB_STS2, 6, 4)
	s_wait_kmcnt 0x0
	v_dual_mov_b32 v7, 0 :: v_dual_lshrrev_b32 v1, s3, v0
	s_add_co_i32 s4, s3, 1
	s_clause 0x1
	s_load_b32 s17, s[14:15], s3 offset:0x0 scale_offset
	s_load_b32 s20, s[14:15], s4 offset:0x0 scale_offset
	s_wait_xcnt 0x0
	s_bfe_u32 s14, ttmp6, 0x4000c
	s_load_b256 s[4:11], s[0:1], 0x30
	s_add_co_i32 s14, s14, 1
	s_and_b32 s15, ttmp6, 15
	s_mul_i32 s14, ttmp9, s14
	v_bfe_u32 v6, v0, 0, s3
	s_add_co_i32 s15, s15, s14
	s_lshr_b32 s14, 0x400, s3
	s_wait_kmcnt 0x0
	s_sub_co_i32 s20, s20, s17
	s_cmp_eq_u32 s21, 0
	s_cselect_b32 s15, ttmp9, s15
	s_delay_alu instid0(SALU_CYCLE_1) | instskip(NEXT) | instid1(SALU_CYCLE_1)
	s_mul_i32 s15, s14, s15
	v_add_nc_u32_e32 v1, s15, v1
	s_add_co_i32 s21, s15, s14
	s_delay_alu instid0(SALU_CYCLE_1) | instskip(SKIP_1) | instid1(VALU_DEP_1)
	s_min_u32 s20, s20, s21
	s_mov_b32 s21, exec_lo
	v_cmpx_gt_u32_e64 s20, v1
	s_cbranch_execz .LBB141_9
; %bb.6:
	v_add_nc_u32_e32 v1, s17, v1
	s_mov_b32 s22, exec_lo
	global_load_b32 v2, v1, s[12:13] scale_offset
	s_wait_loadcnt 0x0
	v_dual_mov_b32 v1, v7 :: v_dual_ashrrev_i32 v3, 31, v2
	s_delay_alu instid0(VALU_DEP_1) | instskip(SKIP_3) | instid1(VALU_DEP_1)
	v_lshl_add_u64 v[2:3], v[2:3], 3, s[4:5]
	global_load_b128 v[2:5], v[2:3], off
	s_wait_loadcnt 0x0
	v_sub_nc_u64_e32 v[4:5], v[4:5], v[2:3]
	v_cmpx_gt_i64_e64 v[4:5], v[6:7]
	s_cbranch_execz .LBB141_8
; %bb.7:
	v_sub_nc_u64_e64 v[2:3], v[2:3], s[18:19]
	s_delay_alu instid0(VALU_DEP_1) | instskip(NEXT) | instid1(VALU_DEP_1)
	v_add_nc_u64_e32 v[2:3], v[2:3], v[6:7]
	v_lshl_add_u64 v[4:5], v[2:3], 2, s[6:7]
	v_lshl_add_u64 v[2:3], v[2:3], 1, s[8:9]
	global_load_b32 v1, v[4:5], off
	global_load_u16 v2, v[2:3], off
	s_wait_loadcnt 0x1
	v_subrev_nc_u32_e32 v1, s18, v1
	global_load_u16 v1, v1, s[10:11] scale_offset
	s_wait_loadcnt 0x0
	v_dual_lshlrev_b32 v2, 16, v2 :: v_dual_lshlrev_b32 v1, 16, v1
	s_delay_alu instid0(VALU_DEP_1) | instskip(NEXT) | instid1(VALU_DEP_1)
	v_mul_f32_e32 v2, s16, v2
	v_mul_f32_e32 v1, v2, v1
.LBB141_8:
	s_or_b32 exec_lo, exec_lo, s22
	v_lshlrev_b32_e32 v2, 2, v0
	ds_store_b32 v2, v1
.LBB141_9:
	s_or_b32 exec_lo, exec_lo, s21
	s_load_b64 s[0:1], s[0:1], 0x58
	v_or_b32_e32 v1, 0x100, v0
	s_mov_b32 s21, exec_lo
	s_delay_alu instid0(VALU_DEP_1) | instskip(NEXT) | instid1(VALU_DEP_1)
	v_lshrrev_b32_e32 v1, s3, v1
	v_add_nc_u32_e32 v1, s15, v1
	s_delay_alu instid0(VALU_DEP_1)
	v_cmpx_gt_u32_e64 s20, v1
	s_cbranch_execz .LBB141_13
; %bb.10:
	v_add_nc_u32_e32 v1, s17, v1
	s_mov_b32 s22, exec_lo
	global_load_b32 v2, v1, s[12:13] scale_offset
	s_wait_loadcnt 0x0
	v_dual_mov_b32 v1, 0 :: v_dual_ashrrev_i32 v3, 31, v2
	s_delay_alu instid0(VALU_DEP_1) | instskip(SKIP_3) | instid1(VALU_DEP_1)
	v_lshl_add_u64 v[2:3], v[2:3], 3, s[4:5]
	global_load_b128 v[2:5], v[2:3], off
	s_wait_loadcnt 0x0
	v_sub_nc_u64_e32 v[4:5], v[4:5], v[2:3]
	v_cmpx_gt_i64_e64 v[4:5], v[6:7]
	s_cbranch_execz .LBB141_12
; %bb.11:
	v_sub_nc_u64_e64 v[2:3], v[2:3], s[18:19]
	s_delay_alu instid0(VALU_DEP_1) | instskip(NEXT) | instid1(VALU_DEP_1)
	v_add_nc_u64_e32 v[2:3], v[2:3], v[6:7]
	v_lshl_add_u64 v[4:5], v[2:3], 2, s[6:7]
	v_lshl_add_u64 v[2:3], v[2:3], 1, s[8:9]
	global_load_b32 v1, v[4:5], off
	global_load_u16 v2, v[2:3], off
	s_wait_loadcnt 0x1
	v_subrev_nc_u32_e32 v1, s18, v1
	global_load_u16 v1, v1, s[10:11] scale_offset
	s_wait_loadcnt 0x0
	v_dual_lshlrev_b32 v2, 16, v2 :: v_dual_lshlrev_b32 v1, 16, v1
	s_delay_alu instid0(VALU_DEP_1) | instskip(NEXT) | instid1(VALU_DEP_1)
	v_mul_f32_e32 v2, s16, v2
	v_mul_f32_e32 v1, v2, v1
.LBB141_12:
	s_or_b32 exec_lo, exec_lo, s22
	v_lshlrev_b32_e32 v2, 2, v0
	ds_store_b32 v2, v1 offset:1024
.LBB141_13:
	s_or_b32 exec_lo, exec_lo, s21
	v_or_b32_e32 v1, 0x200, v0
	s_mov_b32 s21, exec_lo
	s_delay_alu instid0(VALU_DEP_1) | instskip(NEXT) | instid1(VALU_DEP_1)
	v_lshrrev_b32_e32 v1, s3, v1
	v_add_nc_u32_e32 v1, s15, v1
	s_delay_alu instid0(VALU_DEP_1)
	v_cmpx_gt_u32_e64 s20, v1
	s_cbranch_execz .LBB141_17
; %bb.14:
	v_add_nc_u32_e32 v1, s17, v1
	s_mov_b32 s22, exec_lo
	global_load_b32 v2, v1, s[12:13] scale_offset
	s_wait_loadcnt 0x0
	v_dual_mov_b32 v1, 0 :: v_dual_ashrrev_i32 v3, 31, v2
	s_delay_alu instid0(VALU_DEP_1) | instskip(SKIP_3) | instid1(VALU_DEP_1)
	v_lshl_add_u64 v[2:3], v[2:3], 3, s[4:5]
	global_load_b128 v[2:5], v[2:3], off
	s_wait_loadcnt 0x0
	v_sub_nc_u64_e32 v[4:5], v[4:5], v[2:3]
	v_cmpx_gt_i64_e64 v[4:5], v[6:7]
	s_cbranch_execz .LBB141_16
; %bb.15:
	v_sub_nc_u64_e64 v[2:3], v[2:3], s[18:19]
	s_delay_alu instid0(VALU_DEP_1) | instskip(NEXT) | instid1(VALU_DEP_1)
	v_add_nc_u64_e32 v[2:3], v[2:3], v[6:7]
	v_lshl_add_u64 v[4:5], v[2:3], 2, s[6:7]
	v_lshl_add_u64 v[2:3], v[2:3], 1, s[8:9]
	global_load_b32 v1, v[4:5], off
	global_load_u16 v2, v[2:3], off
	s_wait_loadcnt 0x1
	v_subrev_nc_u32_e32 v1, s18, v1
	global_load_u16 v1, v1, s[10:11] scale_offset
	s_wait_loadcnt 0x0
	v_dual_lshlrev_b32 v2, 16, v2 :: v_dual_lshlrev_b32 v1, 16, v1
	s_delay_alu instid0(VALU_DEP_1) | instskip(NEXT) | instid1(VALU_DEP_1)
	v_mul_f32_e32 v2, s16, v2
	v_mul_f32_e32 v1, v2, v1
.LBB141_16:
	s_or_b32 exec_lo, exec_lo, s22
	v_lshlrev_b32_e32 v2, 2, v0
	ds_store_b32 v2, v1 offset:2048
.LBB141_17:
	s_or_b32 exec_lo, exec_lo, s21
	v_or_b32_e32 v1, 0x300, v0
	s_mov_b32 s21, exec_lo
	s_delay_alu instid0(VALU_DEP_1) | instskip(NEXT) | instid1(VALU_DEP_1)
	v_lshrrev_b32_e32 v1, s3, v1
	v_add_nc_u32_e32 v1, s15, v1
	s_delay_alu instid0(VALU_DEP_1)
	v_cmpx_gt_u32_e64 s20, v1
	s_cbranch_execz .LBB141_21
; %bb.18:
	v_add_nc_u32_e32 v1, s17, v1
	global_load_b32 v2, v1, s[12:13] scale_offset
	s_wait_loadcnt 0x0
	v_dual_mov_b32 v1, 0 :: v_dual_ashrrev_i32 v3, 31, v2
	s_delay_alu instid0(VALU_DEP_1) | instskip(SKIP_4) | instid1(VALU_DEP_1)
	v_lshl_add_u64 v[2:3], v[2:3], 3, s[4:5]
	s_mov_b32 s4, exec_lo
	global_load_b128 v[2:5], v[2:3], off
	s_wait_loadcnt 0x0
	v_sub_nc_u64_e32 v[4:5], v[4:5], v[2:3]
	v_cmpx_gt_i64_e64 v[4:5], v[6:7]
	s_cbranch_execz .LBB141_20
; %bb.19:
	v_sub_nc_u64_e64 v[2:3], v[2:3], s[18:19]
	s_delay_alu instid0(VALU_DEP_1) | instskip(NEXT) | instid1(VALU_DEP_1)
	v_add_nc_u64_e32 v[2:3], v[2:3], v[6:7]
	v_lshl_add_u64 v[4:5], v[2:3], 2, s[6:7]
	v_lshl_add_u64 v[2:3], v[2:3], 1, s[8:9]
	global_load_b32 v1, v[4:5], off
	global_load_u16 v2, v[2:3], off
	s_wait_loadcnt 0x1
	v_subrev_nc_u32_e32 v1, s18, v1
	global_load_u16 v1, v1, s[10:11] scale_offset
	s_wait_loadcnt 0x0
	v_dual_lshlrev_b32 v2, 16, v2 :: v_dual_lshlrev_b32 v1, 16, v1
	s_delay_alu instid0(VALU_DEP_1) | instskip(NEXT) | instid1(VALU_DEP_1)
	v_mul_f32_e32 v2, s16, v2
	v_mul_f32_e32 v1, v2, v1
.LBB141_20:
	s_or_b32 exec_lo, exec_lo, s4
	v_lshlrev_b32_e32 v2, 2, v0
	ds_store_b32 v2, v1 offset:3072
.LBB141_21:
	s_or_b32 exec_lo, exec_lo, s21
	s_cmp_lt_u32 s3, 11
	s_wait_dscnt 0x0
	s_barrier_signal -1
	s_barrier_wait -1
	s_cbranch_scc0 .LBB141_30
; %bb.22:
	s_sub_co_i32 s4, s20, s15
	s_add_co_i32 s17, s17, s15
	s_cmp_neq_f32 s2, 0
	s_mov_b32 s5, 0
	s_cselect_b32 s6, -1, 0
	s_branch .LBB141_25
.LBB141_23:                             ;   in Loop: Header=BB141_25 Depth=1
	global_store_b32 v[2:3], v1, off
.LBB141_24:                             ;   in Loop: Header=BB141_25 Depth=1
	s_wait_xcnt 0x0
	s_or_b32 exec_lo, exec_lo, s7
	s_addk_co_i32 s5, 0x100
	s_delay_alu instid0(SALU_CYCLE_1)
	s_cmp_lt_u32 s5, s14
	s_cbranch_scc0 .LBB141_30
.LBB141_25:                             ; =>This Loop Header: Depth=1
                                        ;     Child Loop BB141_27 Depth 2
	v_add_nc_u32_e32 v1, s5, v0
	s_mov_b32 s7, exec_lo
	s_delay_alu instid0(VALU_DEP_1)
	v_cmpx_gt_u32_e64 s4, v1
	s_cbranch_execz .LBB141_24
; %bb.26:                               ;   in Loop: Header=BB141_25 Depth=1
	v_dual_add_nc_u32 v2, s17, v1 :: v_dual_lshlrev_b32 v1, s3, v1
	s_mov_b32 s8, 1
	global_load_b32 v2, v2, s[12:13] scale_offset
	v_dual_lshlrev_b32 v3, 2, v1 :: v_dual_mov_b32 v1, 0
.LBB141_27:                             ;   Parent Loop BB141_25 Depth=1
                                        ; =>  This Inner Loop Header: Depth=2
	ds_load_b32 v4, v3
	v_add_nc_u32_e32 v3, 4, v3
	s_lshr_b32 s9, s8, s3
	s_add_co_i32 s8, s8, 1
	s_cmp_lg_u32 s9, 0
	s_wait_dscnt 0x0
	v_add_f32_e32 v1, v1, v4
	s_cbranch_scc0 .LBB141_27
; %bb.28:                               ;   in Loop: Header=BB141_25 Depth=1
	s_wait_loadcnt 0x0
	v_ashrrev_i32_e32 v3, 31, v2
	s_and_b32 vcc_lo, exec_lo, s6
	s_wait_kmcnt 0x0
	s_wait_xcnt 0x0
	s_delay_alu instid0(VALU_DEP_1)
	v_lshl_add_u64 v[2:3], v[2:3], 2, s[0:1]
	s_cbranch_vccz .LBB141_23
; %bb.29:                               ;   in Loop: Header=BB141_25 Depth=1
	global_load_b32 v4, v[2:3], off
	s_wait_loadcnt 0x0
	v_fmac_f32_e32 v1, s2, v4
	s_branch .LBB141_23
.LBB141_30:
	s_endpgm
	.section	.rodata,"a",@progbits
	.p2align	6, 0x0
	.amdhsa_kernel _ZN9rocsparseL30csrmvn_lrb_short_rows_2_kernelIli18rocsparse_bfloat16S1_ffEEvbT_PT0_S4_jNS_24const_host_device_scalarIT4_EEPKS2_PKS3_PKT1_PKT2_S7_PT3_21rocsparse_index_base_b
		.amdhsa_group_segment_fixed_size 4096
		.amdhsa_private_segment_fixed_size 0
		.amdhsa_kernarg_size 104
		.amdhsa_user_sgpr_count 2
		.amdhsa_user_sgpr_dispatch_ptr 0
		.amdhsa_user_sgpr_queue_ptr 0
		.amdhsa_user_sgpr_kernarg_segment_ptr 1
		.amdhsa_user_sgpr_dispatch_id 0
		.amdhsa_user_sgpr_kernarg_preload_length 0
		.amdhsa_user_sgpr_kernarg_preload_offset 0
		.amdhsa_user_sgpr_private_segment_size 0
		.amdhsa_wavefront_size32 1
		.amdhsa_uses_dynamic_stack 0
		.amdhsa_enable_private_segment 0
		.amdhsa_system_sgpr_workgroup_id_x 1
		.amdhsa_system_sgpr_workgroup_id_y 0
		.amdhsa_system_sgpr_workgroup_id_z 0
		.amdhsa_system_sgpr_workgroup_info 0
		.amdhsa_system_vgpr_workitem_id 0
		.amdhsa_next_free_vgpr 8
		.amdhsa_next_free_sgpr 23
		.amdhsa_named_barrier_count 0
		.amdhsa_reserve_vcc 1
		.amdhsa_float_round_mode_32 0
		.amdhsa_float_round_mode_16_64 0
		.amdhsa_float_denorm_mode_32 3
		.amdhsa_float_denorm_mode_16_64 3
		.amdhsa_fp16_overflow 0
		.amdhsa_memory_ordered 1
		.amdhsa_forward_progress 1
		.amdhsa_inst_pref_size 12
		.amdhsa_round_robin_scheduling 0
		.amdhsa_exception_fp_ieee_invalid_op 0
		.amdhsa_exception_fp_denorm_src 0
		.amdhsa_exception_fp_ieee_div_zero 0
		.amdhsa_exception_fp_ieee_overflow 0
		.amdhsa_exception_fp_ieee_underflow 0
		.amdhsa_exception_fp_ieee_inexact 0
		.amdhsa_exception_int_div_zero 0
	.end_amdhsa_kernel
	.section	.text._ZN9rocsparseL30csrmvn_lrb_short_rows_2_kernelIli18rocsparse_bfloat16S1_ffEEvbT_PT0_S4_jNS_24const_host_device_scalarIT4_EEPKS2_PKS3_PKT1_PKT2_S7_PT3_21rocsparse_index_base_b,"axG",@progbits,_ZN9rocsparseL30csrmvn_lrb_short_rows_2_kernelIli18rocsparse_bfloat16S1_ffEEvbT_PT0_S4_jNS_24const_host_device_scalarIT4_EEPKS2_PKS3_PKT1_PKT2_S7_PT3_21rocsparse_index_base_b,comdat
.Lfunc_end141:
	.size	_ZN9rocsparseL30csrmvn_lrb_short_rows_2_kernelIli18rocsparse_bfloat16S1_ffEEvbT_PT0_S4_jNS_24const_host_device_scalarIT4_EEPKS2_PKS3_PKT1_PKT2_S7_PT3_21rocsparse_index_base_b, .Lfunc_end141-_ZN9rocsparseL30csrmvn_lrb_short_rows_2_kernelIli18rocsparse_bfloat16S1_ffEEvbT_PT0_S4_jNS_24const_host_device_scalarIT4_EEPKS2_PKS3_PKT1_PKT2_S7_PT3_21rocsparse_index_base_b
                                        ; -- End function
	.set _ZN9rocsparseL30csrmvn_lrb_short_rows_2_kernelIli18rocsparse_bfloat16S1_ffEEvbT_PT0_S4_jNS_24const_host_device_scalarIT4_EEPKS2_PKS3_PKT1_PKT2_S7_PT3_21rocsparse_index_base_b.num_vgpr, 8
	.set _ZN9rocsparseL30csrmvn_lrb_short_rows_2_kernelIli18rocsparse_bfloat16S1_ffEEvbT_PT0_S4_jNS_24const_host_device_scalarIT4_EEPKS2_PKS3_PKT1_PKT2_S7_PT3_21rocsparse_index_base_b.num_agpr, 0
	.set _ZN9rocsparseL30csrmvn_lrb_short_rows_2_kernelIli18rocsparse_bfloat16S1_ffEEvbT_PT0_S4_jNS_24const_host_device_scalarIT4_EEPKS2_PKS3_PKT1_PKT2_S7_PT3_21rocsparse_index_base_b.numbered_sgpr, 23
	.set _ZN9rocsparseL30csrmvn_lrb_short_rows_2_kernelIli18rocsparse_bfloat16S1_ffEEvbT_PT0_S4_jNS_24const_host_device_scalarIT4_EEPKS2_PKS3_PKT1_PKT2_S7_PT3_21rocsparse_index_base_b.num_named_barrier, 0
	.set _ZN9rocsparseL30csrmvn_lrb_short_rows_2_kernelIli18rocsparse_bfloat16S1_ffEEvbT_PT0_S4_jNS_24const_host_device_scalarIT4_EEPKS2_PKS3_PKT1_PKT2_S7_PT3_21rocsparse_index_base_b.private_seg_size, 0
	.set _ZN9rocsparseL30csrmvn_lrb_short_rows_2_kernelIli18rocsparse_bfloat16S1_ffEEvbT_PT0_S4_jNS_24const_host_device_scalarIT4_EEPKS2_PKS3_PKT1_PKT2_S7_PT3_21rocsparse_index_base_b.uses_vcc, 1
	.set _ZN9rocsparseL30csrmvn_lrb_short_rows_2_kernelIli18rocsparse_bfloat16S1_ffEEvbT_PT0_S4_jNS_24const_host_device_scalarIT4_EEPKS2_PKS3_PKT1_PKT2_S7_PT3_21rocsparse_index_base_b.uses_flat_scratch, 0
	.set _ZN9rocsparseL30csrmvn_lrb_short_rows_2_kernelIli18rocsparse_bfloat16S1_ffEEvbT_PT0_S4_jNS_24const_host_device_scalarIT4_EEPKS2_PKS3_PKT1_PKT2_S7_PT3_21rocsparse_index_base_b.has_dyn_sized_stack, 0
	.set _ZN9rocsparseL30csrmvn_lrb_short_rows_2_kernelIli18rocsparse_bfloat16S1_ffEEvbT_PT0_S4_jNS_24const_host_device_scalarIT4_EEPKS2_PKS3_PKT1_PKT2_S7_PT3_21rocsparse_index_base_b.has_recursion, 0
	.set _ZN9rocsparseL30csrmvn_lrb_short_rows_2_kernelIli18rocsparse_bfloat16S1_ffEEvbT_PT0_S4_jNS_24const_host_device_scalarIT4_EEPKS2_PKS3_PKT1_PKT2_S7_PT3_21rocsparse_index_base_b.has_indirect_call, 0
	.section	.AMDGPU.csdata,"",@progbits
; Kernel info:
; codeLenInByte = 1480
; TotalNumSgprs: 25
; NumVgprs: 8
; ScratchSize: 0
; MemoryBound: 0
; FloatMode: 240
; IeeeMode: 1
; LDSByteSize: 4096 bytes/workgroup (compile time only)
; SGPRBlocks: 0
; VGPRBlocks: 0
; NumSGPRsForWavesPerEU: 25
; NumVGPRsForWavesPerEU: 8
; NamedBarCnt: 0
; Occupancy: 16
; WaveLimiterHint : 1
; COMPUTE_PGM_RSRC2:SCRATCH_EN: 0
; COMPUTE_PGM_RSRC2:USER_SGPR: 2
; COMPUTE_PGM_RSRC2:TRAP_HANDLER: 0
; COMPUTE_PGM_RSRC2:TGID_X_EN: 1
; COMPUTE_PGM_RSRC2:TGID_Y_EN: 0
; COMPUTE_PGM_RSRC2:TGID_Z_EN: 0
; COMPUTE_PGM_RSRC2:TIDIG_COMP_CNT: 0
	.section	.text._ZN9rocsparseL41csrmvn_lrb_medium_rows_warp_reduce_kernelILj256ELj32Eli18rocsparse_bfloat16S1_ffEEvbT1_lPT2_S4_jNS_24const_host_device_scalarIT6_EEPKS2_PKS3_PKT3_PKT4_S7_PT5_21rocsparse_index_base_b,"axG",@progbits,_ZN9rocsparseL41csrmvn_lrb_medium_rows_warp_reduce_kernelILj256ELj32Eli18rocsparse_bfloat16S1_ffEEvbT1_lPT2_S4_jNS_24const_host_device_scalarIT6_EEPKS2_PKS3_PKT3_PKT4_S7_PT5_21rocsparse_index_base_b,comdat
	.globl	_ZN9rocsparseL41csrmvn_lrb_medium_rows_warp_reduce_kernelILj256ELj32Eli18rocsparse_bfloat16S1_ffEEvbT1_lPT2_S4_jNS_24const_host_device_scalarIT6_EEPKS2_PKS3_PKT3_PKT4_S7_PT5_21rocsparse_index_base_b ; -- Begin function _ZN9rocsparseL41csrmvn_lrb_medium_rows_warp_reduce_kernelILj256ELj32Eli18rocsparse_bfloat16S1_ffEEvbT1_lPT2_S4_jNS_24const_host_device_scalarIT6_EEPKS2_PKS3_PKT3_PKT4_S7_PT5_21rocsparse_index_base_b
	.p2align	8
	.type	_ZN9rocsparseL41csrmvn_lrb_medium_rows_warp_reduce_kernelILj256ELj32Eli18rocsparse_bfloat16S1_ffEEvbT1_lPT2_S4_jNS_24const_host_device_scalarIT6_EEPKS2_PKS3_PKT3_PKT4_S7_PT5_21rocsparse_index_base_b,@function
_ZN9rocsparseL41csrmvn_lrb_medium_rows_warp_reduce_kernelILj256ELj32Eli18rocsparse_bfloat16S1_ffEEvbT1_lPT2_S4_jNS_24const_host_device_scalarIT6_EEPKS2_PKS3_PKT3_PKT4_S7_PT5_21rocsparse_index_base_b: ; @_ZN9rocsparseL41csrmvn_lrb_medium_rows_warp_reduce_kernelILj256ELj32Eli18rocsparse_bfloat16S1_ffEEvbT1_lPT2_S4_jNS_24const_host_device_scalarIT6_EEPKS2_PKS3_PKT3_PKT4_S7_PT5_21rocsparse_index_base_b
; %bb.0:
	s_clause 0x2
	s_load_b64 s[4:5], s[0:1], 0x68
	s_load_b64 s[6:7], s[0:1], 0x30
	;; [unrolled: 1-line block ×3, first 2 shown]
	s_wait_kmcnt 0x0
	s_bitcmp1_b32 s5, 0
	s_cselect_b32 s5, -1, 0
	s_delay_alu instid0(SALU_CYCLE_1)
	s_and_b32 vcc_lo, exec_lo, s5
	s_xor_b32 s5, s5, -1
	s_cbranch_vccnz .LBB142_2
; %bb.1:
	s_load_b32 s6, s[6:7], 0x0
.LBB142_2:
	s_and_not1_b32 vcc_lo, exec_lo, s5
	s_cbranch_vccnz .LBB142_4
; %bb.3:
	s_load_b32 s2, s[2:3], 0x0
.LBB142_4:
	s_wait_kmcnt 0x0
	s_cmp_neq_f32 s6, 0
	s_cselect_b32 s3, -1, 0
	s_cmp_neq_f32 s2, 1.0
	s_cselect_b32 s5, -1, 0
	s_delay_alu instid0(SALU_CYCLE_1) | instskip(NEXT) | instid1(SALU_CYCLE_1)
	s_or_b32 s3, s3, s5
	s_and_not1_b32 vcc_lo, exec_lo, s3
	s_cbranch_vccnz .LBB142_14
; %bb.5:
	s_bfe_u32 s3, ttmp6, 0x4000c
	s_load_b64 s[8:9], s[0:1], 0x10
	s_add_co_i32 s3, s3, 1
	s_and_b32 s5, ttmp6, 15
	s_mul_i32 s3, ttmp9, s3
	s_getreg_b32 s7, hwreg(HW_REG_IB_STS2, 6, 4)
	v_lshrrev_b32_e32 v1, 5, v0
	s_add_co_i32 s5, s5, s3
	s_cmp_eq_u32 s7, 0
	s_cselect_b32 s3, ttmp9, s5
	s_delay_alu instid0(VALU_DEP_1) | instid1(SALU_CYCLE_1)
	v_lshl_or_b32 v2, s3, 3, v1
	s_mov_b32 s3, exec_lo
	s_delay_alu instid0(VALU_DEP_1) | instskip(SKIP_1) | instid1(VALU_DEP_1)
	v_ashrrev_i32_e32 v3, 31, v2
	s_wait_kmcnt 0x0
	v_cmpx_gt_i64_e64 s[8:9], v[2:3]
	s_cbranch_execz .LBB142_14
; %bb.6:
	s_clause 0x1
	s_load_b128 s[8:11], s[0:1], 0x18
	s_load_b32 s3, s[0:1], 0x28
	v_and_b32_e32 v0, 31, v0
	s_mov_b32 s5, 0
	s_wait_kmcnt 0x0
	s_load_b32 s3, s[10:11], s3 offset:0x0 scale_offset
	s_wait_kmcnt 0x0
	v_add_nc_u32_e32 v1, s3, v2
	s_mov_b32 s3, exec_lo
	global_load_b32 v2, v1, s[8:9] scale_offset
	s_wait_xcnt 0x0
	s_load_b64 s[8:9], s[0:1], 0x38
	v_mov_b32_e32 v1, 0
	s_delay_alu instid0(VALU_DEP_1) | instskip(SKIP_3) | instid1(VALU_DEP_1)
	v_sub_nc_u64_e64 v[10:11], v[0:1], s[4:5]
	s_wait_loadcnt 0x0
	v_ashrrev_i32_e32 v3, 31, v2
	s_wait_kmcnt 0x0
	v_lshl_add_u64 v[4:5], v[2:3], 3, s[8:9]
	global_load_b128 v[6:9], v[4:5], off
	s_wait_loadcnt 0x0
	v_sub_nc_u64_e64 v[4:5], v[8:9], s[4:5]
	v_add_nc_u64_e32 v[6:7], v[6:7], v[10:11]
	s_delay_alu instid0(VALU_DEP_1)
	v_cmpx_lt_i64_e64 v[6:7], v[4:5]
	s_cbranch_execz .LBB142_10
; %bb.7:
	s_clause 0x1
	s_load_b128 s[12:15], s[0:1], 0x40
	s_load_b64 s[8:9], s[0:1], 0x50
	v_mov_b32_e32 v1, 0
	s_wait_kmcnt 0x0
	v_lshl_add_u64 v[8:9], v[6:7], 1, s[14:15]
	v_lshl_add_u64 v[10:11], v[6:7], 2, s[12:13]
.LBB142_8:                              ; =>This Inner Loop Header: Depth=1
	global_load_b32 v12, v[10:11], off
	global_load_u16 v13, v[8:9], off
	v_add_nc_u64_e32 v[6:7], 32, v[6:7]
	s_wait_xcnt 0x0
	v_add_nc_u64_e32 v[8:9], 64, v[8:9]
	v_add_nc_u64_e32 v[10:11], 0x80, v[10:11]
	s_delay_alu instid0(VALU_DEP_3)
	v_cmp_ge_i64_e32 vcc_lo, v[6:7], v[4:5]
	s_or_b32 s5, vcc_lo, s5
	s_wait_loadcnt 0x1
	v_subrev_nc_u32_e32 v12, s4, v12
	s_wait_loadcnt 0x0
	v_lshlrev_b32_e32 v13, 16, v13
	global_load_u16 v12, v12, s[8:9] scale_offset
	v_mul_f32_e32 v13, s6, v13
	s_wait_loadcnt 0x0
	s_delay_alu instid0(VALU_DEP_1)
	v_fma_mix_f32_bf16 v1, v13, v12, v1 op_sel_hi:[0,1,0]
	s_and_not1_b32 exec_lo, exec_lo, s5
	s_cbranch_execnz .LBB142_8
; %bb.9:
	s_or_b32 exec_lo, exec_lo, s5
.LBB142_10:
	s_delay_alu instid0(SALU_CYCLE_1) | instskip(SKIP_2) | instid1(VALU_DEP_1)
	s_or_b32 exec_lo, exec_lo, s3
	v_mbcnt_lo_u32_b32 v4, -1, 0
	s_load_b64 s[0:1], s[0:1], 0x60
	v_xor_b32_e32 v6, 8, v4
	v_xor_b32_e32 v5, 16, v4
	s_delay_alu instid0(VALU_DEP_1) | instskip(SKIP_1) | instid1(VALU_DEP_4)
	v_cmp_gt_i32_e32 vcc_lo, 32, v5
	v_cndmask_b32_e32 v5, v4, v5, vcc_lo
	v_cmp_gt_i32_e32 vcc_lo, 32, v6
	v_cndmask_b32_e32 v6, v4, v6, vcc_lo
	s_delay_alu instid0(VALU_DEP_1)
	v_dual_lshlrev_b32 v6, 2, v6 :: v_dual_lshlrev_b32 v5, 2, v5
	ds_bpermute_b32 v5, v5, v1
	s_wait_dscnt 0x0
	v_add_f32_e32 v1, v1, v5
	ds_bpermute_b32 v5, v6, v1
	v_xor_b32_e32 v6, 4, v4
	s_delay_alu instid0(VALU_DEP_1) | instskip(SKIP_2) | instid1(VALU_DEP_1)
	v_cmp_gt_i32_e32 vcc_lo, 32, v6
	s_wait_dscnt 0x0
	v_dual_cndmask_b32 v6, v4, v6 :: v_dual_add_f32 v1, v1, v5
	v_lshlrev_b32_e32 v6, 2, v6
	ds_bpermute_b32 v5, v6, v1
	s_wait_dscnt 0x0
	v_dual_add_f32 v1, v1, v5 :: v_dual_bitop2_b32 v6, 2, v4 bitop3:0x14
	s_delay_alu instid0(VALU_DEP_1) | instskip(SKIP_1) | instid1(VALU_DEP_1)
	v_cmp_gt_i32_e32 vcc_lo, 32, v6
	v_cndmask_b32_e32 v6, v4, v6, vcc_lo
	v_lshlrev_b32_e32 v6, 2, v6
	ds_bpermute_b32 v5, v6, v1
	v_xor_b32_e32 v6, 1, v4
	s_delay_alu instid0(VALU_DEP_1) | instskip(SKIP_3) | instid1(VALU_DEP_2)
	v_cmp_gt_i32_e32 vcc_lo, 32, v6
	v_cndmask_b32_e32 v4, v4, v6, vcc_lo
	v_cmp_eq_u32_e32 vcc_lo, 31, v0
	s_wait_dscnt 0x0
	v_dual_add_f32 v1, v1, v5 :: v_dual_lshlrev_b32 v4, 2, v4
	ds_bpermute_b32 v4, v4, v1
	s_and_b32 exec_lo, exec_lo, vcc_lo
	s_cbranch_execz .LBB142_14
; %bb.11:
	s_wait_dscnt 0x0
	v_add_f32_e32 v4, v1, v4
	s_wait_kmcnt 0x0
	v_lshl_add_u64 v[0:1], v[2:3], 2, s[0:1]
	s_cmp_eq_f32 s2, 0
	s_cbranch_scc1 .LBB142_13
; %bb.12:
	global_load_b32 v2, v[0:1], off
	s_wait_loadcnt 0x0
	v_fmac_f32_e32 v4, s2, v2
.LBB142_13:
	global_store_b32 v[0:1], v4, off
.LBB142_14:
	s_endpgm
	.section	.rodata,"a",@progbits
	.p2align	6, 0x0
	.amdhsa_kernel _ZN9rocsparseL41csrmvn_lrb_medium_rows_warp_reduce_kernelILj256ELj32Eli18rocsparse_bfloat16S1_ffEEvbT1_lPT2_S4_jNS_24const_host_device_scalarIT6_EEPKS2_PKS3_PKT3_PKT4_S7_PT5_21rocsparse_index_base_b
		.amdhsa_group_segment_fixed_size 0
		.amdhsa_private_segment_fixed_size 0
		.amdhsa_kernarg_size 112
		.amdhsa_user_sgpr_count 2
		.amdhsa_user_sgpr_dispatch_ptr 0
		.amdhsa_user_sgpr_queue_ptr 0
		.amdhsa_user_sgpr_kernarg_segment_ptr 1
		.amdhsa_user_sgpr_dispatch_id 0
		.amdhsa_user_sgpr_kernarg_preload_length 0
		.amdhsa_user_sgpr_kernarg_preload_offset 0
		.amdhsa_user_sgpr_private_segment_size 0
		.amdhsa_wavefront_size32 1
		.amdhsa_uses_dynamic_stack 0
		.amdhsa_enable_private_segment 0
		.amdhsa_system_sgpr_workgroup_id_x 1
		.amdhsa_system_sgpr_workgroup_id_y 0
		.amdhsa_system_sgpr_workgroup_id_z 0
		.amdhsa_system_sgpr_workgroup_info 0
		.amdhsa_system_vgpr_workitem_id 0
		.amdhsa_next_free_vgpr 14
		.amdhsa_next_free_sgpr 16
		.amdhsa_named_barrier_count 0
		.amdhsa_reserve_vcc 1
		.amdhsa_float_round_mode_32 0
		.amdhsa_float_round_mode_16_64 0
		.amdhsa_float_denorm_mode_32 3
		.amdhsa_float_denorm_mode_16_64 3
		.amdhsa_fp16_overflow 0
		.amdhsa_memory_ordered 1
		.amdhsa_forward_progress 1
		.amdhsa_inst_pref_size 7
		.amdhsa_round_robin_scheduling 0
		.amdhsa_exception_fp_ieee_invalid_op 0
		.amdhsa_exception_fp_denorm_src 0
		.amdhsa_exception_fp_ieee_div_zero 0
		.amdhsa_exception_fp_ieee_overflow 0
		.amdhsa_exception_fp_ieee_underflow 0
		.amdhsa_exception_fp_ieee_inexact 0
		.amdhsa_exception_int_div_zero 0
	.end_amdhsa_kernel
	.section	.text._ZN9rocsparseL41csrmvn_lrb_medium_rows_warp_reduce_kernelILj256ELj32Eli18rocsparse_bfloat16S1_ffEEvbT1_lPT2_S4_jNS_24const_host_device_scalarIT6_EEPKS2_PKS3_PKT3_PKT4_S7_PT5_21rocsparse_index_base_b,"axG",@progbits,_ZN9rocsparseL41csrmvn_lrb_medium_rows_warp_reduce_kernelILj256ELj32Eli18rocsparse_bfloat16S1_ffEEvbT1_lPT2_S4_jNS_24const_host_device_scalarIT6_EEPKS2_PKS3_PKT3_PKT4_S7_PT5_21rocsparse_index_base_b,comdat
.Lfunc_end142:
	.size	_ZN9rocsparseL41csrmvn_lrb_medium_rows_warp_reduce_kernelILj256ELj32Eli18rocsparse_bfloat16S1_ffEEvbT1_lPT2_S4_jNS_24const_host_device_scalarIT6_EEPKS2_PKS3_PKT3_PKT4_S7_PT5_21rocsparse_index_base_b, .Lfunc_end142-_ZN9rocsparseL41csrmvn_lrb_medium_rows_warp_reduce_kernelILj256ELj32Eli18rocsparse_bfloat16S1_ffEEvbT1_lPT2_S4_jNS_24const_host_device_scalarIT6_EEPKS2_PKS3_PKT3_PKT4_S7_PT5_21rocsparse_index_base_b
                                        ; -- End function
	.set _ZN9rocsparseL41csrmvn_lrb_medium_rows_warp_reduce_kernelILj256ELj32Eli18rocsparse_bfloat16S1_ffEEvbT1_lPT2_S4_jNS_24const_host_device_scalarIT6_EEPKS2_PKS3_PKT3_PKT4_S7_PT5_21rocsparse_index_base_b.num_vgpr, 14
	.set _ZN9rocsparseL41csrmvn_lrb_medium_rows_warp_reduce_kernelILj256ELj32Eli18rocsparse_bfloat16S1_ffEEvbT1_lPT2_S4_jNS_24const_host_device_scalarIT6_EEPKS2_PKS3_PKT3_PKT4_S7_PT5_21rocsparse_index_base_b.num_agpr, 0
	.set _ZN9rocsparseL41csrmvn_lrb_medium_rows_warp_reduce_kernelILj256ELj32Eli18rocsparse_bfloat16S1_ffEEvbT1_lPT2_S4_jNS_24const_host_device_scalarIT6_EEPKS2_PKS3_PKT3_PKT4_S7_PT5_21rocsparse_index_base_b.numbered_sgpr, 16
	.set _ZN9rocsparseL41csrmvn_lrb_medium_rows_warp_reduce_kernelILj256ELj32Eli18rocsparse_bfloat16S1_ffEEvbT1_lPT2_S4_jNS_24const_host_device_scalarIT6_EEPKS2_PKS3_PKT3_PKT4_S7_PT5_21rocsparse_index_base_b.num_named_barrier, 0
	.set _ZN9rocsparseL41csrmvn_lrb_medium_rows_warp_reduce_kernelILj256ELj32Eli18rocsparse_bfloat16S1_ffEEvbT1_lPT2_S4_jNS_24const_host_device_scalarIT6_EEPKS2_PKS3_PKT3_PKT4_S7_PT5_21rocsparse_index_base_b.private_seg_size, 0
	.set _ZN9rocsparseL41csrmvn_lrb_medium_rows_warp_reduce_kernelILj256ELj32Eli18rocsparse_bfloat16S1_ffEEvbT1_lPT2_S4_jNS_24const_host_device_scalarIT6_EEPKS2_PKS3_PKT3_PKT4_S7_PT5_21rocsparse_index_base_b.uses_vcc, 1
	.set _ZN9rocsparseL41csrmvn_lrb_medium_rows_warp_reduce_kernelILj256ELj32Eli18rocsparse_bfloat16S1_ffEEvbT1_lPT2_S4_jNS_24const_host_device_scalarIT6_EEPKS2_PKS3_PKT3_PKT4_S7_PT5_21rocsparse_index_base_b.uses_flat_scratch, 0
	.set _ZN9rocsparseL41csrmvn_lrb_medium_rows_warp_reduce_kernelILj256ELj32Eli18rocsparse_bfloat16S1_ffEEvbT1_lPT2_S4_jNS_24const_host_device_scalarIT6_EEPKS2_PKS3_PKT3_PKT4_S7_PT5_21rocsparse_index_base_b.has_dyn_sized_stack, 0
	.set _ZN9rocsparseL41csrmvn_lrb_medium_rows_warp_reduce_kernelILj256ELj32Eli18rocsparse_bfloat16S1_ffEEvbT1_lPT2_S4_jNS_24const_host_device_scalarIT6_EEPKS2_PKS3_PKT3_PKT4_S7_PT5_21rocsparse_index_base_b.has_recursion, 0
	.set _ZN9rocsparseL41csrmvn_lrb_medium_rows_warp_reduce_kernelILj256ELj32Eli18rocsparse_bfloat16S1_ffEEvbT1_lPT2_S4_jNS_24const_host_device_scalarIT6_EEPKS2_PKS3_PKT3_PKT4_S7_PT5_21rocsparse_index_base_b.has_indirect_call, 0
	.section	.AMDGPU.csdata,"",@progbits
; Kernel info:
; codeLenInByte = 800
; TotalNumSgprs: 18
; NumVgprs: 14
; ScratchSize: 0
; MemoryBound: 0
; FloatMode: 240
; IeeeMode: 1
; LDSByteSize: 0 bytes/workgroup (compile time only)
; SGPRBlocks: 0
; VGPRBlocks: 0
; NumSGPRsForWavesPerEU: 18
; NumVGPRsForWavesPerEU: 14
; NamedBarCnt: 0
; Occupancy: 16
; WaveLimiterHint : 1
; COMPUTE_PGM_RSRC2:SCRATCH_EN: 0
; COMPUTE_PGM_RSRC2:USER_SGPR: 2
; COMPUTE_PGM_RSRC2:TRAP_HANDLER: 0
; COMPUTE_PGM_RSRC2:TGID_X_EN: 1
; COMPUTE_PGM_RSRC2:TGID_Y_EN: 0
; COMPUTE_PGM_RSRC2:TGID_Z_EN: 0
; COMPUTE_PGM_RSRC2:TIDIG_COMP_CNT: 0
	.section	.text._ZN9rocsparseL41csrmvn_lrb_medium_rows_warp_reduce_kernelILj256ELj64Eli18rocsparse_bfloat16S1_ffEEvbT1_lPT2_S4_jNS_24const_host_device_scalarIT6_EEPKS2_PKS3_PKT3_PKT4_S7_PT5_21rocsparse_index_base_b,"axG",@progbits,_ZN9rocsparseL41csrmvn_lrb_medium_rows_warp_reduce_kernelILj256ELj64Eli18rocsparse_bfloat16S1_ffEEvbT1_lPT2_S4_jNS_24const_host_device_scalarIT6_EEPKS2_PKS3_PKT3_PKT4_S7_PT5_21rocsparse_index_base_b,comdat
	.globl	_ZN9rocsparseL41csrmvn_lrb_medium_rows_warp_reduce_kernelILj256ELj64Eli18rocsparse_bfloat16S1_ffEEvbT1_lPT2_S4_jNS_24const_host_device_scalarIT6_EEPKS2_PKS3_PKT3_PKT4_S7_PT5_21rocsparse_index_base_b ; -- Begin function _ZN9rocsparseL41csrmvn_lrb_medium_rows_warp_reduce_kernelILj256ELj64Eli18rocsparse_bfloat16S1_ffEEvbT1_lPT2_S4_jNS_24const_host_device_scalarIT6_EEPKS2_PKS3_PKT3_PKT4_S7_PT5_21rocsparse_index_base_b
	.p2align	8
	.type	_ZN9rocsparseL41csrmvn_lrb_medium_rows_warp_reduce_kernelILj256ELj64Eli18rocsparse_bfloat16S1_ffEEvbT1_lPT2_S4_jNS_24const_host_device_scalarIT6_EEPKS2_PKS3_PKT3_PKT4_S7_PT5_21rocsparse_index_base_b,@function
_ZN9rocsparseL41csrmvn_lrb_medium_rows_warp_reduce_kernelILj256ELj64Eli18rocsparse_bfloat16S1_ffEEvbT1_lPT2_S4_jNS_24const_host_device_scalarIT6_EEPKS2_PKS3_PKT3_PKT4_S7_PT5_21rocsparse_index_base_b: ; @_ZN9rocsparseL41csrmvn_lrb_medium_rows_warp_reduce_kernelILj256ELj64Eli18rocsparse_bfloat16S1_ffEEvbT1_lPT2_S4_jNS_24const_host_device_scalarIT6_EEPKS2_PKS3_PKT3_PKT4_S7_PT5_21rocsparse_index_base_b
; %bb.0:
	s_clause 0x2
	s_load_b64 s[4:5], s[0:1], 0x68
	s_load_b64 s[6:7], s[0:1], 0x30
	;; [unrolled: 1-line block ×3, first 2 shown]
	s_wait_kmcnt 0x0
	s_bitcmp1_b32 s5, 0
	s_cselect_b32 s5, -1, 0
	s_delay_alu instid0(SALU_CYCLE_1)
	s_and_b32 vcc_lo, exec_lo, s5
	s_xor_b32 s5, s5, -1
	s_cbranch_vccnz .LBB143_2
; %bb.1:
	s_load_b32 s6, s[6:7], 0x0
.LBB143_2:
	s_and_not1_b32 vcc_lo, exec_lo, s5
	s_cbranch_vccnz .LBB143_4
; %bb.3:
	s_load_b32 s2, s[2:3], 0x0
.LBB143_4:
	s_wait_kmcnt 0x0
	s_cmp_neq_f32 s6, 0
	s_cselect_b32 s3, -1, 0
	s_cmp_neq_f32 s2, 1.0
	s_cselect_b32 s5, -1, 0
	s_delay_alu instid0(SALU_CYCLE_1) | instskip(NEXT) | instid1(SALU_CYCLE_1)
	s_or_b32 s3, s3, s5
	s_and_not1_b32 vcc_lo, exec_lo, s3
	s_cbranch_vccnz .LBB143_14
; %bb.5:
	s_bfe_u32 s3, ttmp6, 0x4000c
	s_load_b64 s[8:9], s[0:1], 0x10
	s_add_co_i32 s3, s3, 1
	s_and_b32 s5, ttmp6, 15
	s_mul_i32 s3, ttmp9, s3
	s_getreg_b32 s7, hwreg(HW_REG_IB_STS2, 6, 4)
	v_lshrrev_b32_e32 v1, 6, v0
	s_add_co_i32 s5, s5, s3
	s_cmp_eq_u32 s7, 0
	s_cselect_b32 s3, ttmp9, s5
	s_delay_alu instid0(VALU_DEP_1) | instid1(SALU_CYCLE_1)
	v_lshl_or_b32 v2, s3, 2, v1
	s_mov_b32 s3, exec_lo
	s_delay_alu instid0(VALU_DEP_1) | instskip(SKIP_1) | instid1(VALU_DEP_1)
	v_ashrrev_i32_e32 v3, 31, v2
	s_wait_kmcnt 0x0
	v_cmpx_gt_i64_e64 s[8:9], v[2:3]
	s_cbranch_execz .LBB143_14
; %bb.6:
	s_clause 0x1
	s_load_b128 s[8:11], s[0:1], 0x18
	s_load_b32 s3, s[0:1], 0x28
	v_and_b32_e32 v0, 63, v0
	s_mov_b32 s5, 0
	s_wait_kmcnt 0x0
	s_load_b32 s3, s[10:11], s3 offset:0x0 scale_offset
	s_wait_kmcnt 0x0
	v_add_nc_u32_e32 v1, s3, v2
	s_mov_b32 s3, exec_lo
	global_load_b32 v2, v1, s[8:9] scale_offset
	s_wait_xcnt 0x0
	s_load_b64 s[8:9], s[0:1], 0x38
	v_mov_b32_e32 v1, 0
	s_delay_alu instid0(VALU_DEP_1) | instskip(SKIP_3) | instid1(VALU_DEP_1)
	v_sub_nc_u64_e64 v[10:11], v[0:1], s[4:5]
	s_wait_loadcnt 0x0
	v_ashrrev_i32_e32 v3, 31, v2
	s_wait_kmcnt 0x0
	v_lshl_add_u64 v[4:5], v[2:3], 3, s[8:9]
	global_load_b128 v[6:9], v[4:5], off
	s_wait_loadcnt 0x0
	v_sub_nc_u64_e64 v[4:5], v[8:9], s[4:5]
	v_add_nc_u64_e32 v[6:7], v[6:7], v[10:11]
	s_delay_alu instid0(VALU_DEP_1)
	v_cmpx_lt_i64_e64 v[6:7], v[4:5]
	s_cbranch_execz .LBB143_10
; %bb.7:
	s_clause 0x1
	s_load_b128 s[12:15], s[0:1], 0x40
	s_load_b64 s[8:9], s[0:1], 0x50
	v_mov_b32_e32 v1, 0
	s_wait_kmcnt 0x0
	v_lshl_add_u64 v[8:9], v[6:7], 1, s[14:15]
	v_lshl_add_u64 v[10:11], v[6:7], 2, s[12:13]
.LBB143_8:                              ; =>This Inner Loop Header: Depth=1
	global_load_b32 v12, v[10:11], off
	global_load_u16 v13, v[8:9], off
	v_add_nc_u64_e32 v[6:7], 64, v[6:7]
	s_wait_xcnt 0x0
	v_add_nc_u64_e32 v[8:9], 0x80, v[8:9]
	v_add_nc_u64_e32 v[10:11], 0x100, v[10:11]
	s_delay_alu instid0(VALU_DEP_3)
	v_cmp_ge_i64_e32 vcc_lo, v[6:7], v[4:5]
	s_or_b32 s5, vcc_lo, s5
	s_wait_loadcnt 0x1
	v_subrev_nc_u32_e32 v12, s4, v12
	s_wait_loadcnt 0x0
	v_lshlrev_b32_e32 v13, 16, v13
	global_load_u16 v12, v12, s[8:9] scale_offset
	v_mul_f32_e32 v13, s6, v13
	s_wait_loadcnt 0x0
	s_delay_alu instid0(VALU_DEP_1)
	v_fma_mix_f32_bf16 v1, v13, v12, v1 op_sel_hi:[0,1,0]
	s_and_not1_b32 exec_lo, exec_lo, s5
	s_cbranch_execnz .LBB143_8
; %bb.9:
	s_or_b32 exec_lo, exec_lo, s5
.LBB143_10:
	s_delay_alu instid0(SALU_CYCLE_1) | instskip(SKIP_2) | instid1(VALU_DEP_1)
	s_or_b32 exec_lo, exec_lo, s3
	v_mbcnt_lo_u32_b32 v4, -1, 0
	s_load_b64 s[0:1], s[0:1], 0x60
	v_xor_b32_e32 v6, 16, v4
	v_or_b32_e32 v5, 32, v4
	s_delay_alu instid0(VALU_DEP_1) | instskip(SKIP_1) | instid1(VALU_DEP_4)
	v_cmp_gt_i32_e32 vcc_lo, 32, v5
	v_cndmask_b32_e32 v5, v4, v5, vcc_lo
	v_cmp_gt_i32_e32 vcc_lo, 32, v6
	v_cndmask_b32_e32 v6, v4, v6, vcc_lo
	s_delay_alu instid0(VALU_DEP_1)
	v_dual_lshlrev_b32 v6, 2, v6 :: v_dual_lshlrev_b32 v5, 2, v5
	ds_bpermute_b32 v5, v5, v1
	s_wait_dscnt 0x0
	v_add_f32_e32 v1, v1, v5
	ds_bpermute_b32 v5, v6, v1
	v_xor_b32_e32 v6, 8, v4
	s_delay_alu instid0(VALU_DEP_1) | instskip(SKIP_2) | instid1(VALU_DEP_1)
	v_cmp_gt_i32_e32 vcc_lo, 32, v6
	s_wait_dscnt 0x0
	v_dual_cndmask_b32 v6, v4, v6 :: v_dual_add_f32 v1, v1, v5
	v_lshlrev_b32_e32 v6, 2, v6
	ds_bpermute_b32 v5, v6, v1
	s_wait_dscnt 0x0
	v_dual_add_f32 v1, v1, v5 :: v_dual_bitop2_b32 v6, 4, v4 bitop3:0x14
	s_delay_alu instid0(VALU_DEP_1) | instskip(SKIP_1) | instid1(VALU_DEP_1)
	v_cmp_gt_i32_e32 vcc_lo, 32, v6
	v_cndmask_b32_e32 v6, v4, v6, vcc_lo
	v_lshlrev_b32_e32 v6, 2, v6
	ds_bpermute_b32 v5, v6, v1
	v_xor_b32_e32 v6, 2, v4
	s_delay_alu instid0(VALU_DEP_1) | instskip(SKIP_2) | instid1(VALU_DEP_1)
	v_cmp_gt_i32_e32 vcc_lo, 32, v6
	v_cndmask_b32_e32 v6, v4, v6, vcc_lo
	s_wait_dscnt 0x0
	v_dual_add_f32 v1, v1, v5 :: v_dual_lshlrev_b32 v6, 2, v6
	ds_bpermute_b32 v5, v6, v1
	v_xor_b32_e32 v6, 1, v4
	s_delay_alu instid0(VALU_DEP_1) | instskip(SKIP_3) | instid1(VALU_DEP_2)
	v_cmp_gt_i32_e32 vcc_lo, 32, v6
	v_cndmask_b32_e32 v4, v4, v6, vcc_lo
	v_cmp_eq_u32_e32 vcc_lo, 63, v0
	s_wait_dscnt 0x0
	v_dual_add_f32 v1, v1, v5 :: v_dual_lshlrev_b32 v4, 2, v4
	ds_bpermute_b32 v4, v4, v1
	s_and_b32 exec_lo, exec_lo, vcc_lo
	s_cbranch_execz .LBB143_14
; %bb.11:
	s_wait_dscnt 0x0
	v_add_f32_e32 v4, v1, v4
	s_wait_kmcnt 0x0
	v_lshl_add_u64 v[0:1], v[2:3], 2, s[0:1]
	s_cmp_eq_f32 s2, 0
	s_cbranch_scc1 .LBB143_13
; %bb.12:
	global_load_b32 v2, v[0:1], off
	s_wait_loadcnt 0x0
	v_fmac_f32_e32 v4, s2, v2
.LBB143_13:
	global_store_b32 v[0:1], v4, off
.LBB143_14:
	s_endpgm
	.section	.rodata,"a",@progbits
	.p2align	6, 0x0
	.amdhsa_kernel _ZN9rocsparseL41csrmvn_lrb_medium_rows_warp_reduce_kernelILj256ELj64Eli18rocsparse_bfloat16S1_ffEEvbT1_lPT2_S4_jNS_24const_host_device_scalarIT6_EEPKS2_PKS3_PKT3_PKT4_S7_PT5_21rocsparse_index_base_b
		.amdhsa_group_segment_fixed_size 0
		.amdhsa_private_segment_fixed_size 0
		.amdhsa_kernarg_size 112
		.amdhsa_user_sgpr_count 2
		.amdhsa_user_sgpr_dispatch_ptr 0
		.amdhsa_user_sgpr_queue_ptr 0
		.amdhsa_user_sgpr_kernarg_segment_ptr 1
		.amdhsa_user_sgpr_dispatch_id 0
		.amdhsa_user_sgpr_kernarg_preload_length 0
		.amdhsa_user_sgpr_kernarg_preload_offset 0
		.amdhsa_user_sgpr_private_segment_size 0
		.amdhsa_wavefront_size32 1
		.amdhsa_uses_dynamic_stack 0
		.amdhsa_enable_private_segment 0
		.amdhsa_system_sgpr_workgroup_id_x 1
		.amdhsa_system_sgpr_workgroup_id_y 0
		.amdhsa_system_sgpr_workgroup_id_z 0
		.amdhsa_system_sgpr_workgroup_info 0
		.amdhsa_system_vgpr_workitem_id 0
		.amdhsa_next_free_vgpr 14
		.amdhsa_next_free_sgpr 16
		.amdhsa_named_barrier_count 0
		.amdhsa_reserve_vcc 1
		.amdhsa_float_round_mode_32 0
		.amdhsa_float_round_mode_16_64 0
		.amdhsa_float_denorm_mode_32 3
		.amdhsa_float_denorm_mode_16_64 3
		.amdhsa_fp16_overflow 0
		.amdhsa_memory_ordered 1
		.amdhsa_forward_progress 1
		.amdhsa_inst_pref_size 7
		.amdhsa_round_robin_scheduling 0
		.amdhsa_exception_fp_ieee_invalid_op 0
		.amdhsa_exception_fp_denorm_src 0
		.amdhsa_exception_fp_ieee_div_zero 0
		.amdhsa_exception_fp_ieee_overflow 0
		.amdhsa_exception_fp_ieee_underflow 0
		.amdhsa_exception_fp_ieee_inexact 0
		.amdhsa_exception_int_div_zero 0
	.end_amdhsa_kernel
	.section	.text._ZN9rocsparseL41csrmvn_lrb_medium_rows_warp_reduce_kernelILj256ELj64Eli18rocsparse_bfloat16S1_ffEEvbT1_lPT2_S4_jNS_24const_host_device_scalarIT6_EEPKS2_PKS3_PKT3_PKT4_S7_PT5_21rocsparse_index_base_b,"axG",@progbits,_ZN9rocsparseL41csrmvn_lrb_medium_rows_warp_reduce_kernelILj256ELj64Eli18rocsparse_bfloat16S1_ffEEvbT1_lPT2_S4_jNS_24const_host_device_scalarIT6_EEPKS2_PKS3_PKT3_PKT4_S7_PT5_21rocsparse_index_base_b,comdat
.Lfunc_end143:
	.size	_ZN9rocsparseL41csrmvn_lrb_medium_rows_warp_reduce_kernelILj256ELj64Eli18rocsparse_bfloat16S1_ffEEvbT1_lPT2_S4_jNS_24const_host_device_scalarIT6_EEPKS2_PKS3_PKT3_PKT4_S7_PT5_21rocsparse_index_base_b, .Lfunc_end143-_ZN9rocsparseL41csrmvn_lrb_medium_rows_warp_reduce_kernelILj256ELj64Eli18rocsparse_bfloat16S1_ffEEvbT1_lPT2_S4_jNS_24const_host_device_scalarIT6_EEPKS2_PKS3_PKT3_PKT4_S7_PT5_21rocsparse_index_base_b
                                        ; -- End function
	.set _ZN9rocsparseL41csrmvn_lrb_medium_rows_warp_reduce_kernelILj256ELj64Eli18rocsparse_bfloat16S1_ffEEvbT1_lPT2_S4_jNS_24const_host_device_scalarIT6_EEPKS2_PKS3_PKT3_PKT4_S7_PT5_21rocsparse_index_base_b.num_vgpr, 14
	.set _ZN9rocsparseL41csrmvn_lrb_medium_rows_warp_reduce_kernelILj256ELj64Eli18rocsparse_bfloat16S1_ffEEvbT1_lPT2_S4_jNS_24const_host_device_scalarIT6_EEPKS2_PKS3_PKT3_PKT4_S7_PT5_21rocsparse_index_base_b.num_agpr, 0
	.set _ZN9rocsparseL41csrmvn_lrb_medium_rows_warp_reduce_kernelILj256ELj64Eli18rocsparse_bfloat16S1_ffEEvbT1_lPT2_S4_jNS_24const_host_device_scalarIT6_EEPKS2_PKS3_PKT3_PKT4_S7_PT5_21rocsparse_index_base_b.numbered_sgpr, 16
	.set _ZN9rocsparseL41csrmvn_lrb_medium_rows_warp_reduce_kernelILj256ELj64Eli18rocsparse_bfloat16S1_ffEEvbT1_lPT2_S4_jNS_24const_host_device_scalarIT6_EEPKS2_PKS3_PKT3_PKT4_S7_PT5_21rocsparse_index_base_b.num_named_barrier, 0
	.set _ZN9rocsparseL41csrmvn_lrb_medium_rows_warp_reduce_kernelILj256ELj64Eli18rocsparse_bfloat16S1_ffEEvbT1_lPT2_S4_jNS_24const_host_device_scalarIT6_EEPKS2_PKS3_PKT3_PKT4_S7_PT5_21rocsparse_index_base_b.private_seg_size, 0
	.set _ZN9rocsparseL41csrmvn_lrb_medium_rows_warp_reduce_kernelILj256ELj64Eli18rocsparse_bfloat16S1_ffEEvbT1_lPT2_S4_jNS_24const_host_device_scalarIT6_EEPKS2_PKS3_PKT3_PKT4_S7_PT5_21rocsparse_index_base_b.uses_vcc, 1
	.set _ZN9rocsparseL41csrmvn_lrb_medium_rows_warp_reduce_kernelILj256ELj64Eli18rocsparse_bfloat16S1_ffEEvbT1_lPT2_S4_jNS_24const_host_device_scalarIT6_EEPKS2_PKS3_PKT3_PKT4_S7_PT5_21rocsparse_index_base_b.uses_flat_scratch, 0
	.set _ZN9rocsparseL41csrmvn_lrb_medium_rows_warp_reduce_kernelILj256ELj64Eli18rocsparse_bfloat16S1_ffEEvbT1_lPT2_S4_jNS_24const_host_device_scalarIT6_EEPKS2_PKS3_PKT3_PKT4_S7_PT5_21rocsparse_index_base_b.has_dyn_sized_stack, 0
	.set _ZN9rocsparseL41csrmvn_lrb_medium_rows_warp_reduce_kernelILj256ELj64Eli18rocsparse_bfloat16S1_ffEEvbT1_lPT2_S4_jNS_24const_host_device_scalarIT6_EEPKS2_PKS3_PKT3_PKT4_S7_PT5_21rocsparse_index_base_b.has_recursion, 0
	.set _ZN9rocsparseL41csrmvn_lrb_medium_rows_warp_reduce_kernelILj256ELj64Eli18rocsparse_bfloat16S1_ffEEvbT1_lPT2_S4_jNS_24const_host_device_scalarIT6_EEPKS2_PKS3_PKT3_PKT4_S7_PT5_21rocsparse_index_base_b.has_indirect_call, 0
	.section	.AMDGPU.csdata,"",@progbits
; Kernel info:
; codeLenInByte = 840
; TotalNumSgprs: 18
; NumVgprs: 14
; ScratchSize: 0
; MemoryBound: 0
; FloatMode: 240
; IeeeMode: 1
; LDSByteSize: 0 bytes/workgroup (compile time only)
; SGPRBlocks: 0
; VGPRBlocks: 0
; NumSGPRsForWavesPerEU: 18
; NumVGPRsForWavesPerEU: 14
; NamedBarCnt: 0
; Occupancy: 16
; WaveLimiterHint : 1
; COMPUTE_PGM_RSRC2:SCRATCH_EN: 0
; COMPUTE_PGM_RSRC2:USER_SGPR: 2
; COMPUTE_PGM_RSRC2:TRAP_HANDLER: 0
; COMPUTE_PGM_RSRC2:TGID_X_EN: 1
; COMPUTE_PGM_RSRC2:TGID_Y_EN: 0
; COMPUTE_PGM_RSRC2:TGID_Z_EN: 0
; COMPUTE_PGM_RSRC2:TIDIG_COMP_CNT: 0
	.section	.text._ZN9rocsparseL29csrmvn_lrb_medium_rows_kernelILj256Eli18rocsparse_bfloat16S1_ffEEvbT0_PT1_S4_jNS_24const_host_device_scalarIT5_EEPKS2_PKS3_PKT2_PKT3_S7_PT4_21rocsparse_index_base_b,"axG",@progbits,_ZN9rocsparseL29csrmvn_lrb_medium_rows_kernelILj256Eli18rocsparse_bfloat16S1_ffEEvbT0_PT1_S4_jNS_24const_host_device_scalarIT5_EEPKS2_PKS3_PKT2_PKT3_S7_PT4_21rocsparse_index_base_b,comdat
	.globl	_ZN9rocsparseL29csrmvn_lrb_medium_rows_kernelILj256Eli18rocsparse_bfloat16S1_ffEEvbT0_PT1_S4_jNS_24const_host_device_scalarIT5_EEPKS2_PKS3_PKT2_PKT3_S7_PT4_21rocsparse_index_base_b ; -- Begin function _ZN9rocsparseL29csrmvn_lrb_medium_rows_kernelILj256Eli18rocsparse_bfloat16S1_ffEEvbT0_PT1_S4_jNS_24const_host_device_scalarIT5_EEPKS2_PKS3_PKT2_PKT3_S7_PT4_21rocsparse_index_base_b
	.p2align	8
	.type	_ZN9rocsparseL29csrmvn_lrb_medium_rows_kernelILj256Eli18rocsparse_bfloat16S1_ffEEvbT0_PT1_S4_jNS_24const_host_device_scalarIT5_EEPKS2_PKS3_PKT2_PKT3_S7_PT4_21rocsparse_index_base_b,@function
_ZN9rocsparseL29csrmvn_lrb_medium_rows_kernelILj256Eli18rocsparse_bfloat16S1_ffEEvbT0_PT1_S4_jNS_24const_host_device_scalarIT5_EEPKS2_PKS3_PKT2_PKT3_S7_PT4_21rocsparse_index_base_b: ; @_ZN9rocsparseL29csrmvn_lrb_medium_rows_kernelILj256Eli18rocsparse_bfloat16S1_ffEEvbT0_PT1_S4_jNS_24const_host_device_scalarIT5_EEPKS2_PKS3_PKT2_PKT3_S7_PT4_21rocsparse_index_base_b
; %bb.0:
	s_clause 0x2
	s_load_b64 s[6:7], s[0:1], 0x60
	s_load_b64 s[8:9], s[0:1], 0x28
	;; [unrolled: 1-line block ×3, first 2 shown]
	s_wait_kmcnt 0x0
	s_bitcmp1_b32 s7, 0
	s_cselect_b32 s4, -1, 0
	s_delay_alu instid0(SALU_CYCLE_1)
	s_and_b32 vcc_lo, exec_lo, s4
	s_xor_b32 s4, s4, -1
	s_cbranch_vccnz .LBB144_2
; %bb.1:
	s_load_b32 s8, s[8:9], 0x0
.LBB144_2:
	s_and_not1_b32 vcc_lo, exec_lo, s4
	s_cbranch_vccnz .LBB144_4
; %bb.3:
	s_load_b32 s2, s[2:3], 0x0
.LBB144_4:
	s_wait_kmcnt 0x0
	s_cmp_neq_f32 s8, 0
	s_mov_b32 s7, 0
	s_cselect_b32 s3, -1, 0
	s_cmp_neq_f32 s2, 1.0
	s_cselect_b32 s4, -1, 0
	s_delay_alu instid0(SALU_CYCLE_1) | instskip(NEXT) | instid1(SALU_CYCLE_1)
	s_or_b32 s3, s3, s4
	s_and_not1_b32 vcc_lo, exec_lo, s3
	s_cbranch_vccnz .LBB144_29
; %bb.5:
	s_clause 0x1
	s_load_b128 s[12:15], s[0:1], 0x10
	s_load_b32 s3, s[0:1], 0x20
	s_bfe_u32 s4, ttmp6, 0x4000c
	s_and_b32 s5, ttmp6, 15
	s_add_co_i32 s4, s4, 1
	s_getreg_b32 s9, hwreg(HW_REG_IB_STS2, 6, 4)
	s_mul_i32 s4, ttmp9, s4
	v_mov_b32_e32 v1, 0
	s_add_co_i32 s5, s5, s4
	s_cmp_eq_u32 s9, 0
	s_cselect_b32 s4, ttmp9, s5
	s_delay_alu instid0(VALU_DEP_1)
	v_sub_nc_u64_e64 v[2:3], v[0:1], s[6:7]
	s_wait_kmcnt 0x0
	s_load_b32 s3, s[14:15], s3 offset:0x0 scale_offset
	s_wait_kmcnt 0x0
	s_add_co_i32 s4, s3, s4
	s_mov_b32 s3, exec_lo
	s_ashr_i32 s5, s4, 31
	s_delay_alu instid0(SALU_CYCLE_1) | instskip(NEXT) | instid1(SALU_CYCLE_1)
	s_lshl_b64 s[4:5], s[4:5], 2
	s_add_nc_u64 s[10:11], s[12:13], s[4:5]
	s_load_b32 s4, s[10:11], 0x0
	s_load_b64 s[12:13], s[0:1], 0x30
	s_wait_kmcnt 0x0
	s_ashr_i32 s5, s4, 31
	s_delay_alu instid0(SALU_CYCLE_1) | instskip(NEXT) | instid1(SALU_CYCLE_1)
	s_lshl_b64 s[10:11], s[4:5], 3
	s_add_nc_u64 s[10:11], s[12:13], s[10:11]
	s_load_b128 s[12:15], s[10:11], 0x0
	s_wait_kmcnt 0x0
	v_add_nc_u64_e32 v[2:3], s[12:13], v[2:3]
	s_sub_nc_u64 s[10:11], s[14:15], s[6:7]
	s_delay_alu instid0(VALU_DEP_1) | instid1(SALU_CYCLE_1)
	v_cmpx_gt_i64_e64 s[10:11], v[2:3]
	s_cbranch_execz .LBB144_9
; %bb.6:
	s_clause 0x1
	s_load_b128 s[16:19], s[0:1], 0x38
	s_load_b64 s[12:13], s[0:1], 0x48
	v_mov_b32_e32 v1, 0
	s_wait_kmcnt 0x0
	v_lshl_add_u64 v[4:5], v[2:3], 1, s[18:19]
	v_lshl_add_u64 v[6:7], v[2:3], 2, s[16:17]
.LBB144_7:                              ; =>This Inner Loop Header: Depth=1
	global_load_b32 v8, v[6:7], off
	global_load_u16 v9, v[4:5], off
	v_add_nc_u64_e32 v[2:3], 0x100, v[2:3]
	s_wait_xcnt 0x0
	v_add_nc_u64_e32 v[4:5], 0x200, v[4:5]
	v_add_nc_u64_e32 v[6:7], 0x400, v[6:7]
	s_delay_alu instid0(VALU_DEP_3)
	v_cmp_le_i64_e32 vcc_lo, s[10:11], v[2:3]
	s_or_b32 s7, vcc_lo, s7
	s_wait_loadcnt 0x1
	v_subrev_nc_u32_e32 v8, s6, v8
	s_wait_loadcnt 0x0
	v_lshlrev_b32_e32 v9, 16, v9
	global_load_u16 v8, v8, s[12:13] scale_offset
	v_mul_f32_e32 v9, s8, v9
	s_wait_loadcnt 0x0
	s_delay_alu instid0(VALU_DEP_1)
	v_fma_mix_f32_bf16 v1, v9, v8, v1 op_sel_hi:[0,1,0]
	s_and_not1_b32 exec_lo, exec_lo, s7
	s_cbranch_execnz .LBB144_7
; %bb.8:
	s_or_b32 exec_lo, exec_lo, s7
.LBB144_9:
	s_delay_alu instid0(SALU_CYCLE_1)
	s_or_b32 exec_lo, exec_lo, s3
	s_load_b64 s[0:1], s[0:1], 0x58
	v_lshlrev_b32_e32 v2, 2, v0
	s_mov_b32 s3, exec_lo
	ds_store_b32 v2, v1
	s_wait_dscnt 0x0
	s_barrier_signal -1
	s_barrier_wait -1
	v_cmpx_gt_u32_e32 0x80, v0
	s_cbranch_execz .LBB144_11
; %bb.10:
	ds_load_2addr_stride64_b32 v[4:5], v2 offset1:2
	s_wait_dscnt 0x0
	v_add_f32_e32 v1, v4, v5
	ds_store_b32 v2, v1
.LBB144_11:
	s_or_b32 exec_lo, exec_lo, s3
	s_delay_alu instid0(SALU_CYCLE_1)
	s_mov_b32 s3, exec_lo
	s_wait_dscnt 0x0
	s_barrier_signal -1
	s_barrier_wait -1
	v_cmpx_gt_u32_e32 64, v0
	s_cbranch_execz .LBB144_13
; %bb.12:
	ds_load_2addr_stride64_b32 v[4:5], v2 offset1:1
	s_wait_dscnt 0x0
	v_add_f32_e32 v1, v4, v5
	ds_store_b32 v2, v1
.LBB144_13:
	s_or_b32 exec_lo, exec_lo, s3
	s_delay_alu instid0(SALU_CYCLE_1)
	s_mov_b32 s3, exec_lo
	s_wait_dscnt 0x0
	s_barrier_signal -1
	s_barrier_wait -1
	v_cmpx_gt_u32_e32 32, v0
	s_cbranch_execz .LBB144_15
; %bb.14:
	ds_load_2addr_b32 v[4:5], v2 offset1:32
	s_wait_dscnt 0x0
	v_add_f32_e32 v1, v4, v5
	ds_store_b32 v2, v1
.LBB144_15:
	s_or_b32 exec_lo, exec_lo, s3
	s_delay_alu instid0(SALU_CYCLE_1)
	s_mov_b32 s3, exec_lo
	s_wait_dscnt 0x0
	s_barrier_signal -1
	s_barrier_wait -1
	v_cmpx_gt_u32_e32 16, v0
	s_cbranch_execz .LBB144_17
; %bb.16:
	ds_load_2addr_b32 v[4:5], v2 offset1:16
	s_wait_dscnt 0x0
	v_add_f32_e32 v1, v4, v5
	ds_store_b32 v2, v1
.LBB144_17:
	;; [unrolled: 14-line block ×5, first 2 shown]
	s_or_b32 exec_lo, exec_lo, s3
	v_cmp_eq_u32_e32 vcc_lo, 0, v0
	s_wait_dscnt 0x0
	s_barrier_signal -1
	s_barrier_wait -1
	s_and_saveexec_b32 s3, vcc_lo
	s_cbranch_execz .LBB144_25
; %bb.24:
	v_mov_b32_e32 v2, 0
	ds_load_b64 v[0:1], v2
	s_wait_dscnt 0x0
	v_add_f32_e32 v0, v0, v1
	ds_store_b32 v2, v0
.LBB144_25:
	s_or_b32 exec_lo, exec_lo, s3
	s_wait_dscnt 0x0
	s_barrier_signal -1
	s_barrier_wait -1
	s_and_saveexec_b32 s3, vcc_lo
	s_cbranch_execz .LBB144_29
; %bb.26:
	v_mov_b32_e32 v0, 0
	s_cmp_eq_f32 s2, 0
	ds_load_b32 v1, v0
	s_cbranch_scc1 .LBB144_28
; %bb.27:
	s_lshl_b64 s[6:7], s[4:5], 2
	s_wait_kmcnt 0x0
	s_add_nc_u64 s[6:7], s[0:1], s[6:7]
	s_load_b32 s3, s[6:7], 0x0
	s_wait_dscnt 0x0
	s_wait_kmcnt 0x0
	v_fmac_f32_e64 v1, s2, s3
.LBB144_28:
	s_lshl_b64 s[2:3], s[4:5], 2
	s_wait_kmcnt 0x0
	s_add_nc_u64 s[0:1], s[0:1], s[2:3]
	s_wait_dscnt 0x0
	global_store_b32 v0, v1, s[0:1]
.LBB144_29:
	s_endpgm
	.section	.rodata,"a",@progbits
	.p2align	6, 0x0
	.amdhsa_kernel _ZN9rocsparseL29csrmvn_lrb_medium_rows_kernelILj256Eli18rocsparse_bfloat16S1_ffEEvbT0_PT1_S4_jNS_24const_host_device_scalarIT5_EEPKS2_PKS3_PKT2_PKT3_S7_PT4_21rocsparse_index_base_b
		.amdhsa_group_segment_fixed_size 1024
		.amdhsa_private_segment_fixed_size 0
		.amdhsa_kernarg_size 104
		.amdhsa_user_sgpr_count 2
		.amdhsa_user_sgpr_dispatch_ptr 0
		.amdhsa_user_sgpr_queue_ptr 0
		.amdhsa_user_sgpr_kernarg_segment_ptr 1
		.amdhsa_user_sgpr_dispatch_id 0
		.amdhsa_user_sgpr_kernarg_preload_length 0
		.amdhsa_user_sgpr_kernarg_preload_offset 0
		.amdhsa_user_sgpr_private_segment_size 0
		.amdhsa_wavefront_size32 1
		.amdhsa_uses_dynamic_stack 0
		.amdhsa_enable_private_segment 0
		.amdhsa_system_sgpr_workgroup_id_x 1
		.amdhsa_system_sgpr_workgroup_id_y 0
		.amdhsa_system_sgpr_workgroup_id_z 0
		.amdhsa_system_sgpr_workgroup_info 0
		.amdhsa_system_vgpr_workitem_id 0
		.amdhsa_next_free_vgpr 10
		.amdhsa_next_free_sgpr 20
		.amdhsa_named_barrier_count 0
		.amdhsa_reserve_vcc 1
		.amdhsa_float_round_mode_32 0
		.amdhsa_float_round_mode_16_64 0
		.amdhsa_float_denorm_mode_32 3
		.amdhsa_float_denorm_mode_16_64 3
		.amdhsa_fp16_overflow 0
		.amdhsa_memory_ordered 1
		.amdhsa_forward_progress 1
		.amdhsa_inst_pref_size 9
		.amdhsa_round_robin_scheduling 0
		.amdhsa_exception_fp_ieee_invalid_op 0
		.amdhsa_exception_fp_denorm_src 0
		.amdhsa_exception_fp_ieee_div_zero 0
		.amdhsa_exception_fp_ieee_overflow 0
		.amdhsa_exception_fp_ieee_underflow 0
		.amdhsa_exception_fp_ieee_inexact 0
		.amdhsa_exception_int_div_zero 0
	.end_amdhsa_kernel
	.section	.text._ZN9rocsparseL29csrmvn_lrb_medium_rows_kernelILj256Eli18rocsparse_bfloat16S1_ffEEvbT0_PT1_S4_jNS_24const_host_device_scalarIT5_EEPKS2_PKS3_PKT2_PKT3_S7_PT4_21rocsparse_index_base_b,"axG",@progbits,_ZN9rocsparseL29csrmvn_lrb_medium_rows_kernelILj256Eli18rocsparse_bfloat16S1_ffEEvbT0_PT1_S4_jNS_24const_host_device_scalarIT5_EEPKS2_PKS3_PKT2_PKT3_S7_PT4_21rocsparse_index_base_b,comdat
.Lfunc_end144:
	.size	_ZN9rocsparseL29csrmvn_lrb_medium_rows_kernelILj256Eli18rocsparse_bfloat16S1_ffEEvbT0_PT1_S4_jNS_24const_host_device_scalarIT5_EEPKS2_PKS3_PKT2_PKT3_S7_PT4_21rocsparse_index_base_b, .Lfunc_end144-_ZN9rocsparseL29csrmvn_lrb_medium_rows_kernelILj256Eli18rocsparse_bfloat16S1_ffEEvbT0_PT1_S4_jNS_24const_host_device_scalarIT5_EEPKS2_PKS3_PKT2_PKT3_S7_PT4_21rocsparse_index_base_b
                                        ; -- End function
	.set _ZN9rocsparseL29csrmvn_lrb_medium_rows_kernelILj256Eli18rocsparse_bfloat16S1_ffEEvbT0_PT1_S4_jNS_24const_host_device_scalarIT5_EEPKS2_PKS3_PKT2_PKT3_S7_PT4_21rocsparse_index_base_b.num_vgpr, 10
	.set _ZN9rocsparseL29csrmvn_lrb_medium_rows_kernelILj256Eli18rocsparse_bfloat16S1_ffEEvbT0_PT1_S4_jNS_24const_host_device_scalarIT5_EEPKS2_PKS3_PKT2_PKT3_S7_PT4_21rocsparse_index_base_b.num_agpr, 0
	.set _ZN9rocsparseL29csrmvn_lrb_medium_rows_kernelILj256Eli18rocsparse_bfloat16S1_ffEEvbT0_PT1_S4_jNS_24const_host_device_scalarIT5_EEPKS2_PKS3_PKT2_PKT3_S7_PT4_21rocsparse_index_base_b.numbered_sgpr, 20
	.set _ZN9rocsparseL29csrmvn_lrb_medium_rows_kernelILj256Eli18rocsparse_bfloat16S1_ffEEvbT0_PT1_S4_jNS_24const_host_device_scalarIT5_EEPKS2_PKS3_PKT2_PKT3_S7_PT4_21rocsparse_index_base_b.num_named_barrier, 0
	.set _ZN9rocsparseL29csrmvn_lrb_medium_rows_kernelILj256Eli18rocsparse_bfloat16S1_ffEEvbT0_PT1_S4_jNS_24const_host_device_scalarIT5_EEPKS2_PKS3_PKT2_PKT3_S7_PT4_21rocsparse_index_base_b.private_seg_size, 0
	.set _ZN9rocsparseL29csrmvn_lrb_medium_rows_kernelILj256Eli18rocsparse_bfloat16S1_ffEEvbT0_PT1_S4_jNS_24const_host_device_scalarIT5_EEPKS2_PKS3_PKT2_PKT3_S7_PT4_21rocsparse_index_base_b.uses_vcc, 1
	.set _ZN9rocsparseL29csrmvn_lrb_medium_rows_kernelILj256Eli18rocsparse_bfloat16S1_ffEEvbT0_PT1_S4_jNS_24const_host_device_scalarIT5_EEPKS2_PKS3_PKT2_PKT3_S7_PT4_21rocsparse_index_base_b.uses_flat_scratch, 0
	.set _ZN9rocsparseL29csrmvn_lrb_medium_rows_kernelILj256Eli18rocsparse_bfloat16S1_ffEEvbT0_PT1_S4_jNS_24const_host_device_scalarIT5_EEPKS2_PKS3_PKT2_PKT3_S7_PT4_21rocsparse_index_base_b.has_dyn_sized_stack, 0
	.set _ZN9rocsparseL29csrmvn_lrb_medium_rows_kernelILj256Eli18rocsparse_bfloat16S1_ffEEvbT0_PT1_S4_jNS_24const_host_device_scalarIT5_EEPKS2_PKS3_PKT2_PKT3_S7_PT4_21rocsparse_index_base_b.has_recursion, 0
	.set _ZN9rocsparseL29csrmvn_lrb_medium_rows_kernelILj256Eli18rocsparse_bfloat16S1_ffEEvbT0_PT1_S4_jNS_24const_host_device_scalarIT5_EEPKS2_PKS3_PKT2_PKT3_S7_PT4_21rocsparse_index_base_b.has_indirect_call, 0
	.section	.AMDGPU.csdata,"",@progbits
; Kernel info:
; codeLenInByte = 1056
; TotalNumSgprs: 22
; NumVgprs: 10
; ScratchSize: 0
; MemoryBound: 0
; FloatMode: 240
; IeeeMode: 1
; LDSByteSize: 1024 bytes/workgroup (compile time only)
; SGPRBlocks: 0
; VGPRBlocks: 0
; NumSGPRsForWavesPerEU: 22
; NumVGPRsForWavesPerEU: 10
; NamedBarCnt: 0
; Occupancy: 16
; WaveLimiterHint : 1
; COMPUTE_PGM_RSRC2:SCRATCH_EN: 0
; COMPUTE_PGM_RSRC2:USER_SGPR: 2
; COMPUTE_PGM_RSRC2:TRAP_HANDLER: 0
; COMPUTE_PGM_RSRC2:TGID_X_EN: 1
; COMPUTE_PGM_RSRC2:TGID_Y_EN: 0
; COMPUTE_PGM_RSRC2:TGID_Z_EN: 0
; COMPUTE_PGM_RSRC2:TIDIG_COMP_CNT: 0
	.section	.text._ZN9rocsparseL27csrmvn_lrb_long_rows_kernelIli18rocsparse_bfloat16S1_ffEEvbT_PjPT0_S5_jNS_24const_host_device_scalarIT4_EEPKS2_PKS4_PKT1_PKT2_S8_PT3_21rocsparse_index_base_b,"axG",@progbits,_ZN9rocsparseL27csrmvn_lrb_long_rows_kernelIli18rocsparse_bfloat16S1_ffEEvbT_PjPT0_S5_jNS_24const_host_device_scalarIT4_EEPKS2_PKS4_PKT1_PKT2_S8_PT3_21rocsparse_index_base_b,comdat
	.globl	_ZN9rocsparseL27csrmvn_lrb_long_rows_kernelIli18rocsparse_bfloat16S1_ffEEvbT_PjPT0_S5_jNS_24const_host_device_scalarIT4_EEPKS2_PKS4_PKT1_PKT2_S8_PT3_21rocsparse_index_base_b ; -- Begin function _ZN9rocsparseL27csrmvn_lrb_long_rows_kernelIli18rocsparse_bfloat16S1_ffEEvbT_PjPT0_S5_jNS_24const_host_device_scalarIT4_EEPKS2_PKS4_PKT1_PKT2_S8_PT3_21rocsparse_index_base_b
	.p2align	8
	.type	_ZN9rocsparseL27csrmvn_lrb_long_rows_kernelIli18rocsparse_bfloat16S1_ffEEvbT_PjPT0_S5_jNS_24const_host_device_scalarIT4_EEPKS2_PKS4_PKT1_PKT2_S8_PT3_21rocsparse_index_base_b,@function
_ZN9rocsparseL27csrmvn_lrb_long_rows_kernelIli18rocsparse_bfloat16S1_ffEEvbT_PjPT0_S5_jNS_24const_host_device_scalarIT4_EEPKS2_PKS4_PKT1_PKT2_S8_PT3_21rocsparse_index_base_b: ; @_ZN9rocsparseL27csrmvn_lrb_long_rows_kernelIli18rocsparse_bfloat16S1_ffEEvbT_PjPT0_S5_jNS_24const_host_device_scalarIT4_EEPKS2_PKS4_PKT1_PKT2_S8_PT3_21rocsparse_index_base_b
; %bb.0:
	s_clause 0x2
	s_load_b64 s[16:17], s[0:1], 0x68
	s_load_b64 s[18:19], s[0:1], 0x30
	;; [unrolled: 1-line block ×3, first 2 shown]
	s_wait_kmcnt 0x0
	s_bitcmp1_b32 s17, 0
	s_cselect_b32 s2, -1, 0
	s_delay_alu instid0(SALU_CYCLE_1)
	s_and_b32 vcc_lo, exec_lo, s2
	s_xor_b32 s2, s2, -1
	s_cbranch_vccnz .LBB145_2
; %bb.1:
	s_load_b32 s18, s[18:19], 0x0
.LBB145_2:
	s_and_not1_b32 vcc_lo, exec_lo, s2
	s_cbranch_vccnz .LBB145_4
; %bb.3:
	s_load_b32 s20, s[20:21], 0x0
.LBB145_4:
	s_wait_kmcnt 0x0
	s_cmp_neq_f32 s18, 0
	s_cselect_b32 s2, -1, 0
	s_cmp_neq_f32 s20, 1.0
	s_cselect_b32 s3, -1, 0
	s_delay_alu instid0(SALU_CYCLE_1) | instskip(NEXT) | instid1(SALU_CYCLE_1)
	s_or_b32 s2, s2, s3
	s_and_not1_b32 vcc_lo, exec_lo, s2
	s_cbranch_vccnz .LBB145_38
; %bb.5:
	s_load_b96 s[4:6], s[0:1], 0x20
	s_bfe_u32 s8, ttmp6, 0x4000c
	s_and_b32 s7, ttmp6, 15
	s_add_co_i32 s8, s8, 1
	s_getreg_b32 s9, hwreg(HW_REG_IB_STS2, 6, 4)
	s_mul_i32 s8, ttmp9, s8
	v_mov_b32_e32 v10, 0
	s_add_co_i32 s7, s7, s8
	s_wait_kmcnt 0x0
	s_lshl_b32 s2, -1, s6
	s_load_b32 s8, s[4:5], s6 offset:0x0 scale_offset
	s_not_b32 s2, s2
	s_delay_alu instid0(SALU_CYCLE_1) | instskip(NEXT) | instid1(SALU_CYCLE_1)
	s_mul_hi_u32 s2, s2, 0x2aaaaaab
	s_lshr_b32 s2, s2, 7
	s_delay_alu instid0(SALU_CYCLE_1) | instskip(SKIP_2) | instid1(SALU_CYCLE_3)
	s_add_co_i32 s17, s2, 1
	s_not_b32 s2, s2
	s_cvt_f32_u32 s3, s17
	v_rcp_iflag_f32_e32 v1, s3
	v_nop
	s_delay_alu instid0(TRANS32_DEP_1) | instskip(SKIP_1) | instid1(SALU_CYCLE_3)
	v_readfirstlane_b32 s3, v1
	s_mul_f32 s3, s3, 0x4f7ffffe
	s_cvt_u32_f32 s3, s3
	s_delay_alu instid0(SALU_CYCLE_3) | instskip(NEXT) | instid1(SALU_CYCLE_1)
	s_mul_i32 s2, s2, s3
	s_mul_hi_u32 s2, s3, s2
	s_delay_alu instid0(SALU_CYCLE_1)
	s_add_co_i32 s3, s3, s2
	s_cmp_eq_u32 s9, 0
	s_cselect_b32 s22, ttmp9, s7
	s_wait_xcnt 0x0
	s_load_b128 s[4:7], s[0:1], 0x10
	s_mul_hi_u32 s2, s22, s3
	s_delay_alu instid0(SALU_CYCLE_1) | instskip(SKIP_2) | instid1(SALU_CYCLE_1)
	s_mul_i32 s3, s2, s17
	s_add_co_i32 s9, s2, 1
	s_sub_co_i32 s3, s22, s3
	s_sub_co_i32 s10, s3, s17
	s_cmp_ge_u32 s3, s17
	s_cselect_b32 s2, s9, s2
	s_cselect_b32 s3, s10, s3
	s_add_co_i32 s9, s2, 1
	s_cmp_ge_u32 s3, s17
	s_cselect_b32 s21, s9, s2
	s_ashr_i32 s23, s22, 31
	s_wait_kmcnt 0x0
	s_add_co_i32 s2, s21, s8
	s_lshl_b64 s[12:13], s[22:23], 2
	s_ashr_i32 s3, s2, 31
	s_add_nc_u64 s[12:13], s[4:5], s[12:13]
	s_lshl_b64 s[2:3], s[2:3], 2
	s_delay_alu instid0(SALU_CYCLE_1)
	s_add_nc_u64 s[8:9], s[6:7], s[2:3]
	s_load_b32 s2, s[8:9], 0x0
	s_clause 0x1
	s_load_b64 s[10:11], s[0:1], 0x38
	s_load_b64 s[6:7], s[0:1], 0x60
	s_wait_kmcnt 0x0
	s_ashr_i32 s3, s2, 31
	s_delay_alu instid0(SALU_CYCLE_1) | instskip(NEXT) | instid1(SALU_CYCLE_1)
	s_lshl_b64 s[8:9], s[2:3], 3
	s_add_nc_u64 s[14:15], s[10:11], s[8:9]
	s_load_b128 s[8:11], s[14:15], 0x0
	s_load_b32 s19, s[12:13], 0x0
	s_wait_xcnt 0x0
	s_mul_i32 s14, s21, s17
	s_delay_alu instid0(SALU_CYCLE_1) | instskip(NEXT) | instid1(SALU_CYCLE_1)
	s_sub_co_i32 s15, s22, s14
	v_or_b32_e32 v1, s15, v0
	s_delay_alu instid0(VALU_DEP_1)
	v_cmp_eq_u32_e32 vcc_lo, 0, v1
	v_mov_b32_e32 v1, 0
	s_and_saveexec_b32 s17, vcc_lo
	s_cbranch_execz .LBB145_9
; %bb.6:
	s_lshl_b64 s[22:23], s[2:3], 2
	s_add_f32 s20, s20, -1.0
	s_add_nc_u64 s[22:23], s[6:7], s[22:23]
	s_mov_b32 s21, exec_lo
	s_load_b32 s22, s[22:23], 0x0
	v_mbcnt_lo_u32_b32 v2, s21, 0
	global_wb scope:SCOPE_DEV
	s_wait_storecnt 0x0
	global_inv scope:SCOPE_DEV
	s_wait_kmcnt 0x0
	s_mul_f32 s20, s20, s22
	s_mov_b32 s22, exec_lo
	v_cmpx_eq_u32_e32 0, v2
	s_cbranch_execz .LBB145_8
; %bb.7:
	s_bcnt1_i32_b32 s21, s21
	s_delay_alu instid0(SALU_CYCLE_1) | instskip(NEXT) | instid1(SALU_CYCLE_1)
	s_and_b32 s21, s21, 1
	v_dual_mov_b32 v2, s14 :: v_dual_mov_b32 v3, s21
	global_atomic_xor_b32 v2, v3, s[4:5] scale_offset scope:SCOPE_DEV
.LBB145_8:
	s_wait_xcnt 0x0
	s_or_b32 exec_lo, exec_lo, s22
	v_mov_b32_e32 v10, s20
.LBB145_9:
	s_or_b32 exec_lo, exec_lo, s17
	s_mov_b32 s21, 0
	s_mul_i32 s20, s15, 3
	s_mov_b32 s17, s21
	s_lshl_b64 s[22:23], s[20:21], 8
	s_wait_kmcnt 0x0
	s_sub_nc_u64 s[8:9], s[8:9], s[16:17]
	s_sub_nc_u64 s[10:11], s[10:11], s[16:17]
	s_add_nc_u64 s[8:9], s[8:9], s[22:23]
	s_delay_alu instid0(SALU_CYCLE_1) | instskip(SKIP_3) | instid1(VALU_DEP_1)
	s_add_nc_u64 s[22:23], s[8:9], 0x300
	v_add_nc_u64_e32 v[4:5], s[8:9], v[0:1]
	v_min_i64 v[2:3], s[22:23], s[10:11]
	s_mov_b32 s10, exec_lo
	v_cmpx_lt_i64_e64 v[4:5], v[2:3]
	s_cbranch_execz .LBB145_13
; %bb.10:
	s_clause 0x1
	s_load_b128 s[24:27], s[0:1], 0x40
	s_load_b64 s[8:9], s[0:1], 0x50
	s_wait_kmcnt 0x0
	v_lshl_add_u64 v[6:7], v[4:5], 1, s[26:27]
	v_lshl_add_u64 v[8:9], v[4:5], 2, s[24:25]
.LBB145_11:                             ; =>This Inner Loop Header: Depth=1
	global_load_b32 v1, v[8:9], off
	global_load_u16 v11, v[6:7], off
	v_add_nc_u64_e32 v[4:5], 0x100, v[4:5]
	s_wait_xcnt 0x0
	v_add_nc_u64_e32 v[6:7], 0x200, v[6:7]
	v_add_nc_u64_e32 v[8:9], 0x400, v[8:9]
	s_delay_alu instid0(VALU_DEP_3)
	v_cmp_ge_i64_e32 vcc_lo, v[4:5], v[2:3]
	s_or_b32 s21, vcc_lo, s21
	s_wait_loadcnt 0x1
	v_subrev_nc_u32_e32 v1, s16, v1
	s_wait_loadcnt 0x0
	v_lshlrev_b32_e32 v11, 16, v11
	global_load_u16 v1, v1, s[8:9] scale_offset
	v_mul_f32_e32 v11, s18, v11
	s_wait_loadcnt 0x0
	s_delay_alu instid0(VALU_DEP_1)
	v_fma_mix_f32_bf16 v10, v11, v1, v10 op_sel_hi:[0,1,0]
	s_wait_xcnt 0x0
	s_and_not1_b32 exec_lo, exec_lo, s21
	s_cbranch_execnz .LBB145_11
; %bb.12:
	s_or_b32 exec_lo, exec_lo, s21
.LBB145_13:
	s_delay_alu instid0(SALU_CYCLE_1)
	s_or_b32 exec_lo, exec_lo, s10
	v_lshlrev_b32_e32 v1, 2, v0
	s_mov_b32 s0, exec_lo
	ds_store_b32 v1, v10
	s_wait_storecnt 0x0
	s_wait_loadcnt_dscnt 0x0
	s_barrier_signal -1
	s_barrier_wait -1
	v_cmpx_gt_u32_e32 0x80, v0
	s_cbranch_execz .LBB145_15
; %bb.14:
	ds_load_2addr_stride64_b32 v[2:3], v1 offset1:2
	s_wait_dscnt 0x0
	v_add_f32_e32 v2, v2, v3
	ds_store_b32 v1, v2
.LBB145_15:
	s_or_b32 exec_lo, exec_lo, s0
	s_delay_alu instid0(SALU_CYCLE_1)
	s_mov_b32 s0, exec_lo
	s_wait_dscnt 0x0
	s_barrier_signal -1
	s_barrier_wait -1
	v_cmpx_gt_u32_e32 64, v0
	s_cbranch_execz .LBB145_17
; %bb.16:
	ds_load_2addr_stride64_b32 v[2:3], v1 offset1:1
	s_wait_dscnt 0x0
	v_add_f32_e32 v2, v2, v3
	ds_store_b32 v1, v2
.LBB145_17:
	s_or_b32 exec_lo, exec_lo, s0
	s_delay_alu instid0(SALU_CYCLE_1)
	s_mov_b32 s0, exec_lo
	s_wait_dscnt 0x0
	s_barrier_signal -1
	s_barrier_wait -1
	v_cmpx_gt_u32_e32 32, v0
	s_cbranch_execz .LBB145_19
; %bb.18:
	ds_load_2addr_b32 v[2:3], v1 offset1:32
	s_wait_dscnt 0x0
	v_add_f32_e32 v2, v2, v3
	ds_store_b32 v1, v2
.LBB145_19:
	s_or_b32 exec_lo, exec_lo, s0
	s_delay_alu instid0(SALU_CYCLE_1)
	s_mov_b32 s0, exec_lo
	s_wait_dscnt 0x0
	s_barrier_signal -1
	s_barrier_wait -1
	v_cmpx_gt_u32_e32 16, v0
	s_cbranch_execz .LBB145_21
; %bb.20:
	ds_load_2addr_b32 v[2:3], v1 offset1:16
	s_wait_dscnt 0x0
	v_add_f32_e32 v2, v2, v3
	ds_store_b32 v1, v2
.LBB145_21:
	;; [unrolled: 14-line block ×5, first 2 shown]
	s_or_b32 exec_lo, exec_lo, s0
	v_cmp_eq_u32_e32 vcc_lo, 0, v0
	s_wait_dscnt 0x0
	s_barrier_signal -1
	s_barrier_wait -1
	s_and_saveexec_b32 s0, vcc_lo
	s_cbranch_execz .LBB145_29
; %bb.28:
	v_mov_b32_e32 v2, 0
	ds_load_b64 v[0:1], v2
	s_wait_dscnt 0x0
	v_add_f32_e32 v0, v0, v1
	ds_store_b32 v2, v0
.LBB145_29:
	s_or_b32 exec_lo, exec_lo, s0
	s_wait_dscnt 0x0
	s_barrier_signal -1
	s_barrier_wait -1
	s_and_saveexec_b32 s0, vcc_lo
	s_cbranch_execz .LBB145_38
; %bb.30:
	s_cmp_eq_u32 s15, 0
	s_cbranch_scc1 .LBB145_36
; %bb.31:
	s_ashr_i32 s15, s14, 31
	v_mov_b32_e32 v0, 0
	s_lshl_b64 s[0:1], s[14:15], 2
	s_delay_alu instid0(SALU_CYCLE_1)
	s_add_nc_u64 s[0:1], s[4:5], s[0:1]
	s_branch .LBB145_33
.LBB145_32:                             ;   in Loop: Header=BB145_33 Depth=1
	s_wait_xcnt 0x0
	s_or_b32 exec_lo, exec_lo, s4
	s_wait_loadcnt 0x0
	v_readfirstlane_b32 s4, v1
	s_cmp_eq_u32 s4, s19
	s_cbranch_scc0 .LBB145_35
.LBB145_33:                             ; =>This Inner Loop Header: Depth=1
	v_mbcnt_lo_u32_b32 v1, exec_lo, 0
	s_delay_alu instid0(VALU_DEP_1)
	v_cmp_eq_u32_e32 vcc_lo, 0, v1
                                        ; implicit-def: $vgpr1
	s_and_saveexec_b32 s4, vcc_lo
	s_cbranch_execz .LBB145_32
; %bb.34:                               ;   in Loop: Header=BB145_33 Depth=1
	global_load_b32 v1, v0, s[0:1] scope:SCOPE_DEV
	s_branch .LBB145_32
.LBB145_35:
	v_mov_b32_e32 v0, 0
	global_load_u16 v1, v0, s[12:13]
	s_wait_loadcnt 0x0
	v_xor_b32_e32 v1, 1, v1
	global_store_b16 v0, v1, s[12:13]
.LBB145_36:
	s_mov_b32 s0, exec_lo
	s_wait_xcnt 0x0
	v_mbcnt_lo_u32_b32 v0, s0, 0
	s_delay_alu instid0(VALU_DEP_1) | instskip(SKIP_1) | instid1(SALU_CYCLE_1)
	v_cmp_eq_u32_e32 vcc_lo, 0, v0
	s_and_b32 s1, exec_lo, vcc_lo
	s_mov_b32 exec_lo, s1
	s_cbranch_execz .LBB145_38
; %bb.37:
	s_bcnt1_i32_b32 s0, s0
	s_delay_alu instid0(SALU_CYCLE_1) | instskip(SKIP_2) | instid1(SALU_CYCLE_1)
	v_cvt_f32_ubyte0_e32 v2, s0
	v_mov_b32_e32 v0, 0
	s_lshl_b64 s[0:1], s[2:3], 2
	s_add_nc_u64 s[0:1], s[6:7], s[0:1]
	ds_load_b32 v1, v0
	s_wait_dscnt 0x0
	v_mul_f32_e32 v1, v1, v2
	global_atomic_add_f32 v0, v1, s[0:1] scope:SCOPE_DEV
.LBB145_38:
	s_endpgm
	.section	.rodata,"a",@progbits
	.p2align	6, 0x0
	.amdhsa_kernel _ZN9rocsparseL27csrmvn_lrb_long_rows_kernelIli18rocsparse_bfloat16S1_ffEEvbT_PjPT0_S5_jNS_24const_host_device_scalarIT4_EEPKS2_PKS4_PKT1_PKT2_S8_PT3_21rocsparse_index_base_b
		.amdhsa_group_segment_fixed_size 1024
		.amdhsa_private_segment_fixed_size 0
		.amdhsa_kernarg_size 112
		.amdhsa_user_sgpr_count 2
		.amdhsa_user_sgpr_dispatch_ptr 0
		.amdhsa_user_sgpr_queue_ptr 0
		.amdhsa_user_sgpr_kernarg_segment_ptr 1
		.amdhsa_user_sgpr_dispatch_id 0
		.amdhsa_user_sgpr_kernarg_preload_length 0
		.amdhsa_user_sgpr_kernarg_preload_offset 0
		.amdhsa_user_sgpr_private_segment_size 0
		.amdhsa_wavefront_size32 1
		.amdhsa_uses_dynamic_stack 0
		.amdhsa_enable_private_segment 0
		.amdhsa_system_sgpr_workgroup_id_x 1
		.amdhsa_system_sgpr_workgroup_id_y 0
		.amdhsa_system_sgpr_workgroup_id_z 0
		.amdhsa_system_sgpr_workgroup_info 0
		.amdhsa_system_vgpr_workitem_id 0
		.amdhsa_next_free_vgpr 12
		.amdhsa_next_free_sgpr 28
		.amdhsa_named_barrier_count 0
		.amdhsa_reserve_vcc 1
		.amdhsa_float_round_mode_32 0
		.amdhsa_float_round_mode_16_64 0
		.amdhsa_float_denorm_mode_32 3
		.amdhsa_float_denorm_mode_16_64 3
		.amdhsa_fp16_overflow 0
		.amdhsa_memory_ordered 1
		.amdhsa_forward_progress 1
		.amdhsa_inst_pref_size 13
		.amdhsa_round_robin_scheduling 0
		.amdhsa_exception_fp_ieee_invalid_op 0
		.amdhsa_exception_fp_denorm_src 0
		.amdhsa_exception_fp_ieee_div_zero 0
		.amdhsa_exception_fp_ieee_overflow 0
		.amdhsa_exception_fp_ieee_underflow 0
		.amdhsa_exception_fp_ieee_inexact 0
		.amdhsa_exception_int_div_zero 0
	.end_amdhsa_kernel
	.section	.text._ZN9rocsparseL27csrmvn_lrb_long_rows_kernelIli18rocsparse_bfloat16S1_ffEEvbT_PjPT0_S5_jNS_24const_host_device_scalarIT4_EEPKS2_PKS4_PKT1_PKT2_S8_PT3_21rocsparse_index_base_b,"axG",@progbits,_ZN9rocsparseL27csrmvn_lrb_long_rows_kernelIli18rocsparse_bfloat16S1_ffEEvbT_PjPT0_S5_jNS_24const_host_device_scalarIT4_EEPKS2_PKS4_PKT1_PKT2_S8_PT3_21rocsparse_index_base_b,comdat
.Lfunc_end145:
	.size	_ZN9rocsparseL27csrmvn_lrb_long_rows_kernelIli18rocsparse_bfloat16S1_ffEEvbT_PjPT0_S5_jNS_24const_host_device_scalarIT4_EEPKS2_PKS4_PKT1_PKT2_S8_PT3_21rocsparse_index_base_b, .Lfunc_end145-_ZN9rocsparseL27csrmvn_lrb_long_rows_kernelIli18rocsparse_bfloat16S1_ffEEvbT_PjPT0_S5_jNS_24const_host_device_scalarIT4_EEPKS2_PKS4_PKT1_PKT2_S8_PT3_21rocsparse_index_base_b
                                        ; -- End function
	.set _ZN9rocsparseL27csrmvn_lrb_long_rows_kernelIli18rocsparse_bfloat16S1_ffEEvbT_PjPT0_S5_jNS_24const_host_device_scalarIT4_EEPKS2_PKS4_PKT1_PKT2_S8_PT3_21rocsparse_index_base_b.num_vgpr, 12
	.set _ZN9rocsparseL27csrmvn_lrb_long_rows_kernelIli18rocsparse_bfloat16S1_ffEEvbT_PjPT0_S5_jNS_24const_host_device_scalarIT4_EEPKS2_PKS4_PKT1_PKT2_S8_PT3_21rocsparse_index_base_b.num_agpr, 0
	.set _ZN9rocsparseL27csrmvn_lrb_long_rows_kernelIli18rocsparse_bfloat16S1_ffEEvbT_PjPT0_S5_jNS_24const_host_device_scalarIT4_EEPKS2_PKS4_PKT1_PKT2_S8_PT3_21rocsparse_index_base_b.numbered_sgpr, 28
	.set _ZN9rocsparseL27csrmvn_lrb_long_rows_kernelIli18rocsparse_bfloat16S1_ffEEvbT_PjPT0_S5_jNS_24const_host_device_scalarIT4_EEPKS2_PKS4_PKT1_PKT2_S8_PT3_21rocsparse_index_base_b.num_named_barrier, 0
	.set _ZN9rocsparseL27csrmvn_lrb_long_rows_kernelIli18rocsparse_bfloat16S1_ffEEvbT_PjPT0_S5_jNS_24const_host_device_scalarIT4_EEPKS2_PKS4_PKT1_PKT2_S8_PT3_21rocsparse_index_base_b.private_seg_size, 0
	.set _ZN9rocsparseL27csrmvn_lrb_long_rows_kernelIli18rocsparse_bfloat16S1_ffEEvbT_PjPT0_S5_jNS_24const_host_device_scalarIT4_EEPKS2_PKS4_PKT1_PKT2_S8_PT3_21rocsparse_index_base_b.uses_vcc, 1
	.set _ZN9rocsparseL27csrmvn_lrb_long_rows_kernelIli18rocsparse_bfloat16S1_ffEEvbT_PjPT0_S5_jNS_24const_host_device_scalarIT4_EEPKS2_PKS4_PKT1_PKT2_S8_PT3_21rocsparse_index_base_b.uses_flat_scratch, 0
	.set _ZN9rocsparseL27csrmvn_lrb_long_rows_kernelIli18rocsparse_bfloat16S1_ffEEvbT_PjPT0_S5_jNS_24const_host_device_scalarIT4_EEPKS2_PKS4_PKT1_PKT2_S8_PT3_21rocsparse_index_base_b.has_dyn_sized_stack, 0
	.set _ZN9rocsparseL27csrmvn_lrb_long_rows_kernelIli18rocsparse_bfloat16S1_ffEEvbT_PjPT0_S5_jNS_24const_host_device_scalarIT4_EEPKS2_PKS4_PKT1_PKT2_S8_PT3_21rocsparse_index_base_b.has_recursion, 0
	.set _ZN9rocsparseL27csrmvn_lrb_long_rows_kernelIli18rocsparse_bfloat16S1_ffEEvbT_PjPT0_S5_jNS_24const_host_device_scalarIT4_EEPKS2_PKS4_PKT1_PKT2_S8_PT3_21rocsparse_index_base_b.has_indirect_call, 0
	.section	.AMDGPU.csdata,"",@progbits
; Kernel info:
; codeLenInByte = 1548
; TotalNumSgprs: 30
; NumVgprs: 12
; ScratchSize: 0
; MemoryBound: 0
; FloatMode: 240
; IeeeMode: 1
; LDSByteSize: 1024 bytes/workgroup (compile time only)
; SGPRBlocks: 0
; VGPRBlocks: 0
; NumSGPRsForWavesPerEU: 30
; NumVGPRsForWavesPerEU: 12
; NamedBarCnt: 0
; Occupancy: 16
; WaveLimiterHint : 1
; COMPUTE_PGM_RSRC2:SCRATCH_EN: 0
; COMPUTE_PGM_RSRC2:USER_SGPR: 2
; COMPUTE_PGM_RSRC2:TRAP_HANDLER: 0
; COMPUTE_PGM_RSRC2:TGID_X_EN: 1
; COMPUTE_PGM_RSRC2:TGID_Y_EN: 0
; COMPUTE_PGM_RSRC2:TGID_Z_EN: 0
; COMPUTE_PGM_RSRC2:TIDIG_COMP_CNT: 0
	.section	.text._ZN9rocsparseL28csrmvn_lrb_short_rows_kernelIll18rocsparse_bfloat16S1_ffEEvbT_PT0_S4_jNS_24const_host_device_scalarIT4_EEPKS2_PKS3_PKT1_PKT2_S7_PT3_21rocsparse_index_base_b,"axG",@progbits,_ZN9rocsparseL28csrmvn_lrb_short_rows_kernelIll18rocsparse_bfloat16S1_ffEEvbT_PT0_S4_jNS_24const_host_device_scalarIT4_EEPKS2_PKS3_PKT1_PKT2_S7_PT3_21rocsparse_index_base_b,comdat
	.globl	_ZN9rocsparseL28csrmvn_lrb_short_rows_kernelIll18rocsparse_bfloat16S1_ffEEvbT_PT0_S4_jNS_24const_host_device_scalarIT4_EEPKS2_PKS3_PKT1_PKT2_S7_PT3_21rocsparse_index_base_b ; -- Begin function _ZN9rocsparseL28csrmvn_lrb_short_rows_kernelIll18rocsparse_bfloat16S1_ffEEvbT_PT0_S4_jNS_24const_host_device_scalarIT4_EEPKS2_PKS3_PKT1_PKT2_S7_PT3_21rocsparse_index_base_b
	.p2align	8
	.type	_ZN9rocsparseL28csrmvn_lrb_short_rows_kernelIll18rocsparse_bfloat16S1_ffEEvbT_PT0_S4_jNS_24const_host_device_scalarIT4_EEPKS2_PKS3_PKT1_PKT2_S7_PT3_21rocsparse_index_base_b,@function
_ZN9rocsparseL28csrmvn_lrb_short_rows_kernelIll18rocsparse_bfloat16S1_ffEEvbT_PT0_S4_jNS_24const_host_device_scalarIT4_EEPKS2_PKS3_PKT1_PKT2_S7_PT3_21rocsparse_index_base_b: ; @_ZN9rocsparseL28csrmvn_lrb_short_rows_kernelIll18rocsparse_bfloat16S1_ffEEvbT_PT0_S4_jNS_24const_host_device_scalarIT4_EEPKS2_PKS3_PKT1_PKT2_S7_PT3_21rocsparse_index_base_b
; %bb.0:
	s_clause 0x2
	s_load_b64 s[16:17], s[0:1], 0x60
	s_load_b64 s[18:19], s[0:1], 0x28
	;; [unrolled: 1-line block ×3, first 2 shown]
	s_wait_kmcnt 0x0
	s_bitcmp1_b32 s17, 0
	s_cselect_b32 s4, -1, 0
	s_delay_alu instid0(SALU_CYCLE_1)
	s_and_b32 vcc_lo, exec_lo, s4
	s_xor_b32 s4, s4, -1
	s_cbranch_vccnz .LBB146_2
; %bb.1:
	s_load_b32 s18, s[18:19], 0x0
.LBB146_2:
	s_and_not1_b32 vcc_lo, exec_lo, s4
	s_cbranch_vccnz .LBB146_4
; %bb.3:
	s_load_b32 s2, s[2:3], 0x0
.LBB146_4:
	s_wait_kmcnt 0x0
	s_cmp_neq_f32 s18, 0
	s_mov_b32 s5, 0
	s_cselect_b32 s3, -1, 0
	s_cmp_neq_f32 s2, 1.0
	s_cselect_b32 s4, -1, 0
	s_delay_alu instid0(SALU_CYCLE_1) | instskip(NEXT) | instid1(SALU_CYCLE_1)
	s_or_b32 s3, s3, s4
	s_and_not1_b32 vcc_lo, exec_lo, s3
	s_cbranch_vccnz .LBB146_18
; %bb.5:
	s_clause 0x1
	s_load_b32 s3, s[0:1], 0x20
	s_load_b128 s[12:15], s[0:1], 0x10
	s_getreg_b32 s7, hwreg(HW_REG_IB_STS2, 6, 4)
	s_wait_kmcnt 0x0
	s_add_co_i32 s4, s3, 1
	s_delay_alu instid0(SALU_CYCLE_1) | instskip(NEXT) | instid1(SALU_CYCLE_1)
	s_lshl_b64 s[4:5], s[4:5], 3
	s_add_nc_u64 s[4:5], s[14:15], s[4:5]
	s_clause 0x1
	s_load_b64 s[20:21], s[14:15], s3 offset:0x0 scale_offset
	s_load_b32 s6, s[4:5], 0x0
	s_wait_xcnt 0x0
	s_bfe_u32 s4, ttmp6, 0x4000c
	s_and_b32 s5, ttmp6, 15
	s_add_co_i32 s4, s4, 1
	s_delay_alu instid0(SALU_CYCLE_1) | instskip(NEXT) | instid1(SALU_CYCLE_1)
	s_mul_i32 s4, ttmp9, s4
	s_add_co_i32 s5, s5, s4
	s_wait_kmcnt 0x0
	s_sub_co_i32 s6, s6, s20
	s_cmp_eq_u32 s7, 0
	s_cselect_b32 s4, ttmp9, s5
	s_delay_alu instid0(SALU_CYCLE_1) | instskip(NEXT) | instid1(SALU_CYCLE_1)
	s_lshl_b32 s14, s4, 8
	s_add_co_i32 s4, s14, 0x100
	s_delay_alu instid0(SALU_CYCLE_1)
	s_min_u32 s15, s6, s4
	s_cmp_gt_u32 s3, 23
	s_cbranch_scc1 .LBB146_12
; %bb.6:
	s_load_b256 s[4:11], s[0:1], 0x30
	v_bfe_u32 v6, v0, 0, s3
	v_mov_b32_e32 v7, 0
	v_lshl_add_u32 v1, v0, 2, 0
	s_lshl_b64 s[22:23], s[20:21], 3
	s_mov_b32 s17, 0
	s_lshl_b32 s19, 0x100, s3
	s_add_nc_u64 s[22:23], s[12:13], s[22:23]
	s_mov_b32 s24, s17
	s_branch .LBB146_9
.LBB146_7:                              ;   in Loop: Header=BB146_9 Depth=1
	s_or_b32 exec_lo, exec_lo, s26
	ds_store_b32 v1, v4
.LBB146_8:                              ;   in Loop: Header=BB146_9 Depth=1
	s_or_b32 exec_lo, exec_lo, s25
	v_add_nc_u32_e32 v1, 0x400, v1
	s_addk_co_i32 s24, 0x100
	s_delay_alu instid0(SALU_CYCLE_1)
	s_cmp_ge_u32 s24, s19
	s_cbranch_scc1 .LBB146_12
.LBB146_9:                              ; =>This Inner Loop Header: Depth=1
	v_add_nc_u32_e32 v2, s24, v0
	s_mov_b32 s25, exec_lo
	s_delay_alu instid0(VALU_DEP_1) | instskip(NEXT) | instid1(VALU_DEP_1)
	v_lshrrev_b32_e32 v2, s3, v2
	v_add_nc_u32_e32 v2, s14, v2
	s_delay_alu instid0(VALU_DEP_1)
	v_cmpx_gt_u32_e64 s15, v2
	s_cbranch_execz .LBB146_8
; %bb.10:                               ;   in Loop: Header=BB146_9 Depth=1
	global_load_b64 v[2:3], v2, s[22:23] scale_offset
	s_wait_loadcnt 0x0
	s_wait_kmcnt 0x0
	s_wait_xcnt 0x0
	v_lshl_add_u64 v[2:3], v[2:3], 3, s[4:5]
	global_load_b128 v[2:5], v[2:3], off
	s_wait_loadcnt 0x0
	v_sub_nc_u64_e32 v[4:5], v[4:5], v[2:3]
	s_delay_alu instid0(VALU_DEP_1)
	v_cmp_gt_i64_e32 vcc_lo, v[4:5], v[6:7]
	v_mov_b32_e32 v4, 0
	s_wait_xcnt 0x0
	s_and_saveexec_b32 s26, vcc_lo
	s_cbranch_execz .LBB146_7
; %bb.11:                               ;   in Loop: Header=BB146_9 Depth=1
	v_sub_nc_u64_e64 v[2:3], v[2:3], s[16:17]
	s_delay_alu instid0(VALU_DEP_1) | instskip(NEXT) | instid1(VALU_DEP_1)
	v_add_nc_u64_e32 v[2:3], v[2:3], v[6:7]
	v_lshl_add_u64 v[4:5], v[2:3], 3, s[6:7]
	v_lshl_add_u64 v[2:3], v[2:3], 1, s[8:9]
	global_load_b64 v[4:5], v[4:5], off
	global_load_u16 v8, v[2:3], off
	s_wait_loadcnt 0x1
	s_wait_xcnt 0x1
	v_sub_nc_u64_e64 v[4:5], v[4:5], s[16:17]
	s_wait_xcnt 0x0
	s_delay_alu instid0(VALU_DEP_1) | instskip(SKIP_4) | instid1(VALU_DEP_1)
	v_lshl_add_u64 v[2:3], v[4:5], 1, s[10:11]
	global_load_u16 v2, v[2:3], off
	s_wait_loadcnt 0x0
	s_wait_xcnt 0x0
	v_dual_lshlrev_b32 v3, 16, v8 :: v_dual_lshlrev_b32 v2, 16, v2
	v_mul_f32_e32 v3, s18, v3
	s_delay_alu instid0(VALU_DEP_1)
	v_mul_f32_e32 v4, v3, v2
	s_branch .LBB146_7
.LBB146_12:
	s_wait_kmcnt 0x0
	s_sub_co_i32 s4, s15, s14
	s_wait_dscnt 0x0
	v_cmp_gt_u32_e32 vcc_lo, s4, v0
	s_barrier_signal -1
	s_barrier_wait -1
	s_and_saveexec_b32 s4, vcc_lo
	s_cbranch_execz .LBB146_18
; %bb.13:
	s_lshl_b64 s[4:5], s[20:21], 3
	s_mov_b32 s15, 0
	s_add_nc_u64 s[4:5], s[12:13], s[4:5]
	s_lshl_b64 s[6:7], s[14:15], 3
	s_load_b64 s[0:1], s[0:1], 0x58
	s_add_nc_u64 s[4:5], s[4:5], s[6:7]
	v_mov_b32_e32 v4, 0
	global_load_b64 v[2:3], v0, s[4:5] scale_offset
	s_wait_xcnt 0x0
	v_lshlrev_b32_e32 v0, s3, v0
	s_mov_b32 s4, 1
	s_delay_alu instid0(VALU_DEP_1)
	v_lshl_add_u32 v0, v0, 2, 0
.LBB146_14:                             ; =>This Inner Loop Header: Depth=1
	ds_load_b32 v1, v0
	v_add_nc_u32_e32 v0, 4, v0
	s_lshr_b32 s5, s4, s3
	s_add_co_i32 s4, s4, 1
	s_cmp_lg_u32 s5, 0
	s_wait_dscnt 0x0
	v_add_f32_e32 v4, v4, v1
	s_cbranch_scc0 .LBB146_14
; %bb.15:
	s_wait_loadcnt 0x0
	s_wait_kmcnt 0x0
	v_lshl_add_u64 v[0:1], v[2:3], 2, s[0:1]
	s_cmp_neq_f32 s2, 0
	s_cbranch_scc0 .LBB146_17
; %bb.16:
	global_load_b32 v2, v[0:1], off
	s_wait_loadcnt 0x0
	v_fmac_f32_e32 v4, s2, v2
.LBB146_17:
	global_store_b32 v[0:1], v4, off
.LBB146_18:
	s_endpgm
	.section	.rodata,"a",@progbits
	.p2align	6, 0x0
	.amdhsa_kernel _ZN9rocsparseL28csrmvn_lrb_short_rows_kernelIll18rocsparse_bfloat16S1_ffEEvbT_PT0_S4_jNS_24const_host_device_scalarIT4_EEPKS2_PKS3_PKT1_PKT2_S7_PT3_21rocsparse_index_base_b
		.amdhsa_group_segment_fixed_size 0
		.amdhsa_private_segment_fixed_size 0
		.amdhsa_kernarg_size 104
		.amdhsa_user_sgpr_count 2
		.amdhsa_user_sgpr_dispatch_ptr 0
		.amdhsa_user_sgpr_queue_ptr 0
		.amdhsa_user_sgpr_kernarg_segment_ptr 1
		.amdhsa_user_sgpr_dispatch_id 0
		.amdhsa_user_sgpr_kernarg_preload_length 0
		.amdhsa_user_sgpr_kernarg_preload_offset 0
		.amdhsa_user_sgpr_private_segment_size 0
		.amdhsa_wavefront_size32 1
		.amdhsa_uses_dynamic_stack 0
		.amdhsa_enable_private_segment 0
		.amdhsa_system_sgpr_workgroup_id_x 1
		.amdhsa_system_sgpr_workgroup_id_y 0
		.amdhsa_system_sgpr_workgroup_id_z 0
		.amdhsa_system_sgpr_workgroup_info 0
		.amdhsa_system_vgpr_workitem_id 0
		.amdhsa_next_free_vgpr 9
		.amdhsa_next_free_sgpr 27
		.amdhsa_named_barrier_count 0
		.amdhsa_reserve_vcc 1
		.amdhsa_float_round_mode_32 0
		.amdhsa_float_round_mode_16_64 0
		.amdhsa_float_denorm_mode_32 3
		.amdhsa_float_denorm_mode_16_64 3
		.amdhsa_fp16_overflow 0
		.amdhsa_memory_ordered 1
		.amdhsa_forward_progress 1
		.amdhsa_inst_pref_size 7
		.amdhsa_round_robin_scheduling 0
		.amdhsa_exception_fp_ieee_invalid_op 0
		.amdhsa_exception_fp_denorm_src 0
		.amdhsa_exception_fp_ieee_div_zero 0
		.amdhsa_exception_fp_ieee_overflow 0
		.amdhsa_exception_fp_ieee_underflow 0
		.amdhsa_exception_fp_ieee_inexact 0
		.amdhsa_exception_int_div_zero 0
	.end_amdhsa_kernel
	.section	.text._ZN9rocsparseL28csrmvn_lrb_short_rows_kernelIll18rocsparse_bfloat16S1_ffEEvbT_PT0_S4_jNS_24const_host_device_scalarIT4_EEPKS2_PKS3_PKT1_PKT2_S7_PT3_21rocsparse_index_base_b,"axG",@progbits,_ZN9rocsparseL28csrmvn_lrb_short_rows_kernelIll18rocsparse_bfloat16S1_ffEEvbT_PT0_S4_jNS_24const_host_device_scalarIT4_EEPKS2_PKS3_PKT1_PKT2_S7_PT3_21rocsparse_index_base_b,comdat
.Lfunc_end146:
	.size	_ZN9rocsparseL28csrmvn_lrb_short_rows_kernelIll18rocsparse_bfloat16S1_ffEEvbT_PT0_S4_jNS_24const_host_device_scalarIT4_EEPKS2_PKS3_PKT1_PKT2_S7_PT3_21rocsparse_index_base_b, .Lfunc_end146-_ZN9rocsparseL28csrmvn_lrb_short_rows_kernelIll18rocsparse_bfloat16S1_ffEEvbT_PT0_S4_jNS_24const_host_device_scalarIT4_EEPKS2_PKS3_PKT1_PKT2_S7_PT3_21rocsparse_index_base_b
                                        ; -- End function
	.set _ZN9rocsparseL28csrmvn_lrb_short_rows_kernelIll18rocsparse_bfloat16S1_ffEEvbT_PT0_S4_jNS_24const_host_device_scalarIT4_EEPKS2_PKS3_PKT1_PKT2_S7_PT3_21rocsparse_index_base_b.num_vgpr, 9
	.set _ZN9rocsparseL28csrmvn_lrb_short_rows_kernelIll18rocsparse_bfloat16S1_ffEEvbT_PT0_S4_jNS_24const_host_device_scalarIT4_EEPKS2_PKS3_PKT1_PKT2_S7_PT3_21rocsparse_index_base_b.num_agpr, 0
	.set _ZN9rocsparseL28csrmvn_lrb_short_rows_kernelIll18rocsparse_bfloat16S1_ffEEvbT_PT0_S4_jNS_24const_host_device_scalarIT4_EEPKS2_PKS3_PKT1_PKT2_S7_PT3_21rocsparse_index_base_b.numbered_sgpr, 27
	.set _ZN9rocsparseL28csrmvn_lrb_short_rows_kernelIll18rocsparse_bfloat16S1_ffEEvbT_PT0_S4_jNS_24const_host_device_scalarIT4_EEPKS2_PKS3_PKT1_PKT2_S7_PT3_21rocsparse_index_base_b.num_named_barrier, 0
	.set _ZN9rocsparseL28csrmvn_lrb_short_rows_kernelIll18rocsparse_bfloat16S1_ffEEvbT_PT0_S4_jNS_24const_host_device_scalarIT4_EEPKS2_PKS3_PKT1_PKT2_S7_PT3_21rocsparse_index_base_b.private_seg_size, 0
	.set _ZN9rocsparseL28csrmvn_lrb_short_rows_kernelIll18rocsparse_bfloat16S1_ffEEvbT_PT0_S4_jNS_24const_host_device_scalarIT4_EEPKS2_PKS3_PKT1_PKT2_S7_PT3_21rocsparse_index_base_b.uses_vcc, 1
	.set _ZN9rocsparseL28csrmvn_lrb_short_rows_kernelIll18rocsparse_bfloat16S1_ffEEvbT_PT0_S4_jNS_24const_host_device_scalarIT4_EEPKS2_PKS3_PKT1_PKT2_S7_PT3_21rocsparse_index_base_b.uses_flat_scratch, 0
	.set _ZN9rocsparseL28csrmvn_lrb_short_rows_kernelIll18rocsparse_bfloat16S1_ffEEvbT_PT0_S4_jNS_24const_host_device_scalarIT4_EEPKS2_PKS3_PKT1_PKT2_S7_PT3_21rocsparse_index_base_b.has_dyn_sized_stack, 0
	.set _ZN9rocsparseL28csrmvn_lrb_short_rows_kernelIll18rocsparse_bfloat16S1_ffEEvbT_PT0_S4_jNS_24const_host_device_scalarIT4_EEPKS2_PKS3_PKT1_PKT2_S7_PT3_21rocsparse_index_base_b.has_recursion, 0
	.set _ZN9rocsparseL28csrmvn_lrb_short_rows_kernelIll18rocsparse_bfloat16S1_ffEEvbT_PT0_S4_jNS_24const_host_device_scalarIT4_EEPKS2_PKS3_PKT1_PKT2_S7_PT3_21rocsparse_index_base_b.has_indirect_call, 0
	.section	.AMDGPU.csdata,"",@progbits
; Kernel info:
; codeLenInByte = 804
; TotalNumSgprs: 29
; NumVgprs: 9
; ScratchSize: 0
; MemoryBound: 0
; FloatMode: 240
; IeeeMode: 1
; LDSByteSize: 0 bytes/workgroup (compile time only)
; SGPRBlocks: 0
; VGPRBlocks: 0
; NumSGPRsForWavesPerEU: 29
; NumVGPRsForWavesPerEU: 9
; NamedBarCnt: 0
; Occupancy: 16
; WaveLimiterHint : 1
; COMPUTE_PGM_RSRC2:SCRATCH_EN: 0
; COMPUTE_PGM_RSRC2:USER_SGPR: 2
; COMPUTE_PGM_RSRC2:TRAP_HANDLER: 0
; COMPUTE_PGM_RSRC2:TGID_X_EN: 1
; COMPUTE_PGM_RSRC2:TGID_Y_EN: 0
; COMPUTE_PGM_RSRC2:TGID_Z_EN: 0
; COMPUTE_PGM_RSRC2:TIDIG_COMP_CNT: 0
	.section	.text._ZN9rocsparseL30csrmvn_lrb_short_rows_2_kernelIll18rocsparse_bfloat16S1_ffEEvbT_PT0_S4_jNS_24const_host_device_scalarIT4_EEPKS2_PKS3_PKT1_PKT2_S7_PT3_21rocsparse_index_base_b,"axG",@progbits,_ZN9rocsparseL30csrmvn_lrb_short_rows_2_kernelIll18rocsparse_bfloat16S1_ffEEvbT_PT0_S4_jNS_24const_host_device_scalarIT4_EEPKS2_PKS3_PKT1_PKT2_S7_PT3_21rocsparse_index_base_b,comdat
	.globl	_ZN9rocsparseL30csrmvn_lrb_short_rows_2_kernelIll18rocsparse_bfloat16S1_ffEEvbT_PT0_S4_jNS_24const_host_device_scalarIT4_EEPKS2_PKS3_PKT1_PKT2_S7_PT3_21rocsparse_index_base_b ; -- Begin function _ZN9rocsparseL30csrmvn_lrb_short_rows_2_kernelIll18rocsparse_bfloat16S1_ffEEvbT_PT0_S4_jNS_24const_host_device_scalarIT4_EEPKS2_PKS3_PKT1_PKT2_S7_PT3_21rocsparse_index_base_b
	.p2align	8
	.type	_ZN9rocsparseL30csrmvn_lrb_short_rows_2_kernelIll18rocsparse_bfloat16S1_ffEEvbT_PT0_S4_jNS_24const_host_device_scalarIT4_EEPKS2_PKS3_PKT1_PKT2_S7_PT3_21rocsparse_index_base_b,@function
_ZN9rocsparseL30csrmvn_lrb_short_rows_2_kernelIll18rocsparse_bfloat16S1_ffEEvbT_PT0_S4_jNS_24const_host_device_scalarIT4_EEPKS2_PKS3_PKT1_PKT2_S7_PT3_21rocsparse_index_base_b: ; @_ZN9rocsparseL30csrmvn_lrb_short_rows_2_kernelIll18rocsparse_bfloat16S1_ffEEvbT_PT0_S4_jNS_24const_host_device_scalarIT4_EEPKS2_PKS3_PKT1_PKT2_S7_PT3_21rocsparse_index_base_b
; %bb.0:
	s_clause 0x2
	s_load_b64 s[16:17], s[0:1], 0x60
	s_load_b64 s[14:15], s[0:1], 0x28
	;; [unrolled: 1-line block ×3, first 2 shown]
	s_wait_kmcnt 0x0
	s_bitcmp1_b32 s17, 0
	s_cselect_b32 s4, -1, 0
	s_delay_alu instid0(SALU_CYCLE_1)
	s_and_b32 vcc_lo, exec_lo, s4
	s_xor_b32 s4, s4, -1
	s_cbranch_vccnz .LBB147_2
; %bb.1:
	s_load_b32 s14, s[14:15], 0x0
.LBB147_2:
	s_and_not1_b32 vcc_lo, exec_lo, s4
	s_cbranch_vccnz .LBB147_4
; %bb.3:
	s_load_b32 s2, s[2:3], 0x0
.LBB147_4:
	s_wait_kmcnt 0x0
	s_cmp_neq_f32 s14, 0
	s_mov_b32 s17, 0
	s_cselect_b32 s3, -1, 0
	s_cmp_neq_f32 s2, 1.0
	s_cselect_b32 s4, -1, 0
	s_delay_alu instid0(SALU_CYCLE_1) | instskip(NEXT) | instid1(SALU_CYCLE_1)
	s_or_b32 s3, s3, s4
	s_and_not1_b32 vcc_lo, exec_lo, s3
	s_cbranch_vccnz .LBB147_30
; %bb.5:
	s_clause 0x1
	s_load_b32 s3, s[0:1], 0x20
	s_load_b128 s[24:27], s[0:1], 0x10
	s_mov_b32 s5, s17
	s_bfe_u32 s13, ttmp6, 0x4000c
	s_and_b32 s15, ttmp6, 15
	s_add_co_i32 s13, s13, 1
	s_getreg_b32 s20, hwreg(HW_REG_IB_STS2, 6, 4)
	s_mul_i32 s13, ttmp9, s13
	v_mov_b32_e32 v7, 0
	s_add_co_i32 s13, s15, s13
	s_wait_kmcnt 0x0
	s_add_co_i32 s4, s3, 1
	s_lshr_b32 s15, 0x400, s3
	s_lshl_b64 s[4:5], s[4:5], 3
	v_lshrrev_b32_e32 v1, s3, v0
	s_add_nc_u64 s[4:5], s[26:27], s[4:5]
	s_clause 0x1
	s_load_b64 s[18:19], s[26:27], s3 offset:0x0 scale_offset
	s_load_b32 s12, s[4:5], 0x0
	v_bfe_u32 v6, v0, 0, s3
	s_wait_xcnt 0x0
	s_load_b256 s[4:11], s[0:1], 0x30
	s_wait_kmcnt 0x0
	s_sub_co_i32 s21, s12, s18
	s_cmp_eq_u32 s20, 0
	s_cselect_b32 s12, ttmp9, s13
	s_lshl_b64 s[18:19], s[18:19], 3
	s_mul_i32 s12, s15, s12
	s_add_nc_u64 s[18:19], s[24:25], s[18:19]
	v_add_nc_u32_e32 v1, s12, v1
	s_add_co_i32 s13, s12, s15
	s_delay_alu instid0(SALU_CYCLE_1) | instskip(SKIP_1) | instid1(VALU_DEP_1)
	s_min_u32 s20, s21, s13
	s_mov_b32 s13, exec_lo
	v_cmpx_gt_u32_e64 s20, v1
	s_cbranch_execz .LBB147_9
; %bb.6:
	global_load_b64 v[2:3], v1, s[18:19] scale_offset
	s_wait_xcnt 0x0
	v_mov_b32_e32 v1, v7
	s_mov_b32 s21, exec_lo
	s_wait_loadcnt 0x0
	v_lshl_add_u64 v[2:3], v[2:3], 3, s[4:5]
	global_load_b128 v[2:5], v[2:3], off
	s_wait_loadcnt 0x0
	v_sub_nc_u64_e32 v[4:5], v[4:5], v[2:3]
	s_delay_alu instid0(VALU_DEP_1)
	v_cmpx_gt_i64_e64 v[4:5], v[6:7]
	s_cbranch_execz .LBB147_8
; %bb.7:
	v_sub_nc_u64_e64 v[2:3], v[2:3], s[16:17]
	s_delay_alu instid0(VALU_DEP_1) | instskip(NEXT) | instid1(VALU_DEP_1)
	v_add_nc_u64_e32 v[2:3], v[2:3], v[6:7]
	v_lshl_add_u64 v[4:5], v[2:3], 3, s[6:7]
	v_lshl_add_u64 v[2:3], v[2:3], 1, s[8:9]
	global_load_b64 v[4:5], v[4:5], off
	global_load_u16 v1, v[2:3], off
	s_wait_loadcnt 0x1
	s_wait_xcnt 0x1
	v_sub_nc_u64_e64 v[4:5], v[4:5], s[16:17]
	s_wait_xcnt 0x0
	s_delay_alu instid0(VALU_DEP_1) | instskip(SKIP_3) | instid1(VALU_DEP_1)
	v_lshl_add_u64 v[2:3], v[4:5], 1, s[10:11]
	global_load_u16 v2, v[2:3], off
	s_wait_loadcnt 0x0
	v_dual_lshlrev_b32 v1, 16, v1 :: v_dual_lshlrev_b32 v2, 16, v2
	v_mul_f32_e32 v1, s14, v1
	s_delay_alu instid0(VALU_DEP_1)
	v_mul_f32_e32 v1, v1, v2
.LBB147_8:
	s_or_b32 exec_lo, exec_lo, s21
	v_lshlrev_b32_e32 v2, 2, v0
	ds_store_b32 v2, v1
.LBB147_9:
	s_or_b32 exec_lo, exec_lo, s13
	s_load_b64 s[0:1], s[0:1], 0x58
	v_or_b32_e32 v1, 0x100, v0
	s_mov_b32 s13, exec_lo
	s_delay_alu instid0(VALU_DEP_1) | instskip(NEXT) | instid1(VALU_DEP_1)
	v_lshrrev_b32_e32 v1, s3, v1
	v_add_nc_u32_e32 v1, s12, v1
	s_delay_alu instid0(VALU_DEP_1)
	v_cmpx_gt_u32_e64 s20, v1
	s_cbranch_execz .LBB147_13
; %bb.10:
	global_load_b64 v[2:3], v1, s[18:19] scale_offset
	s_wait_xcnt 0x0
	v_mov_b32_e32 v1, 0
	s_mov_b32 s21, exec_lo
	s_wait_loadcnt 0x0
	v_lshl_add_u64 v[2:3], v[2:3], 3, s[4:5]
	global_load_b128 v[2:5], v[2:3], off
	s_wait_loadcnt 0x0
	v_sub_nc_u64_e32 v[4:5], v[4:5], v[2:3]
	s_delay_alu instid0(VALU_DEP_1)
	v_cmpx_gt_i64_e64 v[4:5], v[6:7]
	s_cbranch_execz .LBB147_12
; %bb.11:
	v_sub_nc_u64_e64 v[2:3], v[2:3], s[16:17]
	s_delay_alu instid0(VALU_DEP_1) | instskip(NEXT) | instid1(VALU_DEP_1)
	v_add_nc_u64_e32 v[2:3], v[2:3], v[6:7]
	v_lshl_add_u64 v[4:5], v[2:3], 3, s[6:7]
	v_lshl_add_u64 v[2:3], v[2:3], 1, s[8:9]
	global_load_b64 v[4:5], v[4:5], off
	global_load_u16 v1, v[2:3], off
	s_wait_loadcnt 0x1
	s_wait_xcnt 0x1
	v_sub_nc_u64_e64 v[4:5], v[4:5], s[16:17]
	s_wait_xcnt 0x0
	s_delay_alu instid0(VALU_DEP_1) | instskip(SKIP_3) | instid1(VALU_DEP_1)
	v_lshl_add_u64 v[2:3], v[4:5], 1, s[10:11]
	global_load_u16 v2, v[2:3], off
	s_wait_loadcnt 0x0
	v_dual_lshlrev_b32 v1, 16, v1 :: v_dual_lshlrev_b32 v2, 16, v2
	v_mul_f32_e32 v1, s14, v1
	s_delay_alu instid0(VALU_DEP_1)
	v_mul_f32_e32 v1, v1, v2
.LBB147_12:
	s_or_b32 exec_lo, exec_lo, s21
	v_lshlrev_b32_e32 v2, 2, v0
	ds_store_b32 v2, v1 offset:1024
.LBB147_13:
	s_or_b32 exec_lo, exec_lo, s13
	v_or_b32_e32 v1, 0x200, v0
	s_mov_b32 s13, exec_lo
	s_delay_alu instid0(VALU_DEP_1) | instskip(NEXT) | instid1(VALU_DEP_1)
	v_lshrrev_b32_e32 v1, s3, v1
	v_add_nc_u32_e32 v1, s12, v1
	s_delay_alu instid0(VALU_DEP_1)
	v_cmpx_gt_u32_e64 s20, v1
	s_cbranch_execz .LBB147_17
; %bb.14:
	global_load_b64 v[2:3], v1, s[18:19] scale_offset
	s_wait_xcnt 0x0
	v_mov_b32_e32 v1, 0
	s_mov_b32 s21, exec_lo
	s_wait_loadcnt 0x0
	v_lshl_add_u64 v[2:3], v[2:3], 3, s[4:5]
	global_load_b128 v[2:5], v[2:3], off
	s_wait_loadcnt 0x0
	v_sub_nc_u64_e32 v[4:5], v[4:5], v[2:3]
	s_delay_alu instid0(VALU_DEP_1)
	v_cmpx_gt_i64_e64 v[4:5], v[6:7]
	s_cbranch_execz .LBB147_16
; %bb.15:
	v_sub_nc_u64_e64 v[2:3], v[2:3], s[16:17]
	s_delay_alu instid0(VALU_DEP_1) | instskip(NEXT) | instid1(VALU_DEP_1)
	v_add_nc_u64_e32 v[2:3], v[2:3], v[6:7]
	v_lshl_add_u64 v[4:5], v[2:3], 3, s[6:7]
	v_lshl_add_u64 v[2:3], v[2:3], 1, s[8:9]
	global_load_b64 v[4:5], v[4:5], off
	global_load_u16 v1, v[2:3], off
	s_wait_loadcnt 0x1
	s_wait_xcnt 0x1
	v_sub_nc_u64_e64 v[4:5], v[4:5], s[16:17]
	s_wait_xcnt 0x0
	s_delay_alu instid0(VALU_DEP_1) | instskip(SKIP_3) | instid1(VALU_DEP_1)
	v_lshl_add_u64 v[2:3], v[4:5], 1, s[10:11]
	global_load_u16 v2, v[2:3], off
	s_wait_loadcnt 0x0
	v_dual_lshlrev_b32 v1, 16, v1 :: v_dual_lshlrev_b32 v2, 16, v2
	v_mul_f32_e32 v1, s14, v1
	s_delay_alu instid0(VALU_DEP_1)
	v_mul_f32_e32 v1, v1, v2
.LBB147_16:
	s_or_b32 exec_lo, exec_lo, s21
	v_lshlrev_b32_e32 v2, 2, v0
	ds_store_b32 v2, v1 offset:2048
.LBB147_17:
	s_or_b32 exec_lo, exec_lo, s13
	v_or_b32_e32 v1, 0x300, v0
	s_mov_b32 s13, exec_lo
	s_delay_alu instid0(VALU_DEP_1) | instskip(NEXT) | instid1(VALU_DEP_1)
	v_lshrrev_b32_e32 v1, s3, v1
	v_add_nc_u32_e32 v1, s12, v1
	s_delay_alu instid0(VALU_DEP_1)
	v_cmpx_gt_u32_e64 s20, v1
	s_cbranch_execz .LBB147_21
; %bb.18:
	global_load_b64 v[2:3], v1, s[18:19] scale_offset
	s_wait_xcnt 0x0
	v_mov_b32_e32 v1, 0
	s_wait_loadcnt 0x0
	v_lshl_add_u64 v[2:3], v[2:3], 3, s[4:5]
	s_mov_b32 s4, exec_lo
	global_load_b128 v[2:5], v[2:3], off
	s_wait_loadcnt 0x0
	v_sub_nc_u64_e32 v[4:5], v[4:5], v[2:3]
	s_delay_alu instid0(VALU_DEP_1)
	v_cmpx_gt_i64_e64 v[4:5], v[6:7]
	s_cbranch_execz .LBB147_20
; %bb.19:
	v_sub_nc_u64_e64 v[2:3], v[2:3], s[16:17]
	s_delay_alu instid0(VALU_DEP_1) | instskip(NEXT) | instid1(VALU_DEP_1)
	v_add_nc_u64_e32 v[2:3], v[2:3], v[6:7]
	v_lshl_add_u64 v[4:5], v[2:3], 3, s[6:7]
	v_lshl_add_u64 v[2:3], v[2:3], 1, s[8:9]
	global_load_b64 v[4:5], v[4:5], off
	global_load_u16 v1, v[2:3], off
	s_wait_loadcnt 0x1
	s_wait_xcnt 0x1
	v_sub_nc_u64_e64 v[4:5], v[4:5], s[16:17]
	s_wait_xcnt 0x0
	s_delay_alu instid0(VALU_DEP_1) | instskip(SKIP_3) | instid1(VALU_DEP_1)
	v_lshl_add_u64 v[2:3], v[4:5], 1, s[10:11]
	global_load_u16 v2, v[2:3], off
	s_wait_loadcnt 0x0
	v_dual_lshlrev_b32 v1, 16, v1 :: v_dual_lshlrev_b32 v2, 16, v2
	v_mul_f32_e32 v1, s14, v1
	s_delay_alu instid0(VALU_DEP_1)
	v_mul_f32_e32 v1, v1, v2
.LBB147_20:
	s_or_b32 exec_lo, exec_lo, s4
	v_lshlrev_b32_e32 v2, 2, v0
	ds_store_b32 v2, v1 offset:3072
.LBB147_21:
	s_or_b32 exec_lo, exec_lo, s13
	s_cmp_lt_u32 s3, 11
	s_wait_dscnt 0x0
	s_barrier_signal -1
	s_barrier_wait -1
	s_cbranch_scc0 .LBB147_30
; %bb.22:
	s_mov_b32 s13, 0
	s_sub_co_i32 s6, s20, s12
	s_lshl_b64 s[4:5], s[12:13], 3
	s_cmp_neq_f32 s2, 0
	s_add_nc_u64 s[4:5], s[18:19], s[4:5]
	s_cselect_b32 s7, -1, 0
	s_branch .LBB147_25
.LBB147_23:                             ;   in Loop: Header=BB147_25 Depth=1
	global_store_b32 v[2:3], v1, off
.LBB147_24:                             ;   in Loop: Header=BB147_25 Depth=1
	s_wait_xcnt 0x0
	s_or_b32 exec_lo, exec_lo, s8
	s_addk_co_i32 s13, 0x100
	s_delay_alu instid0(SALU_CYCLE_1)
	s_cmp_lt_u32 s13, s15
	s_cbranch_scc0 .LBB147_30
.LBB147_25:                             ; =>This Loop Header: Depth=1
                                        ;     Child Loop BB147_27 Depth 2
	v_add_nc_u32_e32 v1, s13, v0
	s_mov_b32 s8, exec_lo
	s_delay_alu instid0(VALU_DEP_1)
	v_cmpx_gt_u32_e64 s6, v1
	s_cbranch_execz .LBB147_24
; %bb.26:                               ;   in Loop: Header=BB147_25 Depth=1
	global_load_b64 v[2:3], v1, s[4:5] scale_offset
	s_wait_xcnt 0x0
	v_lshlrev_b32_e32 v1, s3, v1
	s_mov_b32 s9, 1
	s_delay_alu instid0(VALU_DEP_1)
	v_dual_mov_b32 v1, 0 :: v_dual_lshlrev_b32 v4, 2, v1
.LBB147_27:                             ;   Parent Loop BB147_25 Depth=1
                                        ; =>  This Inner Loop Header: Depth=2
	ds_load_b32 v5, v4
	v_add_nc_u32_e32 v4, 4, v4
	s_lshr_b32 s10, s9, s3
	s_add_co_i32 s9, s9, 1
	s_cmp_lg_u32 s10, 0
	s_wait_dscnt 0x0
	v_add_f32_e32 v1, v1, v5
	s_cbranch_scc0 .LBB147_27
; %bb.28:                               ;   in Loop: Header=BB147_25 Depth=1
	s_wait_loadcnt 0x0
	s_wait_kmcnt 0x0
	v_lshl_add_u64 v[2:3], v[2:3], 2, s[0:1]
	s_and_b32 vcc_lo, exec_lo, s7
	s_cbranch_vccz .LBB147_23
; %bb.29:                               ;   in Loop: Header=BB147_25 Depth=1
	global_load_b32 v4, v[2:3], off
	s_wait_loadcnt 0x0
	v_fmac_f32_e32 v1, s2, v4
	s_branch .LBB147_23
.LBB147_30:
	s_endpgm
	.section	.rodata,"a",@progbits
	.p2align	6, 0x0
	.amdhsa_kernel _ZN9rocsparseL30csrmvn_lrb_short_rows_2_kernelIll18rocsparse_bfloat16S1_ffEEvbT_PT0_S4_jNS_24const_host_device_scalarIT4_EEPKS2_PKS3_PKT1_PKT2_S7_PT3_21rocsparse_index_base_b
		.amdhsa_group_segment_fixed_size 4096
		.amdhsa_private_segment_fixed_size 0
		.amdhsa_kernarg_size 104
		.amdhsa_user_sgpr_count 2
		.amdhsa_user_sgpr_dispatch_ptr 0
		.amdhsa_user_sgpr_queue_ptr 0
		.amdhsa_user_sgpr_kernarg_segment_ptr 1
		.amdhsa_user_sgpr_dispatch_id 0
		.amdhsa_user_sgpr_kernarg_preload_length 0
		.amdhsa_user_sgpr_kernarg_preload_offset 0
		.amdhsa_user_sgpr_private_segment_size 0
		.amdhsa_wavefront_size32 1
		.amdhsa_uses_dynamic_stack 0
		.amdhsa_enable_private_segment 0
		.amdhsa_system_sgpr_workgroup_id_x 1
		.amdhsa_system_sgpr_workgroup_id_y 0
		.amdhsa_system_sgpr_workgroup_id_z 0
		.amdhsa_system_sgpr_workgroup_info 0
		.amdhsa_system_vgpr_workitem_id 0
		.amdhsa_next_free_vgpr 8
		.amdhsa_next_free_sgpr 28
		.amdhsa_named_barrier_count 0
		.amdhsa_reserve_vcc 1
		.amdhsa_float_round_mode_32 0
		.amdhsa_float_round_mode_16_64 0
		.amdhsa_float_denorm_mode_32 3
		.amdhsa_float_denorm_mode_16_64 3
		.amdhsa_fp16_overflow 0
		.amdhsa_memory_ordered 1
		.amdhsa_forward_progress 1
		.amdhsa_inst_pref_size 13
		.amdhsa_round_robin_scheduling 0
		.amdhsa_exception_fp_ieee_invalid_op 0
		.amdhsa_exception_fp_denorm_src 0
		.amdhsa_exception_fp_ieee_div_zero 0
		.amdhsa_exception_fp_ieee_overflow 0
		.amdhsa_exception_fp_ieee_underflow 0
		.amdhsa_exception_fp_ieee_inexact 0
		.amdhsa_exception_int_div_zero 0
	.end_amdhsa_kernel
	.section	.text._ZN9rocsparseL30csrmvn_lrb_short_rows_2_kernelIll18rocsparse_bfloat16S1_ffEEvbT_PT0_S4_jNS_24const_host_device_scalarIT4_EEPKS2_PKS3_PKT1_PKT2_S7_PT3_21rocsparse_index_base_b,"axG",@progbits,_ZN9rocsparseL30csrmvn_lrb_short_rows_2_kernelIll18rocsparse_bfloat16S1_ffEEvbT_PT0_S4_jNS_24const_host_device_scalarIT4_EEPKS2_PKS3_PKT1_PKT2_S7_PT3_21rocsparse_index_base_b,comdat
.Lfunc_end147:
	.size	_ZN9rocsparseL30csrmvn_lrb_short_rows_2_kernelIll18rocsparse_bfloat16S1_ffEEvbT_PT0_S4_jNS_24const_host_device_scalarIT4_EEPKS2_PKS3_PKT1_PKT2_S7_PT3_21rocsparse_index_base_b, .Lfunc_end147-_ZN9rocsparseL30csrmvn_lrb_short_rows_2_kernelIll18rocsparse_bfloat16S1_ffEEvbT_PT0_S4_jNS_24const_host_device_scalarIT4_EEPKS2_PKS3_PKT1_PKT2_S7_PT3_21rocsparse_index_base_b
                                        ; -- End function
	.set _ZN9rocsparseL30csrmvn_lrb_short_rows_2_kernelIll18rocsparse_bfloat16S1_ffEEvbT_PT0_S4_jNS_24const_host_device_scalarIT4_EEPKS2_PKS3_PKT1_PKT2_S7_PT3_21rocsparse_index_base_b.num_vgpr, 8
	.set _ZN9rocsparseL30csrmvn_lrb_short_rows_2_kernelIll18rocsparse_bfloat16S1_ffEEvbT_PT0_S4_jNS_24const_host_device_scalarIT4_EEPKS2_PKS3_PKT1_PKT2_S7_PT3_21rocsparse_index_base_b.num_agpr, 0
	.set _ZN9rocsparseL30csrmvn_lrb_short_rows_2_kernelIll18rocsparse_bfloat16S1_ffEEvbT_PT0_S4_jNS_24const_host_device_scalarIT4_EEPKS2_PKS3_PKT1_PKT2_S7_PT3_21rocsparse_index_base_b.numbered_sgpr, 28
	.set _ZN9rocsparseL30csrmvn_lrb_short_rows_2_kernelIll18rocsparse_bfloat16S1_ffEEvbT_PT0_S4_jNS_24const_host_device_scalarIT4_EEPKS2_PKS3_PKT1_PKT2_S7_PT3_21rocsparse_index_base_b.num_named_barrier, 0
	.set _ZN9rocsparseL30csrmvn_lrb_short_rows_2_kernelIll18rocsparse_bfloat16S1_ffEEvbT_PT0_S4_jNS_24const_host_device_scalarIT4_EEPKS2_PKS3_PKT1_PKT2_S7_PT3_21rocsparse_index_base_b.private_seg_size, 0
	.set _ZN9rocsparseL30csrmvn_lrb_short_rows_2_kernelIll18rocsparse_bfloat16S1_ffEEvbT_PT0_S4_jNS_24const_host_device_scalarIT4_EEPKS2_PKS3_PKT1_PKT2_S7_PT3_21rocsparse_index_base_b.uses_vcc, 1
	.set _ZN9rocsparseL30csrmvn_lrb_short_rows_2_kernelIll18rocsparse_bfloat16S1_ffEEvbT_PT0_S4_jNS_24const_host_device_scalarIT4_EEPKS2_PKS3_PKT1_PKT2_S7_PT3_21rocsparse_index_base_b.uses_flat_scratch, 0
	.set _ZN9rocsparseL30csrmvn_lrb_short_rows_2_kernelIll18rocsparse_bfloat16S1_ffEEvbT_PT0_S4_jNS_24const_host_device_scalarIT4_EEPKS2_PKS3_PKT1_PKT2_S7_PT3_21rocsparse_index_base_b.has_dyn_sized_stack, 0
	.set _ZN9rocsparseL30csrmvn_lrb_short_rows_2_kernelIll18rocsparse_bfloat16S1_ffEEvbT_PT0_S4_jNS_24const_host_device_scalarIT4_EEPKS2_PKS3_PKT1_PKT2_S7_PT3_21rocsparse_index_base_b.has_recursion, 0
	.set _ZN9rocsparseL30csrmvn_lrb_short_rows_2_kernelIll18rocsparse_bfloat16S1_ffEEvbT_PT0_S4_jNS_24const_host_device_scalarIT4_EEPKS2_PKS3_PKT1_PKT2_S7_PT3_21rocsparse_index_base_b.has_indirect_call, 0
	.section	.AMDGPU.csdata,"",@progbits
; Kernel info:
; codeLenInByte = 1544
; TotalNumSgprs: 30
; NumVgprs: 8
; ScratchSize: 0
; MemoryBound: 0
; FloatMode: 240
; IeeeMode: 1
; LDSByteSize: 4096 bytes/workgroup (compile time only)
; SGPRBlocks: 0
; VGPRBlocks: 0
; NumSGPRsForWavesPerEU: 30
; NumVGPRsForWavesPerEU: 8
; NamedBarCnt: 0
; Occupancy: 16
; WaveLimiterHint : 1
; COMPUTE_PGM_RSRC2:SCRATCH_EN: 0
; COMPUTE_PGM_RSRC2:USER_SGPR: 2
; COMPUTE_PGM_RSRC2:TRAP_HANDLER: 0
; COMPUTE_PGM_RSRC2:TGID_X_EN: 1
; COMPUTE_PGM_RSRC2:TGID_Y_EN: 0
; COMPUTE_PGM_RSRC2:TGID_Z_EN: 0
; COMPUTE_PGM_RSRC2:TIDIG_COMP_CNT: 0
	.section	.text._ZN9rocsparseL41csrmvn_lrb_medium_rows_warp_reduce_kernelILj256ELj32Ell18rocsparse_bfloat16S1_ffEEvbT1_lPT2_S4_jNS_24const_host_device_scalarIT6_EEPKS2_PKS3_PKT3_PKT4_S7_PT5_21rocsparse_index_base_b,"axG",@progbits,_ZN9rocsparseL41csrmvn_lrb_medium_rows_warp_reduce_kernelILj256ELj32Ell18rocsparse_bfloat16S1_ffEEvbT1_lPT2_S4_jNS_24const_host_device_scalarIT6_EEPKS2_PKS3_PKT3_PKT4_S7_PT5_21rocsparse_index_base_b,comdat
	.globl	_ZN9rocsparseL41csrmvn_lrb_medium_rows_warp_reduce_kernelILj256ELj32Ell18rocsparse_bfloat16S1_ffEEvbT1_lPT2_S4_jNS_24const_host_device_scalarIT6_EEPKS2_PKS3_PKT3_PKT4_S7_PT5_21rocsparse_index_base_b ; -- Begin function _ZN9rocsparseL41csrmvn_lrb_medium_rows_warp_reduce_kernelILj256ELj32Ell18rocsparse_bfloat16S1_ffEEvbT1_lPT2_S4_jNS_24const_host_device_scalarIT6_EEPKS2_PKS3_PKT3_PKT4_S7_PT5_21rocsparse_index_base_b
	.p2align	8
	.type	_ZN9rocsparseL41csrmvn_lrb_medium_rows_warp_reduce_kernelILj256ELj32Ell18rocsparse_bfloat16S1_ffEEvbT1_lPT2_S4_jNS_24const_host_device_scalarIT6_EEPKS2_PKS3_PKT3_PKT4_S7_PT5_21rocsparse_index_base_b,@function
_ZN9rocsparseL41csrmvn_lrb_medium_rows_warp_reduce_kernelILj256ELj32Ell18rocsparse_bfloat16S1_ffEEvbT1_lPT2_S4_jNS_24const_host_device_scalarIT6_EEPKS2_PKS3_PKT3_PKT4_S7_PT5_21rocsparse_index_base_b: ; @_ZN9rocsparseL41csrmvn_lrb_medium_rows_warp_reduce_kernelILj256ELj32Ell18rocsparse_bfloat16S1_ffEEvbT1_lPT2_S4_jNS_24const_host_device_scalarIT6_EEPKS2_PKS3_PKT3_PKT4_S7_PT5_21rocsparse_index_base_b
; %bb.0:
	s_clause 0x2
	s_load_b64 s[4:5], s[0:1], 0x68
	s_load_b64 s[6:7], s[0:1], 0x30
	;; [unrolled: 1-line block ×3, first 2 shown]
	s_wait_kmcnt 0x0
	s_bitcmp1_b32 s5, 0
	s_cselect_b32 s5, -1, 0
	s_delay_alu instid0(SALU_CYCLE_1)
	s_and_b32 vcc_lo, exec_lo, s5
	s_xor_b32 s5, s5, -1
	s_cbranch_vccnz .LBB148_2
; %bb.1:
	s_load_b32 s6, s[6:7], 0x0
.LBB148_2:
	s_and_not1_b32 vcc_lo, exec_lo, s5
	s_cbranch_vccnz .LBB148_4
; %bb.3:
	s_load_b32 s2, s[2:3], 0x0
.LBB148_4:
	s_wait_kmcnt 0x0
	s_cmp_neq_f32 s6, 0
	s_cselect_b32 s3, -1, 0
	s_cmp_neq_f32 s2, 1.0
	s_cselect_b32 s5, -1, 0
	s_delay_alu instid0(SALU_CYCLE_1) | instskip(NEXT) | instid1(SALU_CYCLE_1)
	s_or_b32 s3, s3, s5
	s_and_not1_b32 vcc_lo, exec_lo, s3
	s_cbranch_vccnz .LBB148_14
; %bb.5:
	s_bfe_u32 s3, ttmp6, 0x4000c
	s_load_b64 s[8:9], s[0:1], 0x10
	s_add_co_i32 s3, s3, 1
	s_and_b32 s5, ttmp6, 15
	s_mul_i32 s3, ttmp9, s3
	s_getreg_b32 s7, hwreg(HW_REG_IB_STS2, 6, 4)
	v_lshrrev_b32_e32 v1, 5, v0
	s_add_co_i32 s5, s5, s3
	s_cmp_eq_u32 s7, 0
	s_cselect_b32 s3, ttmp9, s5
	s_delay_alu instid0(VALU_DEP_1) | instid1(SALU_CYCLE_1)
	v_lshl_or_b32 v2, s3, 3, v1
	s_mov_b32 s3, exec_lo
	s_delay_alu instid0(VALU_DEP_1) | instskip(SKIP_1) | instid1(VALU_DEP_1)
	v_ashrrev_i32_e32 v3, 31, v2
	s_wait_kmcnt 0x0
	v_cmpx_gt_i64_e64 s[8:9], v[2:3]
	s_cbranch_execz .LBB148_14
; %bb.6:
	s_clause 0x1
	s_load_b128 s[8:11], s[0:1], 0x18
	s_load_b32 s3, s[0:1], 0x28
	v_dual_mov_b32 v1, 0 :: v_dual_bitop2_b32 v0, 31, v0 bitop3:0x40
	s_mov_b32 s5, 0
	s_delay_alu instid0(VALU_DEP_1) | instid1(SALU_CYCLE_1)
	v_sub_nc_u64_e64 v[10:11], v[0:1], s[4:5]
	s_wait_kmcnt 0x0
	s_load_b64 s[10:11], s[10:11], s3 offset:0x0 scale_offset
	s_wait_xcnt 0x0
	s_mov_b32 s3, exec_lo
	s_wait_kmcnt 0x0
	s_lshl_b64 s[10:11], s[10:11], 3
	s_delay_alu instid0(SALU_CYCLE_1) | instskip(NEXT) | instid1(SALU_CYCLE_1)
	s_add_nc_u64 s[8:9], s[8:9], s[10:11]
	v_lshl_add_u64 v[2:3], v[2:3], 3, s[8:9]
	s_load_b64 s[8:9], s[0:1], 0x38
	global_load_b64 v[2:3], v[2:3], off
	s_wait_loadcnt 0x0
	s_wait_kmcnt 0x0
	v_lshl_add_u64 v[4:5], v[2:3], 3, s[8:9]
	global_load_b128 v[6:9], v[4:5], off
	s_wait_loadcnt 0x0
	v_sub_nc_u64_e64 v[4:5], v[8:9], s[4:5]
	v_add_nc_u64_e32 v[6:7], v[6:7], v[10:11]
	s_delay_alu instid0(VALU_DEP_1)
	v_cmpx_lt_i64_e64 v[6:7], v[4:5]
	s_cbranch_execz .LBB148_10
; %bb.7:
	s_clause 0x1
	s_load_b128 s[12:15], s[0:1], 0x40
	s_load_b64 s[8:9], s[0:1], 0x50
	v_mov_b32_e32 v1, 0
	s_mov_b32 s7, s5
	s_wait_kmcnt 0x0
	v_lshl_add_u64 v[8:9], v[6:7], 1, s[14:15]
	v_lshl_add_u64 v[10:11], v[6:7], 3, s[12:13]
.LBB148_8:                              ; =>This Inner Loop Header: Depth=1
	global_load_b64 v[12:13], v[10:11], off
	global_load_u16 v14, v[8:9], off
	v_add_nc_u64_e32 v[6:7], 32, v[6:7]
	s_wait_xcnt 0x0
	v_add_nc_u64_e32 v[8:9], 64, v[8:9]
	v_add_nc_u64_e32 v[10:11], 0x100, v[10:11]
	s_delay_alu instid0(VALU_DEP_3) | instskip(SKIP_3) | instid1(VALU_DEP_1)
	v_cmp_ge_i64_e32 vcc_lo, v[6:7], v[4:5]
	s_or_b32 s7, vcc_lo, s7
	s_wait_loadcnt 0x1
	v_sub_nc_u64_e64 v[12:13], v[12:13], s[4:5]
	v_lshl_add_u64 v[12:13], v[12:13], 1, s[8:9]
	global_load_u16 v12, v[12:13], off
	s_wait_loadcnt 0x1
	s_wait_xcnt 0x0
	v_lshlrev_b32_e32 v13, 16, v14
	s_delay_alu instid0(VALU_DEP_1) | instskip(SKIP_1) | instid1(VALU_DEP_1)
	v_mul_f32_e32 v13, s6, v13
	s_wait_loadcnt 0x0
	v_fma_mix_f32_bf16 v1, v13, v12, v1 op_sel_hi:[0,1,0]
	s_and_not1_b32 exec_lo, exec_lo, s7
	s_cbranch_execnz .LBB148_8
; %bb.9:
	s_or_b32 exec_lo, exec_lo, s7
.LBB148_10:
	s_delay_alu instid0(SALU_CYCLE_1) | instskip(SKIP_2) | instid1(VALU_DEP_1)
	s_or_b32 exec_lo, exec_lo, s3
	v_mbcnt_lo_u32_b32 v4, -1, 0
	s_load_b64 s[0:1], s[0:1], 0x60
	v_xor_b32_e32 v6, 8, v4
	v_xor_b32_e32 v5, 16, v4
	s_delay_alu instid0(VALU_DEP_1) | instskip(SKIP_1) | instid1(VALU_DEP_4)
	v_cmp_gt_i32_e32 vcc_lo, 32, v5
	v_cndmask_b32_e32 v5, v4, v5, vcc_lo
	v_cmp_gt_i32_e32 vcc_lo, 32, v6
	v_cndmask_b32_e32 v6, v4, v6, vcc_lo
	s_delay_alu instid0(VALU_DEP_1)
	v_dual_lshlrev_b32 v6, 2, v6 :: v_dual_lshlrev_b32 v5, 2, v5
	ds_bpermute_b32 v5, v5, v1
	s_wait_dscnt 0x0
	v_add_f32_e32 v1, v1, v5
	ds_bpermute_b32 v5, v6, v1
	v_xor_b32_e32 v6, 4, v4
	s_delay_alu instid0(VALU_DEP_1) | instskip(SKIP_2) | instid1(VALU_DEP_1)
	v_cmp_gt_i32_e32 vcc_lo, 32, v6
	s_wait_dscnt 0x0
	v_dual_cndmask_b32 v6, v4, v6 :: v_dual_add_f32 v1, v1, v5
	v_lshlrev_b32_e32 v6, 2, v6
	ds_bpermute_b32 v5, v6, v1
	s_wait_dscnt 0x0
	v_dual_add_f32 v1, v1, v5 :: v_dual_bitop2_b32 v6, 2, v4 bitop3:0x14
	s_delay_alu instid0(VALU_DEP_1) | instskip(SKIP_1) | instid1(VALU_DEP_1)
	v_cmp_gt_i32_e32 vcc_lo, 32, v6
	v_cndmask_b32_e32 v6, v4, v6, vcc_lo
	v_lshlrev_b32_e32 v6, 2, v6
	ds_bpermute_b32 v5, v6, v1
	v_xor_b32_e32 v6, 1, v4
	s_delay_alu instid0(VALU_DEP_1) | instskip(SKIP_3) | instid1(VALU_DEP_2)
	v_cmp_gt_i32_e32 vcc_lo, 32, v6
	v_cndmask_b32_e32 v4, v4, v6, vcc_lo
	v_cmp_eq_u32_e32 vcc_lo, 31, v0
	s_wait_dscnt 0x0
	v_dual_add_f32 v1, v1, v5 :: v_dual_lshlrev_b32 v4, 2, v4
	ds_bpermute_b32 v4, v4, v1
	s_and_b32 exec_lo, exec_lo, vcc_lo
	s_cbranch_execz .LBB148_14
; %bb.11:
	s_wait_dscnt 0x0
	v_add_f32_e32 v4, v1, v4
	s_wait_kmcnt 0x0
	v_lshl_add_u64 v[0:1], v[2:3], 2, s[0:1]
	s_cmp_eq_f32 s2, 0
	s_cbranch_scc1 .LBB148_13
; %bb.12:
	global_load_b32 v2, v[0:1], off
	s_wait_loadcnt 0x0
	v_fmac_f32_e32 v4, s2, v2
.LBB148_13:
	global_store_b32 v[0:1], v4, off
.LBB148_14:
	s_endpgm
	.section	.rodata,"a",@progbits
	.p2align	6, 0x0
	.amdhsa_kernel _ZN9rocsparseL41csrmvn_lrb_medium_rows_warp_reduce_kernelILj256ELj32Ell18rocsparse_bfloat16S1_ffEEvbT1_lPT2_S4_jNS_24const_host_device_scalarIT6_EEPKS2_PKS3_PKT3_PKT4_S7_PT5_21rocsparse_index_base_b
		.amdhsa_group_segment_fixed_size 0
		.amdhsa_private_segment_fixed_size 0
		.amdhsa_kernarg_size 112
		.amdhsa_user_sgpr_count 2
		.amdhsa_user_sgpr_dispatch_ptr 0
		.amdhsa_user_sgpr_queue_ptr 0
		.amdhsa_user_sgpr_kernarg_segment_ptr 1
		.amdhsa_user_sgpr_dispatch_id 0
		.amdhsa_user_sgpr_kernarg_preload_length 0
		.amdhsa_user_sgpr_kernarg_preload_offset 0
		.amdhsa_user_sgpr_private_segment_size 0
		.amdhsa_wavefront_size32 1
		.amdhsa_uses_dynamic_stack 0
		.amdhsa_enable_private_segment 0
		.amdhsa_system_sgpr_workgroup_id_x 1
		.amdhsa_system_sgpr_workgroup_id_y 0
		.amdhsa_system_sgpr_workgroup_id_z 0
		.amdhsa_system_sgpr_workgroup_info 0
		.amdhsa_system_vgpr_workitem_id 0
		.amdhsa_next_free_vgpr 15
		.amdhsa_next_free_sgpr 16
		.amdhsa_named_barrier_count 0
		.amdhsa_reserve_vcc 1
		.amdhsa_float_round_mode_32 0
		.amdhsa_float_round_mode_16_64 0
		.amdhsa_float_denorm_mode_32 3
		.amdhsa_float_denorm_mode_16_64 3
		.amdhsa_fp16_overflow 0
		.amdhsa_memory_ordered 1
		.amdhsa_forward_progress 1
		.amdhsa_inst_pref_size 7
		.amdhsa_round_robin_scheduling 0
		.amdhsa_exception_fp_ieee_invalid_op 0
		.amdhsa_exception_fp_denorm_src 0
		.amdhsa_exception_fp_ieee_div_zero 0
		.amdhsa_exception_fp_ieee_overflow 0
		.amdhsa_exception_fp_ieee_underflow 0
		.amdhsa_exception_fp_ieee_inexact 0
		.amdhsa_exception_int_div_zero 0
	.end_amdhsa_kernel
	.section	.text._ZN9rocsparseL41csrmvn_lrb_medium_rows_warp_reduce_kernelILj256ELj32Ell18rocsparse_bfloat16S1_ffEEvbT1_lPT2_S4_jNS_24const_host_device_scalarIT6_EEPKS2_PKS3_PKT3_PKT4_S7_PT5_21rocsparse_index_base_b,"axG",@progbits,_ZN9rocsparseL41csrmvn_lrb_medium_rows_warp_reduce_kernelILj256ELj32Ell18rocsparse_bfloat16S1_ffEEvbT1_lPT2_S4_jNS_24const_host_device_scalarIT6_EEPKS2_PKS3_PKT3_PKT4_S7_PT5_21rocsparse_index_base_b,comdat
.Lfunc_end148:
	.size	_ZN9rocsparseL41csrmvn_lrb_medium_rows_warp_reduce_kernelILj256ELj32Ell18rocsparse_bfloat16S1_ffEEvbT1_lPT2_S4_jNS_24const_host_device_scalarIT6_EEPKS2_PKS3_PKT3_PKT4_S7_PT5_21rocsparse_index_base_b, .Lfunc_end148-_ZN9rocsparseL41csrmvn_lrb_medium_rows_warp_reduce_kernelILj256ELj32Ell18rocsparse_bfloat16S1_ffEEvbT1_lPT2_S4_jNS_24const_host_device_scalarIT6_EEPKS2_PKS3_PKT3_PKT4_S7_PT5_21rocsparse_index_base_b
                                        ; -- End function
	.set _ZN9rocsparseL41csrmvn_lrb_medium_rows_warp_reduce_kernelILj256ELj32Ell18rocsparse_bfloat16S1_ffEEvbT1_lPT2_S4_jNS_24const_host_device_scalarIT6_EEPKS2_PKS3_PKT3_PKT4_S7_PT5_21rocsparse_index_base_b.num_vgpr, 15
	.set _ZN9rocsparseL41csrmvn_lrb_medium_rows_warp_reduce_kernelILj256ELj32Ell18rocsparse_bfloat16S1_ffEEvbT1_lPT2_S4_jNS_24const_host_device_scalarIT6_EEPKS2_PKS3_PKT3_PKT4_S7_PT5_21rocsparse_index_base_b.num_agpr, 0
	.set _ZN9rocsparseL41csrmvn_lrb_medium_rows_warp_reduce_kernelILj256ELj32Ell18rocsparse_bfloat16S1_ffEEvbT1_lPT2_S4_jNS_24const_host_device_scalarIT6_EEPKS2_PKS3_PKT3_PKT4_S7_PT5_21rocsparse_index_base_b.numbered_sgpr, 16
	.set _ZN9rocsparseL41csrmvn_lrb_medium_rows_warp_reduce_kernelILj256ELj32Ell18rocsparse_bfloat16S1_ffEEvbT1_lPT2_S4_jNS_24const_host_device_scalarIT6_EEPKS2_PKS3_PKT3_PKT4_S7_PT5_21rocsparse_index_base_b.num_named_barrier, 0
	.set _ZN9rocsparseL41csrmvn_lrb_medium_rows_warp_reduce_kernelILj256ELj32Ell18rocsparse_bfloat16S1_ffEEvbT1_lPT2_S4_jNS_24const_host_device_scalarIT6_EEPKS2_PKS3_PKT3_PKT4_S7_PT5_21rocsparse_index_base_b.private_seg_size, 0
	.set _ZN9rocsparseL41csrmvn_lrb_medium_rows_warp_reduce_kernelILj256ELj32Ell18rocsparse_bfloat16S1_ffEEvbT1_lPT2_S4_jNS_24const_host_device_scalarIT6_EEPKS2_PKS3_PKT3_PKT4_S7_PT5_21rocsparse_index_base_b.uses_vcc, 1
	.set _ZN9rocsparseL41csrmvn_lrb_medium_rows_warp_reduce_kernelILj256ELj32Ell18rocsparse_bfloat16S1_ffEEvbT1_lPT2_S4_jNS_24const_host_device_scalarIT6_EEPKS2_PKS3_PKT3_PKT4_S7_PT5_21rocsparse_index_base_b.uses_flat_scratch, 0
	.set _ZN9rocsparseL41csrmvn_lrb_medium_rows_warp_reduce_kernelILj256ELj32Ell18rocsparse_bfloat16S1_ffEEvbT1_lPT2_S4_jNS_24const_host_device_scalarIT6_EEPKS2_PKS3_PKT3_PKT4_S7_PT5_21rocsparse_index_base_b.has_dyn_sized_stack, 0
	.set _ZN9rocsparseL41csrmvn_lrb_medium_rows_warp_reduce_kernelILj256ELj32Ell18rocsparse_bfloat16S1_ffEEvbT1_lPT2_S4_jNS_24const_host_device_scalarIT6_EEPKS2_PKS3_PKT3_PKT4_S7_PT5_21rocsparse_index_base_b.has_recursion, 0
	.set _ZN9rocsparseL41csrmvn_lrb_medium_rows_warp_reduce_kernelILj256ELj32Ell18rocsparse_bfloat16S1_ffEEvbT1_lPT2_S4_jNS_24const_host_device_scalarIT6_EEPKS2_PKS3_PKT3_PKT4_S7_PT5_21rocsparse_index_base_b.has_indirect_call, 0
	.section	.AMDGPU.csdata,"",@progbits
; Kernel info:
; codeLenInByte = 836
; TotalNumSgprs: 18
; NumVgprs: 15
; ScratchSize: 0
; MemoryBound: 0
; FloatMode: 240
; IeeeMode: 1
; LDSByteSize: 0 bytes/workgroup (compile time only)
; SGPRBlocks: 0
; VGPRBlocks: 0
; NumSGPRsForWavesPerEU: 18
; NumVGPRsForWavesPerEU: 15
; NamedBarCnt: 0
; Occupancy: 16
; WaveLimiterHint : 1
; COMPUTE_PGM_RSRC2:SCRATCH_EN: 0
; COMPUTE_PGM_RSRC2:USER_SGPR: 2
; COMPUTE_PGM_RSRC2:TRAP_HANDLER: 0
; COMPUTE_PGM_RSRC2:TGID_X_EN: 1
; COMPUTE_PGM_RSRC2:TGID_Y_EN: 0
; COMPUTE_PGM_RSRC2:TGID_Z_EN: 0
; COMPUTE_PGM_RSRC2:TIDIG_COMP_CNT: 0
	.section	.text._ZN9rocsparseL41csrmvn_lrb_medium_rows_warp_reduce_kernelILj256ELj64Ell18rocsparse_bfloat16S1_ffEEvbT1_lPT2_S4_jNS_24const_host_device_scalarIT6_EEPKS2_PKS3_PKT3_PKT4_S7_PT5_21rocsparse_index_base_b,"axG",@progbits,_ZN9rocsparseL41csrmvn_lrb_medium_rows_warp_reduce_kernelILj256ELj64Ell18rocsparse_bfloat16S1_ffEEvbT1_lPT2_S4_jNS_24const_host_device_scalarIT6_EEPKS2_PKS3_PKT3_PKT4_S7_PT5_21rocsparse_index_base_b,comdat
	.globl	_ZN9rocsparseL41csrmvn_lrb_medium_rows_warp_reduce_kernelILj256ELj64Ell18rocsparse_bfloat16S1_ffEEvbT1_lPT2_S4_jNS_24const_host_device_scalarIT6_EEPKS2_PKS3_PKT3_PKT4_S7_PT5_21rocsparse_index_base_b ; -- Begin function _ZN9rocsparseL41csrmvn_lrb_medium_rows_warp_reduce_kernelILj256ELj64Ell18rocsparse_bfloat16S1_ffEEvbT1_lPT2_S4_jNS_24const_host_device_scalarIT6_EEPKS2_PKS3_PKT3_PKT4_S7_PT5_21rocsparse_index_base_b
	.p2align	8
	.type	_ZN9rocsparseL41csrmvn_lrb_medium_rows_warp_reduce_kernelILj256ELj64Ell18rocsparse_bfloat16S1_ffEEvbT1_lPT2_S4_jNS_24const_host_device_scalarIT6_EEPKS2_PKS3_PKT3_PKT4_S7_PT5_21rocsparse_index_base_b,@function
_ZN9rocsparseL41csrmvn_lrb_medium_rows_warp_reduce_kernelILj256ELj64Ell18rocsparse_bfloat16S1_ffEEvbT1_lPT2_S4_jNS_24const_host_device_scalarIT6_EEPKS2_PKS3_PKT3_PKT4_S7_PT5_21rocsparse_index_base_b: ; @_ZN9rocsparseL41csrmvn_lrb_medium_rows_warp_reduce_kernelILj256ELj64Ell18rocsparse_bfloat16S1_ffEEvbT1_lPT2_S4_jNS_24const_host_device_scalarIT6_EEPKS2_PKS3_PKT3_PKT4_S7_PT5_21rocsparse_index_base_b
; %bb.0:
	s_clause 0x2
	s_load_b64 s[4:5], s[0:1], 0x68
	s_load_b64 s[6:7], s[0:1], 0x30
	;; [unrolled: 1-line block ×3, first 2 shown]
	s_wait_kmcnt 0x0
	s_bitcmp1_b32 s5, 0
	s_cselect_b32 s5, -1, 0
	s_delay_alu instid0(SALU_CYCLE_1)
	s_and_b32 vcc_lo, exec_lo, s5
	s_xor_b32 s5, s5, -1
	s_cbranch_vccnz .LBB149_2
; %bb.1:
	s_load_b32 s6, s[6:7], 0x0
.LBB149_2:
	s_and_not1_b32 vcc_lo, exec_lo, s5
	s_cbranch_vccnz .LBB149_4
; %bb.3:
	s_load_b32 s2, s[2:3], 0x0
.LBB149_4:
	s_wait_kmcnt 0x0
	s_cmp_neq_f32 s6, 0
	s_cselect_b32 s3, -1, 0
	s_cmp_neq_f32 s2, 1.0
	s_cselect_b32 s5, -1, 0
	s_delay_alu instid0(SALU_CYCLE_1) | instskip(NEXT) | instid1(SALU_CYCLE_1)
	s_or_b32 s3, s3, s5
	s_and_not1_b32 vcc_lo, exec_lo, s3
	s_cbranch_vccnz .LBB149_14
; %bb.5:
	s_bfe_u32 s3, ttmp6, 0x4000c
	s_load_b64 s[8:9], s[0:1], 0x10
	s_add_co_i32 s3, s3, 1
	s_and_b32 s5, ttmp6, 15
	s_mul_i32 s3, ttmp9, s3
	s_getreg_b32 s7, hwreg(HW_REG_IB_STS2, 6, 4)
	v_lshrrev_b32_e32 v1, 6, v0
	s_add_co_i32 s5, s5, s3
	s_cmp_eq_u32 s7, 0
	s_cselect_b32 s3, ttmp9, s5
	s_delay_alu instid0(VALU_DEP_1) | instid1(SALU_CYCLE_1)
	v_lshl_or_b32 v2, s3, 2, v1
	s_mov_b32 s3, exec_lo
	s_delay_alu instid0(VALU_DEP_1) | instskip(SKIP_1) | instid1(VALU_DEP_1)
	v_ashrrev_i32_e32 v3, 31, v2
	s_wait_kmcnt 0x0
	v_cmpx_gt_i64_e64 s[8:9], v[2:3]
	s_cbranch_execz .LBB149_14
; %bb.6:
	s_clause 0x1
	s_load_b128 s[8:11], s[0:1], 0x18
	s_load_b32 s3, s[0:1], 0x28
	v_dual_mov_b32 v1, 0 :: v_dual_bitop2_b32 v0, 63, v0 bitop3:0x40
	s_mov_b32 s5, 0
	s_delay_alu instid0(VALU_DEP_1) | instid1(SALU_CYCLE_1)
	v_sub_nc_u64_e64 v[10:11], v[0:1], s[4:5]
	s_wait_kmcnt 0x0
	s_load_b64 s[10:11], s[10:11], s3 offset:0x0 scale_offset
	s_wait_xcnt 0x0
	s_mov_b32 s3, exec_lo
	s_wait_kmcnt 0x0
	s_lshl_b64 s[10:11], s[10:11], 3
	s_delay_alu instid0(SALU_CYCLE_1) | instskip(NEXT) | instid1(SALU_CYCLE_1)
	s_add_nc_u64 s[8:9], s[8:9], s[10:11]
	v_lshl_add_u64 v[2:3], v[2:3], 3, s[8:9]
	s_load_b64 s[8:9], s[0:1], 0x38
	global_load_b64 v[2:3], v[2:3], off
	s_wait_loadcnt 0x0
	s_wait_kmcnt 0x0
	v_lshl_add_u64 v[4:5], v[2:3], 3, s[8:9]
	global_load_b128 v[6:9], v[4:5], off
	s_wait_loadcnt 0x0
	v_sub_nc_u64_e64 v[4:5], v[8:9], s[4:5]
	v_add_nc_u64_e32 v[6:7], v[6:7], v[10:11]
	s_delay_alu instid0(VALU_DEP_1)
	v_cmpx_lt_i64_e64 v[6:7], v[4:5]
	s_cbranch_execz .LBB149_10
; %bb.7:
	s_clause 0x1
	s_load_b128 s[12:15], s[0:1], 0x40
	s_load_b64 s[8:9], s[0:1], 0x50
	v_mov_b32_e32 v1, 0
	s_mov_b32 s7, s5
	s_wait_kmcnt 0x0
	v_lshl_add_u64 v[8:9], v[6:7], 1, s[14:15]
	v_lshl_add_u64 v[10:11], v[6:7], 3, s[12:13]
.LBB149_8:                              ; =>This Inner Loop Header: Depth=1
	global_load_b64 v[12:13], v[10:11], off
	global_load_u16 v14, v[8:9], off
	v_add_nc_u64_e32 v[6:7], 64, v[6:7]
	s_wait_xcnt 0x0
	v_add_nc_u64_e32 v[8:9], 0x80, v[8:9]
	v_add_nc_u64_e32 v[10:11], 0x200, v[10:11]
	s_delay_alu instid0(VALU_DEP_3) | instskip(SKIP_3) | instid1(VALU_DEP_1)
	v_cmp_ge_i64_e32 vcc_lo, v[6:7], v[4:5]
	s_or_b32 s7, vcc_lo, s7
	s_wait_loadcnt 0x1
	v_sub_nc_u64_e64 v[12:13], v[12:13], s[4:5]
	v_lshl_add_u64 v[12:13], v[12:13], 1, s[8:9]
	global_load_u16 v12, v[12:13], off
	s_wait_loadcnt 0x1
	s_wait_xcnt 0x0
	v_lshlrev_b32_e32 v13, 16, v14
	s_delay_alu instid0(VALU_DEP_1) | instskip(SKIP_1) | instid1(VALU_DEP_1)
	v_mul_f32_e32 v13, s6, v13
	s_wait_loadcnt 0x0
	v_fma_mix_f32_bf16 v1, v13, v12, v1 op_sel_hi:[0,1,0]
	s_and_not1_b32 exec_lo, exec_lo, s7
	s_cbranch_execnz .LBB149_8
; %bb.9:
	s_or_b32 exec_lo, exec_lo, s7
.LBB149_10:
	s_delay_alu instid0(SALU_CYCLE_1) | instskip(SKIP_2) | instid1(VALU_DEP_1)
	s_or_b32 exec_lo, exec_lo, s3
	v_mbcnt_lo_u32_b32 v4, -1, 0
	s_load_b64 s[0:1], s[0:1], 0x60
	v_xor_b32_e32 v6, 16, v4
	v_or_b32_e32 v5, 32, v4
	s_delay_alu instid0(VALU_DEP_1) | instskip(SKIP_1) | instid1(VALU_DEP_4)
	v_cmp_gt_i32_e32 vcc_lo, 32, v5
	v_cndmask_b32_e32 v5, v4, v5, vcc_lo
	v_cmp_gt_i32_e32 vcc_lo, 32, v6
	v_cndmask_b32_e32 v6, v4, v6, vcc_lo
	s_delay_alu instid0(VALU_DEP_1)
	v_dual_lshlrev_b32 v6, 2, v6 :: v_dual_lshlrev_b32 v5, 2, v5
	ds_bpermute_b32 v5, v5, v1
	s_wait_dscnt 0x0
	v_add_f32_e32 v1, v1, v5
	ds_bpermute_b32 v5, v6, v1
	v_xor_b32_e32 v6, 8, v4
	s_delay_alu instid0(VALU_DEP_1) | instskip(SKIP_2) | instid1(VALU_DEP_1)
	v_cmp_gt_i32_e32 vcc_lo, 32, v6
	s_wait_dscnt 0x0
	v_dual_cndmask_b32 v6, v4, v6 :: v_dual_add_f32 v1, v1, v5
	v_lshlrev_b32_e32 v6, 2, v6
	ds_bpermute_b32 v5, v6, v1
	s_wait_dscnt 0x0
	v_dual_add_f32 v1, v1, v5 :: v_dual_bitop2_b32 v6, 4, v4 bitop3:0x14
	s_delay_alu instid0(VALU_DEP_1) | instskip(SKIP_1) | instid1(VALU_DEP_1)
	v_cmp_gt_i32_e32 vcc_lo, 32, v6
	v_cndmask_b32_e32 v6, v4, v6, vcc_lo
	v_lshlrev_b32_e32 v6, 2, v6
	ds_bpermute_b32 v5, v6, v1
	v_xor_b32_e32 v6, 2, v4
	s_delay_alu instid0(VALU_DEP_1) | instskip(SKIP_2) | instid1(VALU_DEP_1)
	v_cmp_gt_i32_e32 vcc_lo, 32, v6
	v_cndmask_b32_e32 v6, v4, v6, vcc_lo
	s_wait_dscnt 0x0
	v_dual_add_f32 v1, v1, v5 :: v_dual_lshlrev_b32 v6, 2, v6
	ds_bpermute_b32 v5, v6, v1
	v_xor_b32_e32 v6, 1, v4
	s_delay_alu instid0(VALU_DEP_1) | instskip(SKIP_3) | instid1(VALU_DEP_2)
	v_cmp_gt_i32_e32 vcc_lo, 32, v6
	v_cndmask_b32_e32 v4, v4, v6, vcc_lo
	v_cmp_eq_u32_e32 vcc_lo, 63, v0
	s_wait_dscnt 0x0
	v_dual_add_f32 v1, v1, v5 :: v_dual_lshlrev_b32 v4, 2, v4
	ds_bpermute_b32 v4, v4, v1
	s_and_b32 exec_lo, exec_lo, vcc_lo
	s_cbranch_execz .LBB149_14
; %bb.11:
	s_wait_dscnt 0x0
	v_add_f32_e32 v4, v1, v4
	s_wait_kmcnt 0x0
	v_lshl_add_u64 v[0:1], v[2:3], 2, s[0:1]
	s_cmp_eq_f32 s2, 0
	s_cbranch_scc1 .LBB149_13
; %bb.12:
	global_load_b32 v2, v[0:1], off
	s_wait_loadcnt 0x0
	v_fmac_f32_e32 v4, s2, v2
.LBB149_13:
	global_store_b32 v[0:1], v4, off
.LBB149_14:
	s_endpgm
	.section	.rodata,"a",@progbits
	.p2align	6, 0x0
	.amdhsa_kernel _ZN9rocsparseL41csrmvn_lrb_medium_rows_warp_reduce_kernelILj256ELj64Ell18rocsparse_bfloat16S1_ffEEvbT1_lPT2_S4_jNS_24const_host_device_scalarIT6_EEPKS2_PKS3_PKT3_PKT4_S7_PT5_21rocsparse_index_base_b
		.amdhsa_group_segment_fixed_size 0
		.amdhsa_private_segment_fixed_size 0
		.amdhsa_kernarg_size 112
		.amdhsa_user_sgpr_count 2
		.amdhsa_user_sgpr_dispatch_ptr 0
		.amdhsa_user_sgpr_queue_ptr 0
		.amdhsa_user_sgpr_kernarg_segment_ptr 1
		.amdhsa_user_sgpr_dispatch_id 0
		.amdhsa_user_sgpr_kernarg_preload_length 0
		.amdhsa_user_sgpr_kernarg_preload_offset 0
		.amdhsa_user_sgpr_private_segment_size 0
		.amdhsa_wavefront_size32 1
		.amdhsa_uses_dynamic_stack 0
		.amdhsa_enable_private_segment 0
		.amdhsa_system_sgpr_workgroup_id_x 1
		.amdhsa_system_sgpr_workgroup_id_y 0
		.amdhsa_system_sgpr_workgroup_id_z 0
		.amdhsa_system_sgpr_workgroup_info 0
		.amdhsa_system_vgpr_workitem_id 0
		.amdhsa_next_free_vgpr 15
		.amdhsa_next_free_sgpr 16
		.amdhsa_named_barrier_count 0
		.amdhsa_reserve_vcc 1
		.amdhsa_float_round_mode_32 0
		.amdhsa_float_round_mode_16_64 0
		.amdhsa_float_denorm_mode_32 3
		.amdhsa_float_denorm_mode_16_64 3
		.amdhsa_fp16_overflow 0
		.amdhsa_memory_ordered 1
		.amdhsa_forward_progress 1
		.amdhsa_inst_pref_size 7
		.amdhsa_round_robin_scheduling 0
		.amdhsa_exception_fp_ieee_invalid_op 0
		.amdhsa_exception_fp_denorm_src 0
		.amdhsa_exception_fp_ieee_div_zero 0
		.amdhsa_exception_fp_ieee_overflow 0
		.amdhsa_exception_fp_ieee_underflow 0
		.amdhsa_exception_fp_ieee_inexact 0
		.amdhsa_exception_int_div_zero 0
	.end_amdhsa_kernel
	.section	.text._ZN9rocsparseL41csrmvn_lrb_medium_rows_warp_reduce_kernelILj256ELj64Ell18rocsparse_bfloat16S1_ffEEvbT1_lPT2_S4_jNS_24const_host_device_scalarIT6_EEPKS2_PKS3_PKT3_PKT4_S7_PT5_21rocsparse_index_base_b,"axG",@progbits,_ZN9rocsparseL41csrmvn_lrb_medium_rows_warp_reduce_kernelILj256ELj64Ell18rocsparse_bfloat16S1_ffEEvbT1_lPT2_S4_jNS_24const_host_device_scalarIT6_EEPKS2_PKS3_PKT3_PKT4_S7_PT5_21rocsparse_index_base_b,comdat
.Lfunc_end149:
	.size	_ZN9rocsparseL41csrmvn_lrb_medium_rows_warp_reduce_kernelILj256ELj64Ell18rocsparse_bfloat16S1_ffEEvbT1_lPT2_S4_jNS_24const_host_device_scalarIT6_EEPKS2_PKS3_PKT3_PKT4_S7_PT5_21rocsparse_index_base_b, .Lfunc_end149-_ZN9rocsparseL41csrmvn_lrb_medium_rows_warp_reduce_kernelILj256ELj64Ell18rocsparse_bfloat16S1_ffEEvbT1_lPT2_S4_jNS_24const_host_device_scalarIT6_EEPKS2_PKS3_PKT3_PKT4_S7_PT5_21rocsparse_index_base_b
                                        ; -- End function
	.set _ZN9rocsparseL41csrmvn_lrb_medium_rows_warp_reduce_kernelILj256ELj64Ell18rocsparse_bfloat16S1_ffEEvbT1_lPT2_S4_jNS_24const_host_device_scalarIT6_EEPKS2_PKS3_PKT3_PKT4_S7_PT5_21rocsparse_index_base_b.num_vgpr, 15
	.set _ZN9rocsparseL41csrmvn_lrb_medium_rows_warp_reduce_kernelILj256ELj64Ell18rocsparse_bfloat16S1_ffEEvbT1_lPT2_S4_jNS_24const_host_device_scalarIT6_EEPKS2_PKS3_PKT3_PKT4_S7_PT5_21rocsparse_index_base_b.num_agpr, 0
	.set _ZN9rocsparseL41csrmvn_lrb_medium_rows_warp_reduce_kernelILj256ELj64Ell18rocsparse_bfloat16S1_ffEEvbT1_lPT2_S4_jNS_24const_host_device_scalarIT6_EEPKS2_PKS3_PKT3_PKT4_S7_PT5_21rocsparse_index_base_b.numbered_sgpr, 16
	.set _ZN9rocsparseL41csrmvn_lrb_medium_rows_warp_reduce_kernelILj256ELj64Ell18rocsparse_bfloat16S1_ffEEvbT1_lPT2_S4_jNS_24const_host_device_scalarIT6_EEPKS2_PKS3_PKT3_PKT4_S7_PT5_21rocsparse_index_base_b.num_named_barrier, 0
	.set _ZN9rocsparseL41csrmvn_lrb_medium_rows_warp_reduce_kernelILj256ELj64Ell18rocsparse_bfloat16S1_ffEEvbT1_lPT2_S4_jNS_24const_host_device_scalarIT6_EEPKS2_PKS3_PKT3_PKT4_S7_PT5_21rocsparse_index_base_b.private_seg_size, 0
	.set _ZN9rocsparseL41csrmvn_lrb_medium_rows_warp_reduce_kernelILj256ELj64Ell18rocsparse_bfloat16S1_ffEEvbT1_lPT2_S4_jNS_24const_host_device_scalarIT6_EEPKS2_PKS3_PKT3_PKT4_S7_PT5_21rocsparse_index_base_b.uses_vcc, 1
	.set _ZN9rocsparseL41csrmvn_lrb_medium_rows_warp_reduce_kernelILj256ELj64Ell18rocsparse_bfloat16S1_ffEEvbT1_lPT2_S4_jNS_24const_host_device_scalarIT6_EEPKS2_PKS3_PKT3_PKT4_S7_PT5_21rocsparse_index_base_b.uses_flat_scratch, 0
	.set _ZN9rocsparseL41csrmvn_lrb_medium_rows_warp_reduce_kernelILj256ELj64Ell18rocsparse_bfloat16S1_ffEEvbT1_lPT2_S4_jNS_24const_host_device_scalarIT6_EEPKS2_PKS3_PKT3_PKT4_S7_PT5_21rocsparse_index_base_b.has_dyn_sized_stack, 0
	.set _ZN9rocsparseL41csrmvn_lrb_medium_rows_warp_reduce_kernelILj256ELj64Ell18rocsparse_bfloat16S1_ffEEvbT1_lPT2_S4_jNS_24const_host_device_scalarIT6_EEPKS2_PKS3_PKT3_PKT4_S7_PT5_21rocsparse_index_base_b.has_recursion, 0
	.set _ZN9rocsparseL41csrmvn_lrb_medium_rows_warp_reduce_kernelILj256ELj64Ell18rocsparse_bfloat16S1_ffEEvbT1_lPT2_S4_jNS_24const_host_device_scalarIT6_EEPKS2_PKS3_PKT3_PKT4_S7_PT5_21rocsparse_index_base_b.has_indirect_call, 0
	.section	.AMDGPU.csdata,"",@progbits
; Kernel info:
; codeLenInByte = 876
; TotalNumSgprs: 18
; NumVgprs: 15
; ScratchSize: 0
; MemoryBound: 0
; FloatMode: 240
; IeeeMode: 1
; LDSByteSize: 0 bytes/workgroup (compile time only)
; SGPRBlocks: 0
; VGPRBlocks: 0
; NumSGPRsForWavesPerEU: 18
; NumVGPRsForWavesPerEU: 15
; NamedBarCnt: 0
; Occupancy: 16
; WaveLimiterHint : 1
; COMPUTE_PGM_RSRC2:SCRATCH_EN: 0
; COMPUTE_PGM_RSRC2:USER_SGPR: 2
; COMPUTE_PGM_RSRC2:TRAP_HANDLER: 0
; COMPUTE_PGM_RSRC2:TGID_X_EN: 1
; COMPUTE_PGM_RSRC2:TGID_Y_EN: 0
; COMPUTE_PGM_RSRC2:TGID_Z_EN: 0
; COMPUTE_PGM_RSRC2:TIDIG_COMP_CNT: 0
	.section	.text._ZN9rocsparseL29csrmvn_lrb_medium_rows_kernelILj256Ell18rocsparse_bfloat16S1_ffEEvbT0_PT1_S4_jNS_24const_host_device_scalarIT5_EEPKS2_PKS3_PKT2_PKT3_S7_PT4_21rocsparse_index_base_b,"axG",@progbits,_ZN9rocsparseL29csrmvn_lrb_medium_rows_kernelILj256Ell18rocsparse_bfloat16S1_ffEEvbT0_PT1_S4_jNS_24const_host_device_scalarIT5_EEPKS2_PKS3_PKT2_PKT3_S7_PT4_21rocsparse_index_base_b,comdat
	.globl	_ZN9rocsparseL29csrmvn_lrb_medium_rows_kernelILj256Ell18rocsparse_bfloat16S1_ffEEvbT0_PT1_S4_jNS_24const_host_device_scalarIT5_EEPKS2_PKS3_PKT2_PKT3_S7_PT4_21rocsparse_index_base_b ; -- Begin function _ZN9rocsparseL29csrmvn_lrb_medium_rows_kernelILj256Ell18rocsparse_bfloat16S1_ffEEvbT0_PT1_S4_jNS_24const_host_device_scalarIT5_EEPKS2_PKS3_PKT2_PKT3_S7_PT4_21rocsparse_index_base_b
	.p2align	8
	.type	_ZN9rocsparseL29csrmvn_lrb_medium_rows_kernelILj256Ell18rocsparse_bfloat16S1_ffEEvbT0_PT1_S4_jNS_24const_host_device_scalarIT5_EEPKS2_PKS3_PKT2_PKT3_S7_PT4_21rocsparse_index_base_b,@function
_ZN9rocsparseL29csrmvn_lrb_medium_rows_kernelILj256Ell18rocsparse_bfloat16S1_ffEEvbT0_PT1_S4_jNS_24const_host_device_scalarIT5_EEPKS2_PKS3_PKT2_PKT3_S7_PT4_21rocsparse_index_base_b: ; @_ZN9rocsparseL29csrmvn_lrb_medium_rows_kernelILj256Ell18rocsparse_bfloat16S1_ffEEvbT0_PT1_S4_jNS_24const_host_device_scalarIT5_EEPKS2_PKS3_PKT2_PKT3_S7_PT4_21rocsparse_index_base_b
; %bb.0:
	s_clause 0x2
	s_load_b64 s[6:7], s[0:1], 0x60
	s_load_b64 s[8:9], s[0:1], 0x28
	;; [unrolled: 1-line block ×3, first 2 shown]
	s_wait_kmcnt 0x0
	s_bitcmp1_b32 s7, 0
	s_cselect_b32 s4, -1, 0
	s_delay_alu instid0(SALU_CYCLE_1)
	s_and_b32 vcc_lo, exec_lo, s4
	s_xor_b32 s4, s4, -1
	s_cbranch_vccnz .LBB150_2
; %bb.1:
	s_load_b32 s8, s[8:9], 0x0
.LBB150_2:
	s_and_not1_b32 vcc_lo, exec_lo, s4
	s_cbranch_vccnz .LBB150_4
; %bb.3:
	s_load_b32 s2, s[2:3], 0x0
.LBB150_4:
	s_wait_kmcnt 0x0
	s_cmp_neq_f32 s8, 0
	s_mov_b32 s7, 0
	s_cselect_b32 s3, -1, 0
	s_cmp_neq_f32 s2, 1.0
	s_cselect_b32 s4, -1, 0
	s_delay_alu instid0(SALU_CYCLE_1) | instskip(NEXT) | instid1(SALU_CYCLE_1)
	s_or_b32 s3, s3, s4
	s_and_not1_b32 vcc_lo, exec_lo, s3
	s_cbranch_vccnz .LBB150_29
; %bb.5:
	s_clause 0x1
	s_load_b128 s[12:15], s[0:1], 0x10
	s_load_b32 s3, s[0:1], 0x20
	s_and_b32 s9, ttmp6, 15
	s_getreg_b32 s10, hwreg(HW_REG_IB_STS2, 6, 4)
	v_mov_b32_e32 v1, 0
	s_delay_alu instid0(VALU_DEP_1) | instskip(SKIP_4) | instid1(SALU_CYCLE_1)
	v_sub_nc_u64_e64 v[2:3], v[0:1], s[6:7]
	s_wait_kmcnt 0x0
	s_load_b64 s[4:5], s[14:15], s3 offset:0x0 scale_offset
	s_wait_xcnt 0x0
	s_bfe_u32 s3, ttmp6, 0x4000c
	s_add_co_i32 s3, s3, 1
	s_delay_alu instid0(SALU_CYCLE_1) | instskip(NEXT) | instid1(SALU_CYCLE_1)
	s_mul_i32 s3, ttmp9, s3
	s_add_co_i32 s9, s9, s3
	s_cmp_eq_u32 s10, 0
	s_mov_b32 s3, exec_lo
	s_cselect_b32 s10, ttmp9, s9
	s_delay_alu instid0(SALU_CYCLE_1) | instskip(NEXT) | instid1(SALU_CYCLE_1)
	s_ashr_i32 s11, s10, 31
	s_lshl_b64 s[10:11], s[10:11], 3
	s_wait_kmcnt 0x0
	s_lshl_b64 s[4:5], s[4:5], 3
	s_delay_alu instid0(SALU_CYCLE_1) | instskip(NEXT) | instid1(SALU_CYCLE_1)
	s_add_nc_u64 s[4:5], s[12:13], s[4:5]
	s_add_nc_u64 s[10:11], s[4:5], s[10:11]
	s_load_b64 s[4:5], s[10:11], 0x0
	s_load_b64 s[12:13], s[0:1], 0x30
	s_wait_kmcnt 0x0
	s_lshl_b64 s[10:11], s[4:5], 3
	s_delay_alu instid0(SALU_CYCLE_1)
	s_add_nc_u64 s[10:11], s[12:13], s[10:11]
	s_load_b128 s[12:15], s[10:11], 0x0
	s_wait_kmcnt 0x0
	v_add_nc_u64_e32 v[2:3], s[12:13], v[2:3]
	s_sub_nc_u64 s[10:11], s[14:15], s[6:7]
	s_delay_alu instid0(VALU_DEP_1) | instid1(SALU_CYCLE_1)
	v_cmpx_gt_i64_e64 s[10:11], v[2:3]
	s_cbranch_execz .LBB150_9
; %bb.6:
	s_clause 0x1
	s_load_b128 s[16:19], s[0:1], 0x38
	s_load_b64 s[12:13], s[0:1], 0x48
	v_mov_b32_e32 v1, 0
	s_mov_b32 s9, 0
	s_wait_kmcnt 0x0
	v_lshl_add_u64 v[4:5], v[2:3], 1, s[18:19]
	v_lshl_add_u64 v[6:7], v[2:3], 3, s[16:17]
.LBB150_7:                              ; =>This Inner Loop Header: Depth=1
	global_load_b64 v[8:9], v[6:7], off
	global_load_u16 v10, v[4:5], off
	v_add_nc_u64_e32 v[2:3], 0x100, v[2:3]
	s_wait_xcnt 0x0
	v_add_nc_u64_e32 v[4:5], 0x200, v[4:5]
	v_add_nc_u64_e32 v[6:7], 0x800, v[6:7]
	s_delay_alu instid0(VALU_DEP_3) | instskip(SKIP_3) | instid1(VALU_DEP_1)
	v_cmp_le_i64_e32 vcc_lo, s[10:11], v[2:3]
	s_or_b32 s9, vcc_lo, s9
	s_wait_loadcnt 0x1
	v_sub_nc_u64_e64 v[8:9], v[8:9], s[6:7]
	v_lshl_add_u64 v[8:9], v[8:9], 1, s[12:13]
	global_load_u16 v8, v[8:9], off
	s_wait_loadcnt 0x1
	s_wait_xcnt 0x0
	v_lshlrev_b32_e32 v9, 16, v10
	s_delay_alu instid0(VALU_DEP_1) | instskip(SKIP_1) | instid1(VALU_DEP_1)
	v_mul_f32_e32 v9, s8, v9
	s_wait_loadcnt 0x0
	v_fma_mix_f32_bf16 v1, v9, v8, v1 op_sel_hi:[0,1,0]
	s_and_not1_b32 exec_lo, exec_lo, s9
	s_cbranch_execnz .LBB150_7
; %bb.8:
	s_or_b32 exec_lo, exec_lo, s9
.LBB150_9:
	s_delay_alu instid0(SALU_CYCLE_1)
	s_or_b32 exec_lo, exec_lo, s3
	s_load_b64 s[0:1], s[0:1], 0x58
	v_lshlrev_b32_e32 v2, 2, v0
	s_mov_b32 s3, exec_lo
	ds_store_b32 v2, v1
	s_wait_dscnt 0x0
	s_barrier_signal -1
	s_barrier_wait -1
	v_cmpx_gt_u32_e32 0x80, v0
	s_cbranch_execz .LBB150_11
; %bb.10:
	ds_load_2addr_stride64_b32 v[4:5], v2 offset1:2
	s_wait_dscnt 0x0
	v_add_f32_e32 v1, v4, v5
	ds_store_b32 v2, v1
.LBB150_11:
	s_or_b32 exec_lo, exec_lo, s3
	s_delay_alu instid0(SALU_CYCLE_1)
	s_mov_b32 s3, exec_lo
	s_wait_dscnt 0x0
	s_barrier_signal -1
	s_barrier_wait -1
	v_cmpx_gt_u32_e32 64, v0
	s_cbranch_execz .LBB150_13
; %bb.12:
	ds_load_2addr_stride64_b32 v[4:5], v2 offset1:1
	s_wait_dscnt 0x0
	v_add_f32_e32 v1, v4, v5
	ds_store_b32 v2, v1
.LBB150_13:
	s_or_b32 exec_lo, exec_lo, s3
	s_delay_alu instid0(SALU_CYCLE_1)
	s_mov_b32 s3, exec_lo
	s_wait_dscnt 0x0
	s_barrier_signal -1
	s_barrier_wait -1
	v_cmpx_gt_u32_e32 32, v0
	s_cbranch_execz .LBB150_15
; %bb.14:
	ds_load_2addr_b32 v[4:5], v2 offset1:32
	s_wait_dscnt 0x0
	v_add_f32_e32 v1, v4, v5
	ds_store_b32 v2, v1
.LBB150_15:
	s_or_b32 exec_lo, exec_lo, s3
	s_delay_alu instid0(SALU_CYCLE_1)
	s_mov_b32 s3, exec_lo
	s_wait_dscnt 0x0
	s_barrier_signal -1
	s_barrier_wait -1
	v_cmpx_gt_u32_e32 16, v0
	s_cbranch_execz .LBB150_17
; %bb.16:
	ds_load_2addr_b32 v[4:5], v2 offset1:16
	s_wait_dscnt 0x0
	v_add_f32_e32 v1, v4, v5
	ds_store_b32 v2, v1
.LBB150_17:
	;; [unrolled: 14-line block ×5, first 2 shown]
	s_or_b32 exec_lo, exec_lo, s3
	v_cmp_eq_u32_e32 vcc_lo, 0, v0
	s_wait_dscnt 0x0
	s_barrier_signal -1
	s_barrier_wait -1
	s_and_saveexec_b32 s3, vcc_lo
	s_cbranch_execz .LBB150_25
; %bb.24:
	v_mov_b32_e32 v2, 0
	ds_load_b64 v[0:1], v2
	s_wait_dscnt 0x0
	v_add_f32_e32 v0, v0, v1
	ds_store_b32 v2, v0
.LBB150_25:
	s_or_b32 exec_lo, exec_lo, s3
	s_wait_dscnt 0x0
	s_barrier_signal -1
	s_barrier_wait -1
	s_and_saveexec_b32 s3, vcc_lo
	s_cbranch_execz .LBB150_29
; %bb.26:
	v_mov_b32_e32 v0, 0
	s_cmp_eq_f32 s2, 0
	ds_load_b32 v1, v0
	s_cbranch_scc1 .LBB150_28
; %bb.27:
	s_lshl_b64 s[6:7], s[4:5], 2
	s_wait_kmcnt 0x0
	s_add_nc_u64 s[6:7], s[0:1], s[6:7]
	s_load_b32 s3, s[6:7], 0x0
	s_wait_dscnt 0x0
	s_wait_kmcnt 0x0
	v_fmac_f32_e64 v1, s2, s3
.LBB150_28:
	s_lshl_b64 s[2:3], s[4:5], 2
	s_wait_kmcnt 0x0
	s_add_nc_u64 s[0:1], s[0:1], s[2:3]
	s_wait_dscnt 0x0
	global_store_b32 v0, v1, s[0:1]
.LBB150_29:
	s_endpgm
	.section	.rodata,"a",@progbits
	.p2align	6, 0x0
	.amdhsa_kernel _ZN9rocsparseL29csrmvn_lrb_medium_rows_kernelILj256Ell18rocsparse_bfloat16S1_ffEEvbT0_PT1_S4_jNS_24const_host_device_scalarIT5_EEPKS2_PKS3_PKT2_PKT3_S7_PT4_21rocsparse_index_base_b
		.amdhsa_group_segment_fixed_size 1024
		.amdhsa_private_segment_fixed_size 0
		.amdhsa_kernarg_size 104
		.amdhsa_user_sgpr_count 2
		.amdhsa_user_sgpr_dispatch_ptr 0
		.amdhsa_user_sgpr_queue_ptr 0
		.amdhsa_user_sgpr_kernarg_segment_ptr 1
		.amdhsa_user_sgpr_dispatch_id 0
		.amdhsa_user_sgpr_kernarg_preload_length 0
		.amdhsa_user_sgpr_kernarg_preload_offset 0
		.amdhsa_user_sgpr_private_segment_size 0
		.amdhsa_wavefront_size32 1
		.amdhsa_uses_dynamic_stack 0
		.amdhsa_enable_private_segment 0
		.amdhsa_system_sgpr_workgroup_id_x 1
		.amdhsa_system_sgpr_workgroup_id_y 0
		.amdhsa_system_sgpr_workgroup_id_z 0
		.amdhsa_system_sgpr_workgroup_info 0
		.amdhsa_system_vgpr_workitem_id 0
		.amdhsa_next_free_vgpr 11
		.amdhsa_next_free_sgpr 20
		.amdhsa_named_barrier_count 0
		.amdhsa_reserve_vcc 1
		.amdhsa_float_round_mode_32 0
		.amdhsa_float_round_mode_16_64 0
		.amdhsa_float_denorm_mode_32 3
		.amdhsa_float_denorm_mode_16_64 3
		.amdhsa_fp16_overflow 0
		.amdhsa_memory_ordered 1
		.amdhsa_forward_progress 1
		.amdhsa_inst_pref_size 9
		.amdhsa_round_robin_scheduling 0
		.amdhsa_exception_fp_ieee_invalid_op 0
		.amdhsa_exception_fp_denorm_src 0
		.amdhsa_exception_fp_ieee_div_zero 0
		.amdhsa_exception_fp_ieee_overflow 0
		.amdhsa_exception_fp_ieee_underflow 0
		.amdhsa_exception_fp_ieee_inexact 0
		.amdhsa_exception_int_div_zero 0
	.end_amdhsa_kernel
	.section	.text._ZN9rocsparseL29csrmvn_lrb_medium_rows_kernelILj256Ell18rocsparse_bfloat16S1_ffEEvbT0_PT1_S4_jNS_24const_host_device_scalarIT5_EEPKS2_PKS3_PKT2_PKT3_S7_PT4_21rocsparse_index_base_b,"axG",@progbits,_ZN9rocsparseL29csrmvn_lrb_medium_rows_kernelILj256Ell18rocsparse_bfloat16S1_ffEEvbT0_PT1_S4_jNS_24const_host_device_scalarIT5_EEPKS2_PKS3_PKT2_PKT3_S7_PT4_21rocsparse_index_base_b,comdat
.Lfunc_end150:
	.size	_ZN9rocsparseL29csrmvn_lrb_medium_rows_kernelILj256Ell18rocsparse_bfloat16S1_ffEEvbT0_PT1_S4_jNS_24const_host_device_scalarIT5_EEPKS2_PKS3_PKT2_PKT3_S7_PT4_21rocsparse_index_base_b, .Lfunc_end150-_ZN9rocsparseL29csrmvn_lrb_medium_rows_kernelILj256Ell18rocsparse_bfloat16S1_ffEEvbT0_PT1_S4_jNS_24const_host_device_scalarIT5_EEPKS2_PKS3_PKT2_PKT3_S7_PT4_21rocsparse_index_base_b
                                        ; -- End function
	.set _ZN9rocsparseL29csrmvn_lrb_medium_rows_kernelILj256Ell18rocsparse_bfloat16S1_ffEEvbT0_PT1_S4_jNS_24const_host_device_scalarIT5_EEPKS2_PKS3_PKT2_PKT3_S7_PT4_21rocsparse_index_base_b.num_vgpr, 11
	.set _ZN9rocsparseL29csrmvn_lrb_medium_rows_kernelILj256Ell18rocsparse_bfloat16S1_ffEEvbT0_PT1_S4_jNS_24const_host_device_scalarIT5_EEPKS2_PKS3_PKT2_PKT3_S7_PT4_21rocsparse_index_base_b.num_agpr, 0
	.set _ZN9rocsparseL29csrmvn_lrb_medium_rows_kernelILj256Ell18rocsparse_bfloat16S1_ffEEvbT0_PT1_S4_jNS_24const_host_device_scalarIT5_EEPKS2_PKS3_PKT2_PKT3_S7_PT4_21rocsparse_index_base_b.numbered_sgpr, 20
	.set _ZN9rocsparseL29csrmvn_lrb_medium_rows_kernelILj256Ell18rocsparse_bfloat16S1_ffEEvbT0_PT1_S4_jNS_24const_host_device_scalarIT5_EEPKS2_PKS3_PKT2_PKT3_S7_PT4_21rocsparse_index_base_b.num_named_barrier, 0
	.set _ZN9rocsparseL29csrmvn_lrb_medium_rows_kernelILj256Ell18rocsparse_bfloat16S1_ffEEvbT0_PT1_S4_jNS_24const_host_device_scalarIT5_EEPKS2_PKS3_PKT2_PKT3_S7_PT4_21rocsparse_index_base_b.private_seg_size, 0
	.set _ZN9rocsparseL29csrmvn_lrb_medium_rows_kernelILj256Ell18rocsparse_bfloat16S1_ffEEvbT0_PT1_S4_jNS_24const_host_device_scalarIT5_EEPKS2_PKS3_PKT2_PKT3_S7_PT4_21rocsparse_index_base_b.uses_vcc, 1
	.set _ZN9rocsparseL29csrmvn_lrb_medium_rows_kernelILj256Ell18rocsparse_bfloat16S1_ffEEvbT0_PT1_S4_jNS_24const_host_device_scalarIT5_EEPKS2_PKS3_PKT2_PKT3_S7_PT4_21rocsparse_index_base_b.uses_flat_scratch, 0
	.set _ZN9rocsparseL29csrmvn_lrb_medium_rows_kernelILj256Ell18rocsparse_bfloat16S1_ffEEvbT0_PT1_S4_jNS_24const_host_device_scalarIT5_EEPKS2_PKS3_PKT2_PKT3_S7_PT4_21rocsparse_index_base_b.has_dyn_sized_stack, 0
	.set _ZN9rocsparseL29csrmvn_lrb_medium_rows_kernelILj256Ell18rocsparse_bfloat16S1_ffEEvbT0_PT1_S4_jNS_24const_host_device_scalarIT5_EEPKS2_PKS3_PKT2_PKT3_S7_PT4_21rocsparse_index_base_b.has_recursion, 0
	.set _ZN9rocsparseL29csrmvn_lrb_medium_rows_kernelILj256Ell18rocsparse_bfloat16S1_ffEEvbT0_PT1_S4_jNS_24const_host_device_scalarIT5_EEPKS2_PKS3_PKT2_PKT3_S7_PT4_21rocsparse_index_base_b.has_indirect_call, 0
	.section	.AMDGPU.csdata,"",@progbits
; Kernel info:
; codeLenInByte = 1088
; TotalNumSgprs: 22
; NumVgprs: 11
; ScratchSize: 0
; MemoryBound: 0
; FloatMode: 240
; IeeeMode: 1
; LDSByteSize: 1024 bytes/workgroup (compile time only)
; SGPRBlocks: 0
; VGPRBlocks: 0
; NumSGPRsForWavesPerEU: 22
; NumVGPRsForWavesPerEU: 11
; NamedBarCnt: 0
; Occupancy: 16
; WaveLimiterHint : 1
; COMPUTE_PGM_RSRC2:SCRATCH_EN: 0
; COMPUTE_PGM_RSRC2:USER_SGPR: 2
; COMPUTE_PGM_RSRC2:TRAP_HANDLER: 0
; COMPUTE_PGM_RSRC2:TGID_X_EN: 1
; COMPUTE_PGM_RSRC2:TGID_Y_EN: 0
; COMPUTE_PGM_RSRC2:TGID_Z_EN: 0
; COMPUTE_PGM_RSRC2:TIDIG_COMP_CNT: 0
	.section	.text._ZN9rocsparseL27csrmvn_lrb_long_rows_kernelIll18rocsparse_bfloat16S1_ffEEvbT_PjPT0_S5_jNS_24const_host_device_scalarIT4_EEPKS2_PKS4_PKT1_PKT2_S8_PT3_21rocsparse_index_base_b,"axG",@progbits,_ZN9rocsparseL27csrmvn_lrb_long_rows_kernelIll18rocsparse_bfloat16S1_ffEEvbT_PjPT0_S5_jNS_24const_host_device_scalarIT4_EEPKS2_PKS4_PKT1_PKT2_S8_PT3_21rocsparse_index_base_b,comdat
	.globl	_ZN9rocsparseL27csrmvn_lrb_long_rows_kernelIll18rocsparse_bfloat16S1_ffEEvbT_PjPT0_S5_jNS_24const_host_device_scalarIT4_EEPKS2_PKS4_PKT1_PKT2_S8_PT3_21rocsparse_index_base_b ; -- Begin function _ZN9rocsparseL27csrmvn_lrb_long_rows_kernelIll18rocsparse_bfloat16S1_ffEEvbT_PjPT0_S5_jNS_24const_host_device_scalarIT4_EEPKS2_PKS4_PKT1_PKT2_S8_PT3_21rocsparse_index_base_b
	.p2align	8
	.type	_ZN9rocsparseL27csrmvn_lrb_long_rows_kernelIll18rocsparse_bfloat16S1_ffEEvbT_PjPT0_S5_jNS_24const_host_device_scalarIT4_EEPKS2_PKS4_PKT1_PKT2_S8_PT3_21rocsparse_index_base_b,@function
_ZN9rocsparseL27csrmvn_lrb_long_rows_kernelIll18rocsparse_bfloat16S1_ffEEvbT_PjPT0_S5_jNS_24const_host_device_scalarIT4_EEPKS2_PKS4_PKT1_PKT2_S8_PT3_21rocsparse_index_base_b: ; @_ZN9rocsparseL27csrmvn_lrb_long_rows_kernelIll18rocsparse_bfloat16S1_ffEEvbT_PjPT0_S5_jNS_24const_host_device_scalarIT4_EEPKS2_PKS4_PKT1_PKT2_S8_PT3_21rocsparse_index_base_b
; %bb.0:
	s_clause 0x2
	s_load_b64 s[18:19], s[0:1], 0x68
	s_load_b64 s[20:21], s[0:1], 0x30
	s_load_b64 s[22:23], s[0:1], 0x58
	s_wait_kmcnt 0x0
	s_bitcmp1_b32 s19, 0
	s_cselect_b32 s2, -1, 0
	s_delay_alu instid0(SALU_CYCLE_1)
	s_and_b32 vcc_lo, exec_lo, s2
	s_xor_b32 s2, s2, -1
	s_cbranch_vccnz .LBB151_2
; %bb.1:
	s_load_b32 s20, s[20:21], 0x0
.LBB151_2:
	s_and_not1_b32 vcc_lo, exec_lo, s2
	s_cbranch_vccnz .LBB151_4
; %bb.3:
	s_load_b32 s22, s[22:23], 0x0
.LBB151_4:
	s_wait_kmcnt 0x0
	s_cmp_neq_f32 s20, 0
	s_cselect_b32 s2, -1, 0
	s_cmp_neq_f32 s22, 1.0
	s_cselect_b32 s3, -1, 0
	s_delay_alu instid0(SALU_CYCLE_1)
	s_or_b32 s2, s2, s3
	s_mov_b32 s3, 0
	s_and_not1_b32 vcc_lo, exec_lo, s2
	s_cbranch_vccnz .LBB151_38
; %bb.5:
	s_clause 0x1
	s_load_b96 s[8:10], s[0:1], 0x20
	s_load_b128 s[4:7], s[0:1], 0x10
	s_bfe_u32 s13, ttmp6, 0x4000c
	s_and_b32 s12, ttmp6, 15
	s_add_co_i32 s13, s13, 1
	s_getreg_b32 s14, hwreg(HW_REG_IB_STS2, 6, 4)
	s_mul_i32 s13, ttmp9, s13
	v_mov_b32_e32 v10, 0
	s_add_co_i32 s12, s12, s13
	s_wait_kmcnt 0x0
	s_lshl_b32 s2, -1, s10
	s_load_b64 s[8:9], s[8:9], s10 offset:0x0 scale_offset
	s_not_b32 s2, s2
	s_delay_alu instid0(SALU_CYCLE_1) | instskip(NEXT) | instid1(SALU_CYCLE_1)
	s_mul_hi_u32 s2, s2, 0x2aaaaaab
	s_lshr_b32 s2, s2, 7
	s_delay_alu instid0(SALU_CYCLE_1) | instskip(SKIP_2) | instid1(SALU_CYCLE_3)
	s_add_co_i32 s19, s2, 1
	s_not_b32 s2, s2
	s_cvt_f32_u32 s11, s19
	v_rcp_iflag_f32_e32 v1, s11
	v_nop
	s_delay_alu instid0(TRANS32_DEP_1) | instskip(SKIP_1) | instid1(SALU_CYCLE_3)
	v_readfirstlane_b32 s11, v1
	s_mul_f32 s11, s11, 0x4f7ffffe
	s_cvt_u32_f32 s11, s11
	s_delay_alu instid0(SALU_CYCLE_3) | instskip(NEXT) | instid1(SALU_CYCLE_1)
	s_mul_i32 s2, s2, s11
	s_mul_hi_u32 s2, s11, s2
	s_delay_alu instid0(SALU_CYCLE_1) | instskip(SKIP_2) | instid1(SALU_CYCLE_1)
	s_add_co_i32 s11, s11, s2
	s_cmp_eq_u32 s14, 0
	s_cselect_b32 s16, ttmp9, s12
	s_mul_hi_u32 s2, s16, s11
	s_wait_xcnt 0x0
	s_mul_i32 s10, s2, s19
	s_add_co_i32 s11, s2, 1
	s_sub_co_i32 s10, s16, s10
	s_delay_alu instid0(SALU_CYCLE_1)
	s_sub_co_i32 s12, s10, s19
	s_cmp_ge_u32 s10, s19
	s_cselect_b32 s2, s11, s2
	s_cselect_b32 s10, s12, s10
	s_add_co_i32 s11, s2, 1
	s_cmp_ge_u32 s10, s19
	s_cselect_b32 s2, s11, s2
	s_wait_kmcnt 0x0
	s_lshl_b64 s[8:9], s[8:9], 3
	s_ashr_i32 s17, s16, 31
	s_add_nc_u64 s[8:9], s[6:7], s[8:9]
	s_load_b64 s[6:7], s[8:9], s2 offset:0x0 scale_offset
	s_clause 0x1
	s_load_b64 s[10:11], s[0:1], 0x38
	s_load_b64 s[12:13], s[0:1], 0x60
	s_lshl_b64 s[14:15], s[16:17], 2
	s_wait_xcnt 0x0
	s_mul_i32 s2, s2, s19
	s_add_nc_u64 s[14:15], s[4:5], s[14:15]
	s_sub_co_i32 s2, s16, s2
	s_delay_alu instid0(SALU_CYCLE_1) | instskip(SKIP_1) | instid1(VALU_DEP_1)
	v_or_b32_e32 v1, s2, v0
	s_sub_nc_u64 s[16:17], s[16:17], s[2:3]
	v_cmp_eq_u32_e32 vcc_lo, 0, v1
	v_mov_b32_e32 v1, 0
	s_wait_kmcnt 0x0
	s_lshl_b64 s[8:9], s[6:7], 3
	s_delay_alu instid0(SALU_CYCLE_1)
	s_add_nc_u64 s[24:25], s[10:11], s[8:9]
	s_load_b128 s[8:11], s[24:25], 0x0
	s_load_b32 s21, s[14:15], 0x0
	s_and_saveexec_b32 s19, vcc_lo
	s_cbranch_execz .LBB151_9
; %bb.6:
	s_wait_xcnt 0x0
	s_lshl_b64 s[24:25], s[6:7], 2
	s_add_f32 s22, s22, -1.0
	s_add_nc_u64 s[24:25], s[12:13], s[24:25]
	s_mov_b32 s23, exec_lo
	s_load_b32 s24, s[24:25], 0x0
	v_mbcnt_lo_u32_b32 v2, s23, 0
	global_wb scope:SCOPE_DEV
	s_wait_storecnt 0x0
	global_inv scope:SCOPE_DEV
	s_wait_kmcnt 0x0
	s_mul_f32 s22, s22, s24
	s_mov_b32 s24, exec_lo
	v_cmpx_eq_u32_e32 0, v2
	s_cbranch_execz .LBB151_8
; %bb.7:
	s_bcnt1_i32_b32 s23, s23
	s_lshl_b64 s[26:27], s[16:17], 2
	s_and_b32 s23, s23, 1
	s_delay_alu instid0(SALU_CYCLE_1)
	v_dual_mov_b32 v2, 0 :: v_dual_mov_b32 v3, s23
	s_add_nc_u64 s[26:27], s[4:5], s[26:27]
	global_atomic_xor_b32 v2, v3, s[26:27] scope:SCOPE_DEV
.LBB151_8:
	s_wait_xcnt 0x0
	s_or_b32 exec_lo, exec_lo, s24
	v_mov_b32_e32 v10, s22
.LBB151_9:
	s_or_b32 exec_lo, exec_lo, s19
	s_mov_b32 s19, 0
	s_mul_u64 s[22:23], s[2:3], 0x300
	s_wait_kmcnt 0x0
	s_sub_nc_u64 s[8:9], s[8:9], s[18:19]
	s_sub_nc_u64 s[10:11], s[10:11], s[18:19]
	s_add_nc_u64 s[8:9], s[8:9], s[22:23]
	s_mov_b32 s3, exec_lo
	s_add_nc_u64 s[22:23], s[8:9], 0x300
	v_add_nc_u64_e32 v[4:5], s[8:9], v[0:1]
	v_min_i64 v[2:3], s[22:23], s[10:11]
	s_delay_alu instid0(VALU_DEP_1)
	v_cmpx_lt_i64_e64 v[4:5], v[2:3]
	s_cbranch_execz .LBB151_13
; %bb.10:
	s_clause 0x1
	s_load_b128 s[24:27], s[0:1], 0x40
	s_load_b64 s[8:9], s[0:1], 0x50
	s_wait_xcnt 0x0
	s_mov_b32 s0, s19
	s_wait_kmcnt 0x0
	v_lshl_add_u64 v[6:7], v[4:5], 1, s[26:27]
	v_lshl_add_u64 v[8:9], v[4:5], 3, s[24:25]
.LBB151_11:                             ; =>This Inner Loop Header: Depth=1
	global_load_b64 v[12:13], v[8:9], off
	global_load_u16 v1, v[6:7], off
	v_add_nc_u64_e32 v[4:5], 0x100, v[4:5]
	s_wait_xcnt 0x0
	v_add_nc_u64_e32 v[6:7], 0x200, v[6:7]
	v_add_nc_u64_e32 v[8:9], 0x800, v[8:9]
	s_delay_alu instid0(VALU_DEP_3)
	v_cmp_ge_i64_e32 vcc_lo, v[4:5], v[2:3]
	s_or_b32 s0, vcc_lo, s0
	s_wait_loadcnt 0x1
	v_sub_nc_u64_e64 v[12:13], v[12:13], s[18:19]
	s_wait_loadcnt 0x0
	v_lshlrev_b32_e32 v1, 16, v1
	s_delay_alu instid0(VALU_DEP_1) | instskip(NEXT) | instid1(VALU_DEP_3)
	v_mul_f32_e32 v1, s20, v1
	v_lshl_add_u64 v[12:13], v[12:13], 1, s[8:9]
	global_load_u16 v11, v[12:13], off
	s_wait_loadcnt 0x0
	v_fma_mix_f32_bf16 v10, v1, v11, v10 op_sel_hi:[0,1,0]
	s_wait_xcnt 0x0
	s_and_not1_b32 exec_lo, exec_lo, s0
	s_cbranch_execnz .LBB151_11
; %bb.12:
	s_or_b32 exec_lo, exec_lo, s0
.LBB151_13:
	s_delay_alu instid0(SALU_CYCLE_1)
	s_or_b32 exec_lo, exec_lo, s3
	v_lshlrev_b32_e32 v1, 2, v0
	s_mov_b32 s0, exec_lo
	ds_store_b32 v1, v10
	s_wait_storecnt 0x0
	s_wait_loadcnt_dscnt 0x0
	s_barrier_signal -1
	s_barrier_wait -1
	v_cmpx_gt_u32_e32 0x80, v0
	s_cbranch_execz .LBB151_15
; %bb.14:
	ds_load_2addr_stride64_b32 v[2:3], v1 offset1:2
	s_wait_dscnt 0x0
	v_add_f32_e32 v2, v2, v3
	ds_store_b32 v1, v2
.LBB151_15:
	s_or_b32 exec_lo, exec_lo, s0
	s_delay_alu instid0(SALU_CYCLE_1)
	s_mov_b32 s0, exec_lo
	s_wait_dscnt 0x0
	s_barrier_signal -1
	s_barrier_wait -1
	v_cmpx_gt_u32_e32 64, v0
	s_cbranch_execz .LBB151_17
; %bb.16:
	ds_load_2addr_stride64_b32 v[2:3], v1 offset1:1
	s_wait_dscnt 0x0
	v_add_f32_e32 v2, v2, v3
	ds_store_b32 v1, v2
.LBB151_17:
	s_or_b32 exec_lo, exec_lo, s0
	s_delay_alu instid0(SALU_CYCLE_1)
	s_mov_b32 s0, exec_lo
	s_wait_dscnt 0x0
	s_barrier_signal -1
	s_barrier_wait -1
	v_cmpx_gt_u32_e32 32, v0
	s_cbranch_execz .LBB151_19
; %bb.18:
	ds_load_2addr_b32 v[2:3], v1 offset1:32
	s_wait_dscnt 0x0
	v_add_f32_e32 v2, v2, v3
	ds_store_b32 v1, v2
.LBB151_19:
	s_or_b32 exec_lo, exec_lo, s0
	s_delay_alu instid0(SALU_CYCLE_1)
	s_mov_b32 s0, exec_lo
	s_wait_dscnt 0x0
	s_barrier_signal -1
	s_barrier_wait -1
	v_cmpx_gt_u32_e32 16, v0
	s_cbranch_execz .LBB151_21
; %bb.20:
	ds_load_2addr_b32 v[2:3], v1 offset1:16
	s_wait_dscnt 0x0
	v_add_f32_e32 v2, v2, v3
	ds_store_b32 v1, v2
.LBB151_21:
	;; [unrolled: 14-line block ×5, first 2 shown]
	s_or_b32 exec_lo, exec_lo, s0
	v_cmp_eq_u32_e32 vcc_lo, 0, v0
	s_wait_dscnt 0x0
	s_barrier_signal -1
	s_barrier_wait -1
	s_and_saveexec_b32 s0, vcc_lo
	s_cbranch_execz .LBB151_29
; %bb.28:
	v_mov_b32_e32 v2, 0
	ds_load_b64 v[0:1], v2
	s_wait_dscnt 0x0
	v_add_f32_e32 v0, v0, v1
	ds_store_b32 v2, v0
.LBB151_29:
	s_or_b32 exec_lo, exec_lo, s0
	s_wait_dscnt 0x0
	s_barrier_signal -1
	s_barrier_wait -1
	s_and_saveexec_b32 s0, vcc_lo
	s_cbranch_execz .LBB151_38
; %bb.30:
	s_cmp_eq_u32 s2, 0
	s_cbranch_scc1 .LBB151_36
; %bb.31:
	v_mov_b32_e32 v0, 0
	s_lshl_b64 s[0:1], s[16:17], 2
	s_delay_alu instid0(SALU_CYCLE_1)
	s_add_nc_u64 s[0:1], s[4:5], s[0:1]
	s_branch .LBB151_33
.LBB151_32:                             ;   in Loop: Header=BB151_33 Depth=1
	s_wait_xcnt 0x0
	s_or_b32 exec_lo, exec_lo, s2
	s_wait_loadcnt 0x0
	v_readfirstlane_b32 s2, v1
	s_cmp_eq_u32 s2, s21
	s_cbranch_scc0 .LBB151_35
.LBB151_33:                             ; =>This Inner Loop Header: Depth=1
	v_mbcnt_lo_u32_b32 v1, exec_lo, 0
	s_delay_alu instid0(VALU_DEP_1)
	v_cmp_eq_u32_e32 vcc_lo, 0, v1
                                        ; implicit-def: $vgpr1
	s_and_saveexec_b32 s2, vcc_lo
	s_cbranch_execz .LBB151_32
; %bb.34:                               ;   in Loop: Header=BB151_33 Depth=1
	global_load_b32 v1, v0, s[0:1] scope:SCOPE_DEV
	s_branch .LBB151_32
.LBB151_35:
	v_mov_b32_e32 v0, 0
	global_load_u16 v1, v0, s[14:15]
	s_wait_loadcnt 0x0
	v_xor_b32_e32 v1, 1, v1
	global_store_b16 v0, v1, s[14:15]
.LBB151_36:
	s_mov_b32 s0, exec_lo
	s_wait_xcnt 0x0
	v_mbcnt_lo_u32_b32 v0, s0, 0
	s_delay_alu instid0(VALU_DEP_1) | instskip(SKIP_1) | instid1(SALU_CYCLE_1)
	v_cmp_eq_u32_e32 vcc_lo, 0, v0
	s_and_b32 s1, exec_lo, vcc_lo
	s_mov_b32 exec_lo, s1
	s_cbranch_execz .LBB151_38
; %bb.37:
	s_bcnt1_i32_b32 s0, s0
	s_delay_alu instid0(SALU_CYCLE_1) | instskip(SKIP_2) | instid1(SALU_CYCLE_1)
	v_cvt_f32_ubyte0_e32 v2, s0
	v_mov_b32_e32 v0, 0
	s_lshl_b64 s[0:1], s[6:7], 2
	s_add_nc_u64 s[0:1], s[12:13], s[0:1]
	ds_load_b32 v1, v0
	s_wait_dscnt 0x0
	v_mul_f32_e32 v1, v1, v2
	global_atomic_add_f32 v0, v1, s[0:1] scope:SCOPE_DEV
.LBB151_38:
	s_endpgm
	.section	.rodata,"a",@progbits
	.p2align	6, 0x0
	.amdhsa_kernel _ZN9rocsparseL27csrmvn_lrb_long_rows_kernelIll18rocsparse_bfloat16S1_ffEEvbT_PjPT0_S5_jNS_24const_host_device_scalarIT4_EEPKS2_PKS4_PKT1_PKT2_S8_PT3_21rocsparse_index_base_b
		.amdhsa_group_segment_fixed_size 1024
		.amdhsa_private_segment_fixed_size 0
		.amdhsa_kernarg_size 112
		.amdhsa_user_sgpr_count 2
		.amdhsa_user_sgpr_dispatch_ptr 0
		.amdhsa_user_sgpr_queue_ptr 0
		.amdhsa_user_sgpr_kernarg_segment_ptr 1
		.amdhsa_user_sgpr_dispatch_id 0
		.amdhsa_user_sgpr_kernarg_preload_length 0
		.amdhsa_user_sgpr_kernarg_preload_offset 0
		.amdhsa_user_sgpr_private_segment_size 0
		.amdhsa_wavefront_size32 1
		.amdhsa_uses_dynamic_stack 0
		.amdhsa_enable_private_segment 0
		.amdhsa_system_sgpr_workgroup_id_x 1
		.amdhsa_system_sgpr_workgroup_id_y 0
		.amdhsa_system_sgpr_workgroup_id_z 0
		.amdhsa_system_sgpr_workgroup_info 0
		.amdhsa_system_vgpr_workitem_id 0
		.amdhsa_next_free_vgpr 14
		.amdhsa_next_free_sgpr 28
		.amdhsa_named_barrier_count 0
		.amdhsa_reserve_vcc 1
		.amdhsa_float_round_mode_32 0
		.amdhsa_float_round_mode_16_64 0
		.amdhsa_float_denorm_mode_32 3
		.amdhsa_float_denorm_mode_16_64 3
		.amdhsa_fp16_overflow 0
		.amdhsa_memory_ordered 1
		.amdhsa_forward_progress 1
		.amdhsa_inst_pref_size 13
		.amdhsa_round_robin_scheduling 0
		.amdhsa_exception_fp_ieee_invalid_op 0
		.amdhsa_exception_fp_denorm_src 0
		.amdhsa_exception_fp_ieee_div_zero 0
		.amdhsa_exception_fp_ieee_overflow 0
		.amdhsa_exception_fp_ieee_underflow 0
		.amdhsa_exception_fp_ieee_inexact 0
		.amdhsa_exception_int_div_zero 0
	.end_amdhsa_kernel
	.section	.text._ZN9rocsparseL27csrmvn_lrb_long_rows_kernelIll18rocsparse_bfloat16S1_ffEEvbT_PjPT0_S5_jNS_24const_host_device_scalarIT4_EEPKS2_PKS4_PKT1_PKT2_S8_PT3_21rocsparse_index_base_b,"axG",@progbits,_ZN9rocsparseL27csrmvn_lrb_long_rows_kernelIll18rocsparse_bfloat16S1_ffEEvbT_PjPT0_S5_jNS_24const_host_device_scalarIT4_EEPKS2_PKS4_PKT1_PKT2_S8_PT3_21rocsparse_index_base_b,comdat
.Lfunc_end151:
	.size	_ZN9rocsparseL27csrmvn_lrb_long_rows_kernelIll18rocsparse_bfloat16S1_ffEEvbT_PjPT0_S5_jNS_24const_host_device_scalarIT4_EEPKS2_PKS4_PKT1_PKT2_S8_PT3_21rocsparse_index_base_b, .Lfunc_end151-_ZN9rocsparseL27csrmvn_lrb_long_rows_kernelIll18rocsparse_bfloat16S1_ffEEvbT_PjPT0_S5_jNS_24const_host_device_scalarIT4_EEPKS2_PKS4_PKT1_PKT2_S8_PT3_21rocsparse_index_base_b
                                        ; -- End function
	.set _ZN9rocsparseL27csrmvn_lrb_long_rows_kernelIll18rocsparse_bfloat16S1_ffEEvbT_PjPT0_S5_jNS_24const_host_device_scalarIT4_EEPKS2_PKS4_PKT1_PKT2_S8_PT3_21rocsparse_index_base_b.num_vgpr, 14
	.set _ZN9rocsparseL27csrmvn_lrb_long_rows_kernelIll18rocsparse_bfloat16S1_ffEEvbT_PjPT0_S5_jNS_24const_host_device_scalarIT4_EEPKS2_PKS4_PKT1_PKT2_S8_PT3_21rocsparse_index_base_b.num_agpr, 0
	.set _ZN9rocsparseL27csrmvn_lrb_long_rows_kernelIll18rocsparse_bfloat16S1_ffEEvbT_PjPT0_S5_jNS_24const_host_device_scalarIT4_EEPKS2_PKS4_PKT1_PKT2_S8_PT3_21rocsparse_index_base_b.numbered_sgpr, 28
	.set _ZN9rocsparseL27csrmvn_lrb_long_rows_kernelIll18rocsparse_bfloat16S1_ffEEvbT_PjPT0_S5_jNS_24const_host_device_scalarIT4_EEPKS2_PKS4_PKT1_PKT2_S8_PT3_21rocsparse_index_base_b.num_named_barrier, 0
	.set _ZN9rocsparseL27csrmvn_lrb_long_rows_kernelIll18rocsparse_bfloat16S1_ffEEvbT_PjPT0_S5_jNS_24const_host_device_scalarIT4_EEPKS2_PKS4_PKT1_PKT2_S8_PT3_21rocsparse_index_base_b.private_seg_size, 0
	.set _ZN9rocsparseL27csrmvn_lrb_long_rows_kernelIll18rocsparse_bfloat16S1_ffEEvbT_PjPT0_S5_jNS_24const_host_device_scalarIT4_EEPKS2_PKS4_PKT1_PKT2_S8_PT3_21rocsparse_index_base_b.uses_vcc, 1
	.set _ZN9rocsparseL27csrmvn_lrb_long_rows_kernelIll18rocsparse_bfloat16S1_ffEEvbT_PjPT0_S5_jNS_24const_host_device_scalarIT4_EEPKS2_PKS4_PKT1_PKT2_S8_PT3_21rocsparse_index_base_b.uses_flat_scratch, 0
	.set _ZN9rocsparseL27csrmvn_lrb_long_rows_kernelIll18rocsparse_bfloat16S1_ffEEvbT_PjPT0_S5_jNS_24const_host_device_scalarIT4_EEPKS2_PKS4_PKT1_PKT2_S8_PT3_21rocsparse_index_base_b.has_dyn_sized_stack, 0
	.set _ZN9rocsparseL27csrmvn_lrb_long_rows_kernelIll18rocsparse_bfloat16S1_ffEEvbT_PjPT0_S5_jNS_24const_host_device_scalarIT4_EEPKS2_PKS4_PKT1_PKT2_S8_PT3_21rocsparse_index_base_b.has_recursion, 0
	.set _ZN9rocsparseL27csrmvn_lrb_long_rows_kernelIll18rocsparse_bfloat16S1_ffEEvbT_PjPT0_S5_jNS_24const_host_device_scalarIT4_EEPKS2_PKS4_PKT1_PKT2_S8_PT3_21rocsparse_index_base_b.has_indirect_call, 0
	.section	.AMDGPU.csdata,"",@progbits
; Kernel info:
; codeLenInByte = 1564
; TotalNumSgprs: 30
; NumVgprs: 14
; ScratchSize: 0
; MemoryBound: 0
; FloatMode: 240
; IeeeMode: 1
; LDSByteSize: 1024 bytes/workgroup (compile time only)
; SGPRBlocks: 0
; VGPRBlocks: 0
; NumSGPRsForWavesPerEU: 30
; NumVGPRsForWavesPerEU: 14
; NamedBarCnt: 0
; Occupancy: 16
; WaveLimiterHint : 1
; COMPUTE_PGM_RSRC2:SCRATCH_EN: 0
; COMPUTE_PGM_RSRC2:USER_SGPR: 2
; COMPUTE_PGM_RSRC2:TRAP_HANDLER: 0
; COMPUTE_PGM_RSRC2:TGID_X_EN: 1
; COMPUTE_PGM_RSRC2:TGID_Y_EN: 0
; COMPUTE_PGM_RSRC2:TGID_Z_EN: 0
; COMPUTE_PGM_RSRC2:TIDIG_COMP_CNT: 0
	.section	.text._ZN9rocsparseL28csrmvn_lrb_short_rows_kernelIiif21rocsparse_complex_numIfES2_S2_EEvbT_PT0_S5_jNS_24const_host_device_scalarIT4_EEPKS3_PKS4_PKT1_PKT2_S8_PT3_21rocsparse_index_base_b,"axG",@progbits,_ZN9rocsparseL28csrmvn_lrb_short_rows_kernelIiif21rocsparse_complex_numIfES2_S2_EEvbT_PT0_S5_jNS_24const_host_device_scalarIT4_EEPKS3_PKS4_PKT1_PKT2_S8_PT3_21rocsparse_index_base_b,comdat
	.globl	_ZN9rocsparseL28csrmvn_lrb_short_rows_kernelIiif21rocsparse_complex_numIfES2_S2_EEvbT_PT0_S5_jNS_24const_host_device_scalarIT4_EEPKS3_PKS4_PKT1_PKT2_S8_PT3_21rocsparse_index_base_b ; -- Begin function _ZN9rocsparseL28csrmvn_lrb_short_rows_kernelIiif21rocsparse_complex_numIfES2_S2_EEvbT_PT0_S5_jNS_24const_host_device_scalarIT4_EEPKS3_PKS4_PKT1_PKT2_S8_PT3_21rocsparse_index_base_b
	.p2align	8
	.type	_ZN9rocsparseL28csrmvn_lrb_short_rows_kernelIiif21rocsparse_complex_numIfES2_S2_EEvbT_PT0_S5_jNS_24const_host_device_scalarIT4_EEPKS3_PKS4_PKT1_PKT2_S8_PT3_21rocsparse_index_base_b,@function
_ZN9rocsparseL28csrmvn_lrb_short_rows_kernelIiif21rocsparse_complex_numIfES2_S2_EEvbT_PT0_S5_jNS_24const_host_device_scalarIT4_EEPKS3_PKS4_PKT1_PKT2_S8_PT3_21rocsparse_index_base_b: ; @_ZN9rocsparseL28csrmvn_lrb_short_rows_kernelIiif21rocsparse_complex_numIfES2_S2_EEvbT_PT0_S5_jNS_24const_host_device_scalarIT4_EEPKS3_PKS4_PKT1_PKT2_S8_PT3_21rocsparse_index_base_b
; %bb.0:
	s_clause 0x2
	s_load_b64 s[16:17], s[0:1], 0x58
	s_load_b64 s[2:3], s[0:1], 0x20
	;; [unrolled: 1-line block ×3, first 2 shown]
	v_mov_b32_e32 v1, 0
	s_add_nc_u64 s[6:7], s[0:1], 32
	s_add_nc_u64 s[8:9], s[0:1], 0x48
	s_wait_kmcnt 0x0
	s_bitcmp1_b32 s17, 0
	s_cselect_b32 s3, s7, s3
	s_cselect_b32 s2, s6, s2
	s_cselect_b32 s5, s9, s5
	s_cselect_b32 s4, s8, s4
	s_clause 0x1
	flat_load_b64 v[4:5], v1, s[2:3]
	flat_load_b64 v[2:3], v1, s[4:5]
	s_wait_loadcnt_dscnt 0x101
	s_wait_xcnt 0x1
	v_cmp_neq_f32_e64 s2, 0, v4
	v_cmp_neq_f32_e64 s3, 0, v5
	s_wait_loadcnt_dscnt 0x0
	v_cmp_neq_f32_e64 s4, 1.0, v2
	v_cmp_neq_f32_e32 vcc_lo, 0, v3
	s_or_b32 s2, s2, s3
	s_or_b32 s3, s4, vcc_lo
	s_delay_alu instid0(SALU_CYCLE_1) | instskip(NEXT) | instid1(SALU_CYCLE_1)
	s_or_b32 s2, s2, s3
	s_and_saveexec_b32 s3, s2
	s_cbranch_execz .LBB152_15
; %bb.1:
	s_clause 0x1
	s_load_b32 s17, s[0:1], 0x18
	s_load_b128 s[12:15], s[0:1], 0x8
	s_and_b32 s5, ttmp6, 15
	s_getreg_b32 s6, hwreg(HW_REG_IB_STS2, 6, 4)
	s_wait_kmcnt 0x0
	s_add_co_i32 s2, s17, 1
	s_clause 0x1
	s_load_b32 s3, s[14:15], s17 offset:0x0 scale_offset
	s_load_b32 s4, s[14:15], s2 offset:0x0 scale_offset
	s_wait_xcnt 0x0
	s_bfe_u32 s2, ttmp6, 0x4000c
	s_delay_alu instid0(SALU_CYCLE_1) | instskip(NEXT) | instid1(SALU_CYCLE_1)
	s_add_co_i32 s2, s2, 1
	s_mul_i32 s2, ttmp9, s2
	s_delay_alu instid0(SALU_CYCLE_1) | instskip(SKIP_4) | instid1(SALU_CYCLE_1)
	s_add_co_i32 s5, s5, s2
	s_wait_kmcnt 0x0
	s_sub_co_i32 s4, s4, s3
	s_cmp_eq_u32 s6, 0
	s_cselect_b32 s2, ttmp9, s5
	s_lshl_b32 s14, s2, 8
	s_delay_alu instid0(SALU_CYCLE_1) | instskip(NEXT) | instid1(SALU_CYCLE_1)
	s_add_co_i32 s2, s14, 0x100
	s_min_u32 s15, s4, s2
	s_cmp_gt_u32 s17, 23
	s_cbranch_scc1 .LBB152_9
; %bb.2:
	s_load_b256 s[4:11], s[0:1], 0x28
	v_mov_b64_e32 v[6:7], 0x8000000000000000
	v_bfe_u32 v1, v0, 0, s17
	v_lshl_add_u32 v11, v0, 3, 0
	v_mov_b32_e32 v12, 0
	s_lshl_b32 s18, 0x100, s17
	s_mov_b32 s19, 0
	v_subrev_nc_u32_e32 v10, s16, v1
	v_pk_mul_f32 v[8:9], v[4:5], v[6:7]
	s_delay_alu instid0(VALU_DEP_1)
	v_dual_mov_b32 v6, v9 :: v_dual_mov_b32 v7, v8
	s_branch .LBB152_4
.LBB152_3:                              ;   in Loop: Header=BB152_4 Depth=1
	s_or_b32 exec_lo, exec_lo, s20
	v_add_nc_u32_e32 v11, 0x800, v11
	s_addk_co_i32 s19, 0x100
	s_delay_alu instid0(SALU_CYCLE_1)
	s_cmp_ge_u32 s19, s18
	s_cbranch_scc1 .LBB152_9
.LBB152_4:                              ; =>This Inner Loop Header: Depth=1
	v_add_nc_u32_e32 v8, s19, v0
	s_mov_b32 s20, exec_lo
	s_delay_alu instid0(VALU_DEP_1) | instskip(NEXT) | instid1(VALU_DEP_1)
	v_lshrrev_b32_e32 v8, s17, v8
	v_add_nc_u32_e32 v8, s14, v8
	s_delay_alu instid0(VALU_DEP_1)
	v_cmpx_gt_u32_e64 s15, v8
	s_cbranch_execz .LBB152_3
; %bb.5:                                ;   in Loop: Header=BB152_4 Depth=1
	v_add_nc_u32_e32 v8, s3, v8
	global_load_b32 v8, v8, s[12:13] scale_offset
	s_wait_loadcnt 0x0
	v_ashrrev_i32_e32 v9, 31, v8
	s_wait_kmcnt 0x0
	s_wait_xcnt 0x0
	s_delay_alu instid0(VALU_DEP_1) | instskip(SKIP_4) | instid1(VALU_DEP_1)
	v_lshl_add_u64 v[8:9], v[8:9], 2, s[4:5]
	global_load_b64 v[8:9], v[8:9], off
	s_wait_loadcnt 0x0
	s_wait_xcnt 0x0
	v_sub_nc_u32_e32 v9, v9, v8
	v_cmp_ge_u32_e64 s2, v1, v9
	s_and_saveexec_b32 s21, s2
	s_delay_alu instid0(SALU_CYCLE_1)
	s_xor_b32 s2, exec_lo, s21
; %bb.6:                                ;   in Loop: Header=BB152_4 Depth=1
	ds_store_2addr_b32 v11, v12, v12 offset1:1
                                        ; implicit-def: $vgpr8_vgpr9
; %bb.7:                                ;   in Loop: Header=BB152_4 Depth=1
	s_and_not1_saveexec_b32 s2, s2
	s_cbranch_execz .LBB152_3
; %bb.8:                                ;   in Loop: Header=BB152_4 Depth=1
	v_add_nc_u32_e32 v9, v10, v8
	s_clause 0x1
	global_load_b32 v13, v9, s[6:7] scale_offset
	global_load_b32 v8, v9, s[8:9] scale_offset
	s_wait_loadcnt 0x1
	s_wait_xcnt 0x0
	v_subrev_nc_u32_e32 v9, s16, v13
	global_load_b64 v[14:15], v9, s[10:11] scale_offset
	s_wait_loadcnt 0x1
	s_wait_xcnt 0x0
	v_pk_fma_f32 v[8:9], v[4:5], v[8:9], v[6:7] op_sel_hi:[1,0,1]
	s_wait_loadcnt 0x0
	s_delay_alu instid0(VALU_DEP_1) | instskip(NEXT) | instid1(VALU_DEP_1)
	v_pk_mul_f32 v[16:17], v[14:15], v[8:9] op_sel:[1,1] op_sel_hi:[1,0] neg_lo:[0,1]
	v_pk_fma_f32 v[8:9], v[8:9], v[14:15], v[16:17] op_sel_hi:[1,0,1]
	ds_store_2addr_b32 v11, v8, v9 offset1:1
	s_branch .LBB152_3
.LBB152_9:
	s_sub_co_i32 s2, s15, s14
	s_wait_dscnt 0x0
	v_cmp_gt_u32_e64 s2, s2, v0
	s_barrier_signal -1
	s_barrier_wait -1
	s_and_b32 exec_lo, exec_lo, s2
	s_cbranch_execz .LBB152_15
; %bb.10:
	v_add3_u32 v1, s3, s14, v0
	s_load_b64 s[2:3], s[0:1], 0x50
	s_wait_xcnt 0x0
	s_mov_b32 s0, 1
	global_load_b32 v4, v1, s[12:13] scale_offset
	s_wait_xcnt 0x0
	v_dual_mov_b32 v0, 0 :: v_dual_lshlrev_b32 v1, s17, v0
	s_delay_alu instid0(VALU_DEP_1) | instskip(NEXT) | instid1(VALU_DEP_2)
	v_lshl_add_u32 v5, v1, 3, 0
	v_mov_b32_e32 v1, v0
.LBB152_11:                             ; =>This Inner Loop Header: Depth=1
	ds_load_2addr_b32 v[6:7], v5 offset1:1
	v_add_nc_u32_e32 v5, 8, v5
	s_lshr_b32 s1, s0, s17
	s_add_co_i32 s0, s0, 1
	s_cmp_lg_u32 s1, 0
	s_wait_dscnt 0x0
	v_pk_add_f32 v[0:1], v[0:1], v[6:7]
	s_cbranch_scc0 .LBB152_11
; %bb.12:
	s_wait_loadcnt 0x0
	v_ashrrev_i32_e32 v5, 31, v4
	v_cmp_neq_f32_e64 s0, 0, v2
	s_wait_kmcnt 0x0
	s_delay_alu instid0(VALU_DEP_2) | instskip(SKIP_1) | instid1(SALU_CYCLE_1)
	v_lshl_add_u64 v[4:5], v[4:5], 3, s[2:3]
	s_or_b32 s1, s0, vcc_lo
	s_and_saveexec_b32 s0, s1
	s_cbranch_execz .LBB152_14
; %bb.13:
	global_load_b64 v[6:7], v[4:5], off
	v_xor_b32_e32 v8, 0x80000000, v3
	v_mov_b32_e32 v9, v2
	s_wait_loadcnt 0x0
	v_pk_fma_f32 v[0:1], v[2:3], v[6:7], v[0:1] op_sel_hi:[1,0,1]
	s_delay_alu instid0(VALU_DEP_1)
	v_pk_fma_f32 v[0:1], v[8:9], v[6:7], v[0:1] op_sel:[0,1,0]
.LBB152_14:
	s_or_b32 exec_lo, exec_lo, s0
	global_store_b64 v[4:5], v[0:1], off
.LBB152_15:
	s_endpgm
	.section	.rodata,"a",@progbits
	.p2align	6, 0x0
	.amdhsa_kernel _ZN9rocsparseL28csrmvn_lrb_short_rows_kernelIiif21rocsparse_complex_numIfES2_S2_EEvbT_PT0_S5_jNS_24const_host_device_scalarIT4_EEPKS3_PKS4_PKT1_PKT2_S8_PT3_21rocsparse_index_base_b
		.amdhsa_group_segment_fixed_size 0
		.amdhsa_private_segment_fixed_size 0
		.amdhsa_kernarg_size 96
		.amdhsa_user_sgpr_count 2
		.amdhsa_user_sgpr_dispatch_ptr 0
		.amdhsa_user_sgpr_queue_ptr 0
		.amdhsa_user_sgpr_kernarg_segment_ptr 1
		.amdhsa_user_sgpr_dispatch_id 0
		.amdhsa_user_sgpr_kernarg_preload_length 0
		.amdhsa_user_sgpr_kernarg_preload_offset 0
		.amdhsa_user_sgpr_private_segment_size 0
		.amdhsa_wavefront_size32 1
		.amdhsa_uses_dynamic_stack 0
		.amdhsa_enable_private_segment 0
		.amdhsa_system_sgpr_workgroup_id_x 1
		.amdhsa_system_sgpr_workgroup_id_y 0
		.amdhsa_system_sgpr_workgroup_id_z 0
		.amdhsa_system_sgpr_workgroup_info 0
		.amdhsa_system_vgpr_workitem_id 0
		.amdhsa_next_free_vgpr 18
		.amdhsa_next_free_sgpr 22
		.amdhsa_named_barrier_count 0
		.amdhsa_reserve_vcc 1
		.amdhsa_float_round_mode_32 0
		.amdhsa_float_round_mode_16_64 0
		.amdhsa_float_denorm_mode_32 3
		.amdhsa_float_denorm_mode_16_64 3
		.amdhsa_fp16_overflow 0
		.amdhsa_memory_ordered 1
		.amdhsa_forward_progress 1
		.amdhsa_inst_pref_size 7
		.amdhsa_round_robin_scheduling 0
		.amdhsa_exception_fp_ieee_invalid_op 0
		.amdhsa_exception_fp_denorm_src 0
		.amdhsa_exception_fp_ieee_div_zero 0
		.amdhsa_exception_fp_ieee_overflow 0
		.amdhsa_exception_fp_ieee_underflow 0
		.amdhsa_exception_fp_ieee_inexact 0
		.amdhsa_exception_int_div_zero 0
	.end_amdhsa_kernel
	.section	.text._ZN9rocsparseL28csrmvn_lrb_short_rows_kernelIiif21rocsparse_complex_numIfES2_S2_EEvbT_PT0_S5_jNS_24const_host_device_scalarIT4_EEPKS3_PKS4_PKT1_PKT2_S8_PT3_21rocsparse_index_base_b,"axG",@progbits,_ZN9rocsparseL28csrmvn_lrb_short_rows_kernelIiif21rocsparse_complex_numIfES2_S2_EEvbT_PT0_S5_jNS_24const_host_device_scalarIT4_EEPKS3_PKS4_PKT1_PKT2_S8_PT3_21rocsparse_index_base_b,comdat
.Lfunc_end152:
	.size	_ZN9rocsparseL28csrmvn_lrb_short_rows_kernelIiif21rocsparse_complex_numIfES2_S2_EEvbT_PT0_S5_jNS_24const_host_device_scalarIT4_EEPKS3_PKS4_PKT1_PKT2_S8_PT3_21rocsparse_index_base_b, .Lfunc_end152-_ZN9rocsparseL28csrmvn_lrb_short_rows_kernelIiif21rocsparse_complex_numIfES2_S2_EEvbT_PT0_S5_jNS_24const_host_device_scalarIT4_EEPKS3_PKS4_PKT1_PKT2_S8_PT3_21rocsparse_index_base_b
                                        ; -- End function
	.set _ZN9rocsparseL28csrmvn_lrb_short_rows_kernelIiif21rocsparse_complex_numIfES2_S2_EEvbT_PT0_S5_jNS_24const_host_device_scalarIT4_EEPKS3_PKS4_PKT1_PKT2_S8_PT3_21rocsparse_index_base_b.num_vgpr, 18
	.set _ZN9rocsparseL28csrmvn_lrb_short_rows_kernelIiif21rocsparse_complex_numIfES2_S2_EEvbT_PT0_S5_jNS_24const_host_device_scalarIT4_EEPKS3_PKS4_PKT1_PKT2_S8_PT3_21rocsparse_index_base_b.num_agpr, 0
	.set _ZN9rocsparseL28csrmvn_lrb_short_rows_kernelIiif21rocsparse_complex_numIfES2_S2_EEvbT_PT0_S5_jNS_24const_host_device_scalarIT4_EEPKS3_PKS4_PKT1_PKT2_S8_PT3_21rocsparse_index_base_b.numbered_sgpr, 22
	.set _ZN9rocsparseL28csrmvn_lrb_short_rows_kernelIiif21rocsparse_complex_numIfES2_S2_EEvbT_PT0_S5_jNS_24const_host_device_scalarIT4_EEPKS3_PKS4_PKT1_PKT2_S8_PT3_21rocsparse_index_base_b.num_named_barrier, 0
	.set _ZN9rocsparseL28csrmvn_lrb_short_rows_kernelIiif21rocsparse_complex_numIfES2_S2_EEvbT_PT0_S5_jNS_24const_host_device_scalarIT4_EEPKS3_PKS4_PKT1_PKT2_S8_PT3_21rocsparse_index_base_b.private_seg_size, 0
	.set _ZN9rocsparseL28csrmvn_lrb_short_rows_kernelIiif21rocsparse_complex_numIfES2_S2_EEvbT_PT0_S5_jNS_24const_host_device_scalarIT4_EEPKS3_PKS4_PKT1_PKT2_S8_PT3_21rocsparse_index_base_b.uses_vcc, 1
	.set _ZN9rocsparseL28csrmvn_lrb_short_rows_kernelIiif21rocsparse_complex_numIfES2_S2_EEvbT_PT0_S5_jNS_24const_host_device_scalarIT4_EEPKS3_PKS4_PKT1_PKT2_S8_PT3_21rocsparse_index_base_b.uses_flat_scratch, 1
	.set _ZN9rocsparseL28csrmvn_lrb_short_rows_kernelIiif21rocsparse_complex_numIfES2_S2_EEvbT_PT0_S5_jNS_24const_host_device_scalarIT4_EEPKS3_PKS4_PKT1_PKT2_S8_PT3_21rocsparse_index_base_b.has_dyn_sized_stack, 0
	.set _ZN9rocsparseL28csrmvn_lrb_short_rows_kernelIiif21rocsparse_complex_numIfES2_S2_EEvbT_PT0_S5_jNS_24const_host_device_scalarIT4_EEPKS3_PKS4_PKT1_PKT2_S8_PT3_21rocsparse_index_base_b.has_recursion, 0
	.set _ZN9rocsparseL28csrmvn_lrb_short_rows_kernelIiif21rocsparse_complex_numIfES2_S2_EEvbT_PT0_S5_jNS_24const_host_device_scalarIT4_EEPKS3_PKS4_PKT1_PKT2_S8_PT3_21rocsparse_index_base_b.has_indirect_call, 0
	.section	.AMDGPU.csdata,"",@progbits
; Kernel info:
; codeLenInByte = 896
; TotalNumSgprs: 24
; NumVgprs: 18
; ScratchSize: 0
; MemoryBound: 0
; FloatMode: 240
; IeeeMode: 1
; LDSByteSize: 0 bytes/workgroup (compile time only)
; SGPRBlocks: 0
; VGPRBlocks: 1
; NumSGPRsForWavesPerEU: 24
; NumVGPRsForWavesPerEU: 18
; NamedBarCnt: 0
; Occupancy: 16
; WaveLimiterHint : 1
; COMPUTE_PGM_RSRC2:SCRATCH_EN: 0
; COMPUTE_PGM_RSRC2:USER_SGPR: 2
; COMPUTE_PGM_RSRC2:TRAP_HANDLER: 0
; COMPUTE_PGM_RSRC2:TGID_X_EN: 1
; COMPUTE_PGM_RSRC2:TGID_Y_EN: 0
; COMPUTE_PGM_RSRC2:TGID_Z_EN: 0
; COMPUTE_PGM_RSRC2:TIDIG_COMP_CNT: 0
	.section	.text._ZN9rocsparseL30csrmvn_lrb_short_rows_2_kernelIiif21rocsparse_complex_numIfES2_S2_EEvbT_PT0_S5_jNS_24const_host_device_scalarIT4_EEPKS3_PKS4_PKT1_PKT2_S8_PT3_21rocsparse_index_base_b,"axG",@progbits,_ZN9rocsparseL30csrmvn_lrb_short_rows_2_kernelIiif21rocsparse_complex_numIfES2_S2_EEvbT_PT0_S5_jNS_24const_host_device_scalarIT4_EEPKS3_PKS4_PKT1_PKT2_S8_PT3_21rocsparse_index_base_b,comdat
	.globl	_ZN9rocsparseL30csrmvn_lrb_short_rows_2_kernelIiif21rocsparse_complex_numIfES2_S2_EEvbT_PT0_S5_jNS_24const_host_device_scalarIT4_EEPKS3_PKS4_PKT1_PKT2_S8_PT3_21rocsparse_index_base_b ; -- Begin function _ZN9rocsparseL30csrmvn_lrb_short_rows_2_kernelIiif21rocsparse_complex_numIfES2_S2_EEvbT_PT0_S5_jNS_24const_host_device_scalarIT4_EEPKS3_PKS4_PKT1_PKT2_S8_PT3_21rocsparse_index_base_b
	.p2align	8
	.type	_ZN9rocsparseL30csrmvn_lrb_short_rows_2_kernelIiif21rocsparse_complex_numIfES2_S2_EEvbT_PT0_S5_jNS_24const_host_device_scalarIT4_EEPKS3_PKS4_PKT1_PKT2_S8_PT3_21rocsparse_index_base_b,@function
_ZN9rocsparseL30csrmvn_lrb_short_rows_2_kernelIiif21rocsparse_complex_numIfES2_S2_EEvbT_PT0_S5_jNS_24const_host_device_scalarIT4_EEPKS3_PKS4_PKT1_PKT2_S8_PT3_21rocsparse_index_base_b: ; @_ZN9rocsparseL30csrmvn_lrb_short_rows_2_kernelIiif21rocsparse_complex_numIfES2_S2_EEvbT_PT0_S5_jNS_24const_host_device_scalarIT4_EEPKS3_PKS4_PKT1_PKT2_S8_PT3_21rocsparse_index_base_b
; %bb.0:
	s_clause 0x2
	s_load_b64 s[16:17], s[0:1], 0x58
	s_load_b64 s[2:3], s[0:1], 0x20
	;; [unrolled: 1-line block ×3, first 2 shown]
	v_mov_b32_e32 v1, 0
	s_add_nc_u64 s[6:7], s[0:1], 32
	s_add_nc_u64 s[8:9], s[0:1], 0x48
	s_wait_kmcnt 0x0
	s_bitcmp1_b32 s17, 0
	s_cselect_b32 s3, s7, s3
	s_cselect_b32 s2, s6, s2
	;; [unrolled: 1-line block ×4, first 2 shown]
	s_clause 0x1
	flat_load_b64 v[4:5], v1, s[2:3]
	flat_load_b64 v[2:3], v1, s[4:5]
	s_wait_loadcnt_dscnt 0x101
	s_wait_xcnt 0x1
	v_cmp_neq_f32_e64 s2, 0, v4
	v_cmp_neq_f32_e64 s3, 0, v5
	s_wait_loadcnt_dscnt 0x0
	v_cmp_neq_f32_e64 s4, 1.0, v2
	v_cmp_neq_f32_e32 vcc_lo, 0, v3
	s_or_b32 s2, s2, s3
	s_or_b32 s3, s4, vcc_lo
	s_delay_alu instid0(SALU_CYCLE_1) | instskip(NEXT) | instid1(SALU_CYCLE_1)
	s_or_b32 s2, s2, s3
	s_and_saveexec_b32 s3, s2
	s_cbranch_execz .LBB153_30
; %bb.1:
	s_clause 0x1
	s_load_b32 s17, s[0:1], 0x18
	s_load_b128 s[12:15], s[0:1], 0x8
	v_mov_b64_e32 v[6:7], 0x8000000000000000
	s_delay_alu instid0(VALU_DEP_1) | instskip(NEXT) | instid1(VALU_DEP_1)
	v_pk_mul_f32 v[12:13], v[4:5], v[6:7]
	v_dual_mov_b32 v6, v13 :: v_dual_mov_b32 v7, v12
	s_wait_kmcnt 0x0
	s_add_co_i32 s2, s17, 1
	s_clause 0x1
	s_load_b32 s18, s[14:15], s17 offset:0x0 scale_offset
	s_load_b32 s3, s[14:15], s2 offset:0x0 scale_offset
	s_load_b256 s[4:11], s[0:1], 0x28
	s_wait_xcnt 0x0
	s_bfe_u32 s2, ttmp6, 0x4000c
	s_and_b32 s14, ttmp6, 15
	s_add_co_i32 s2, s2, 1
	s_getreg_b32 s15, hwreg(HW_REG_IB_STS2, 6, 4)
	s_mul_i32 s2, ttmp9, s2
	v_lshrrev_b32_e32 v1, s17, v0
	s_add_co_i32 s2, s14, s2
	s_lshr_b32 s14, 0x400, s17
	v_bfe_u32 v10, v0, 0, s17
	s_wait_kmcnt 0x0
	s_sub_co_i32 s3, s3, s18
	s_cmp_eq_u32 s15, 0
	s_cselect_b32 s2, ttmp9, s2
	s_delay_alu instid0(SALU_CYCLE_1) | instskip(NEXT) | instid1(SALU_CYCLE_1)
	s_mul_i32 s15, s14, s2
	v_add_nc_u32_e32 v8, s15, v1
	v_subrev_nc_u32_e32 v1, s16, v10
	s_add_co_i32 s2, s15, s14
	s_delay_alu instid0(SALU_CYCLE_1)
	s_min_u32 s19, s3, s2
	s_mov_b32 s3, exec_lo
	v_cmpx_gt_u32_e64 s19, v8
	s_cbranch_execz .LBB153_6
; %bb.2:
	v_add_nc_u32_e32 v8, s18, v8
	global_load_b32 v8, v8, s[12:13] scale_offset
	s_wait_loadcnt 0x0
	v_ashrrev_i32_e32 v9, 31, v8
	s_delay_alu instid0(VALU_DEP_1) | instskip(SKIP_3) | instid1(VALU_DEP_1)
	v_lshl_add_u64 v[8:9], v[8:9], 2, s[4:5]
	global_load_b64 v[8:9], v[8:9], off
	s_wait_loadcnt 0x0
	v_sub_nc_u32_e32 v9, v9, v8
	v_cmp_ge_u32_e64 s2, v10, v9
	s_and_saveexec_b32 s20, s2
	s_delay_alu instid0(SALU_CYCLE_1)
	s_xor_b32 s2, exec_lo, s20
; %bb.3:
	v_mov_b64_e32 v[8:9], 0
	v_lshlrev_b32_e32 v11, 3, v0
	ds_store_b64 v11, v[8:9]
                                        ; implicit-def: $vgpr8_vgpr9
; %bb.4:
	s_and_not1_saveexec_b32 s2, s2
	s_cbranch_execz .LBB153_6
; %bb.5:
	v_add_nc_u32_e32 v9, v8, v1
	s_clause 0x1
	global_load_b32 v11, v9, s[6:7] scale_offset
	global_load_b32 v8, v9, s[8:9] scale_offset
	s_wait_loadcnt 0x1
	s_wait_xcnt 0x0
	v_subrev_nc_u32_e32 v9, s16, v11
	v_lshlrev_b32_e32 v11, 3, v0
	global_load_b64 v[12:13], v9, s[10:11] scale_offset
	s_wait_loadcnt 0x1
	s_wait_xcnt 0x0
	v_pk_fma_f32 v[8:9], v[4:5], v[8:9], v[6:7] op_sel_hi:[1,0,1]
	s_wait_loadcnt 0x0
	s_delay_alu instid0(VALU_DEP_1) | instskip(NEXT) | instid1(VALU_DEP_1)
	v_pk_mul_f32 v[14:15], v[12:13], v[8:9] op_sel:[1,1] op_sel_hi:[1,0] neg_lo:[0,1]
	v_pk_fma_f32 v[8:9], v[8:9], v[12:13], v[14:15] op_sel_hi:[1,0,1]
	ds_store_b64 v11, v[8:9]
.LBB153_6:
	s_or_b32 exec_lo, exec_lo, s3
	v_or_b32_e32 v8, 0x100, v0
	s_mov_b32 s3, exec_lo
	s_delay_alu instid0(VALU_DEP_1) | instskip(NEXT) | instid1(VALU_DEP_1)
	v_lshrrev_b32_e32 v8, s17, v8
	v_add_nc_u32_e32 v8, s15, v8
	s_delay_alu instid0(VALU_DEP_1)
	v_cmpx_gt_u32_e64 s19, v8
	s_cbranch_execz .LBB153_11
; %bb.7:
	v_add_nc_u32_e32 v8, s18, v8
	global_load_b32 v8, v8, s[12:13] scale_offset
	s_wait_loadcnt 0x0
	v_ashrrev_i32_e32 v9, 31, v8
	s_delay_alu instid0(VALU_DEP_1) | instskip(SKIP_3) | instid1(VALU_DEP_1)
	v_lshl_add_u64 v[8:9], v[8:9], 2, s[4:5]
	global_load_b64 v[8:9], v[8:9], off
	s_wait_loadcnt 0x0
	v_sub_nc_u32_e32 v9, v9, v8
	v_cmp_ge_u32_e64 s2, v10, v9
	s_and_saveexec_b32 s20, s2
	s_delay_alu instid0(SALU_CYCLE_1)
	s_xor_b32 s2, exec_lo, s20
; %bb.8:
	v_mov_b64_e32 v[8:9], 0
	v_lshlrev_b32_e32 v11, 3, v0
	ds_store_b64 v11, v[8:9] offset:2048
                                        ; implicit-def: $vgpr8_vgpr9
; %bb.9:
	s_and_not1_saveexec_b32 s2, s2
	s_cbranch_execz .LBB153_11
; %bb.10:
	v_add_nc_u32_e32 v9, v8, v1
	s_clause 0x1
	global_load_b32 v11, v9, s[6:7] scale_offset
	global_load_b32 v8, v9, s[8:9] scale_offset
	s_wait_loadcnt 0x1
	s_wait_xcnt 0x0
	v_subrev_nc_u32_e32 v9, s16, v11
	v_lshlrev_b32_e32 v11, 3, v0
	global_load_b64 v[12:13], v9, s[10:11] scale_offset
	s_wait_loadcnt 0x1
	s_wait_xcnt 0x0
	v_pk_fma_f32 v[8:9], v[4:5], v[8:9], v[6:7] op_sel_hi:[1,0,1]
	s_wait_loadcnt 0x0
	s_delay_alu instid0(VALU_DEP_1) | instskip(NEXT) | instid1(VALU_DEP_1)
	v_pk_mul_f32 v[14:15], v[12:13], v[8:9] op_sel:[1,1] op_sel_hi:[1,0] neg_lo:[0,1]
	v_pk_fma_f32 v[8:9], v[8:9], v[12:13], v[14:15] op_sel_hi:[1,0,1]
	ds_store_b64 v11, v[8:9] offset:2048
.LBB153_11:
	s_or_b32 exec_lo, exec_lo, s3
	v_or_b32_e32 v8, 0x200, v0
	s_mov_b32 s3, exec_lo
	s_delay_alu instid0(VALU_DEP_1) | instskip(NEXT) | instid1(VALU_DEP_1)
	v_lshrrev_b32_e32 v8, s17, v8
	v_add_nc_u32_e32 v8, s15, v8
	s_delay_alu instid0(VALU_DEP_1)
	v_cmpx_gt_u32_e64 s19, v8
	s_cbranch_execz .LBB153_16
; %bb.12:
	v_add_nc_u32_e32 v8, s18, v8
	global_load_b32 v8, v8, s[12:13] scale_offset
	s_wait_loadcnt 0x0
	v_ashrrev_i32_e32 v9, 31, v8
	s_delay_alu instid0(VALU_DEP_1) | instskip(SKIP_3) | instid1(VALU_DEP_1)
	v_lshl_add_u64 v[8:9], v[8:9], 2, s[4:5]
	global_load_b64 v[8:9], v[8:9], off
	s_wait_loadcnt 0x0
	v_sub_nc_u32_e32 v9, v9, v8
	v_cmp_ge_u32_e64 s2, v10, v9
	s_and_saveexec_b32 s20, s2
	s_delay_alu instid0(SALU_CYCLE_1)
	s_xor_b32 s2, exec_lo, s20
; %bb.13:
	v_mov_b64_e32 v[8:9], 0
	v_lshlrev_b32_e32 v11, 3, v0
	ds_store_b64 v11, v[8:9] offset:4096
                                        ; implicit-def: $vgpr8_vgpr9
; %bb.14:
	s_and_not1_saveexec_b32 s2, s2
	s_cbranch_execz .LBB153_16
; %bb.15:
	v_add_nc_u32_e32 v9, v8, v1
	s_clause 0x1
	global_load_b32 v11, v9, s[6:7] scale_offset
	global_load_b32 v8, v9, s[8:9] scale_offset
	s_wait_loadcnt 0x1
	s_wait_xcnt 0x0
	v_subrev_nc_u32_e32 v9, s16, v11
	v_lshlrev_b32_e32 v11, 3, v0
	global_load_b64 v[12:13], v9, s[10:11] scale_offset
	s_wait_loadcnt 0x1
	s_wait_xcnt 0x0
	v_pk_fma_f32 v[8:9], v[4:5], v[8:9], v[6:7] op_sel_hi:[1,0,1]
	s_wait_loadcnt 0x0
	s_delay_alu instid0(VALU_DEP_1) | instskip(NEXT) | instid1(VALU_DEP_1)
	v_pk_mul_f32 v[14:15], v[12:13], v[8:9] op_sel:[1,1] op_sel_hi:[1,0] neg_lo:[0,1]
	v_pk_fma_f32 v[8:9], v[8:9], v[12:13], v[14:15] op_sel_hi:[1,0,1]
	ds_store_b64 v11, v[8:9] offset:4096
.LBB153_16:
	s_or_b32 exec_lo, exec_lo, s3
	v_or_b32_e32 v8, 0x300, v0
	s_mov_b32 s3, exec_lo
	s_delay_alu instid0(VALU_DEP_1) | instskip(NEXT) | instid1(VALU_DEP_1)
	v_lshrrev_b32_e32 v8, s17, v8
	v_add_nc_u32_e32 v8, s15, v8
	s_delay_alu instid0(VALU_DEP_1)
	v_cmpx_gt_u32_e64 s19, v8
	s_cbranch_execz .LBB153_21
; %bb.17:
	v_add_nc_u32_e32 v8, s18, v8
	global_load_b32 v8, v8, s[12:13] scale_offset
	s_wait_loadcnt 0x0
	v_ashrrev_i32_e32 v9, 31, v8
	s_delay_alu instid0(VALU_DEP_1) | instskip(SKIP_3) | instid1(VALU_DEP_1)
	v_lshl_add_u64 v[8:9], v[8:9], 2, s[4:5]
	global_load_b64 v[8:9], v[8:9], off
	s_wait_loadcnt 0x0
	v_sub_nc_u32_e32 v9, v9, v8
	v_cmp_ge_u32_e64 s2, v10, v9
	v_lshlrev_b32_e32 v9, 3, v0
	s_and_saveexec_b32 s4, s2
	s_delay_alu instid0(SALU_CYCLE_1)
	s_xor_b32 s2, exec_lo, s4
; %bb.18:
	v_mov_b64_e32 v[4:5], 0
                                        ; implicit-def: $vgpr1
                                        ; implicit-def: $vgpr6_vgpr7
	ds_store_b64 v9, v[4:5] offset:6144
                                        ; implicit-def: $vgpr8_vgpr9
                                        ; implicit-def: $vgpr4_vgpr5
                                        ; implicit-def: $vgpr9
; %bb.19:
	s_and_not1_saveexec_b32 s2, s2
	s_cbranch_execz .LBB153_21
; %bb.20:
	v_add_nc_u32_e32 v1, v8, v1
	s_clause 0x1
	global_load_b32 v10, v1, s[6:7] scale_offset
	global_load_b32 v8, v1, s[8:9] scale_offset
	s_wait_loadcnt 0x1
	s_wait_xcnt 0x0
	v_subrev_nc_u32_e32 v1, s16, v10
	s_wait_loadcnt 0x0
	v_pk_fma_f32 v[4:5], v[4:5], v[8:9], v[6:7] op_sel_hi:[1,0,1]
	global_load_b64 v[10:11], v1, s[10:11] scale_offset
	s_wait_loadcnt 0x0
	v_pk_mul_f32 v[6:7], v[10:11], v[4:5] op_sel:[1,1] op_sel_hi:[1,0] neg_lo:[0,1]
	s_delay_alu instid0(VALU_DEP_1)
	v_pk_fma_f32 v[4:5], v[4:5], v[10:11], v[6:7] op_sel_hi:[1,0,1]
	ds_store_b64 v9, v[4:5] offset:6144
.LBB153_21:
	s_or_b32 exec_lo, exec_lo, s3
	s_cmp_lt_u32 s17, 11
	s_wait_dscnt 0x0
	s_barrier_signal -1
	s_barrier_wait -1
	s_cbranch_scc0 .LBB153_30
; %bb.22:
	s_load_b64 s[2:3], s[0:1], 0x50
	s_wait_xcnt 0x0
	v_cmp_neq_f32_e64 s0, 0, v2
	v_xor_b32_e32 v4, 0x80000000, v3
	v_mov_b32_e32 v5, v2
	s_sub_co_i32 s1, s19, s15
	s_add_co_i32 s18, s18, s15
	s_mov_b32 s4, 0
	s_or_b32 s0, s0, vcc_lo
	s_branch .LBB153_25
.LBB153_23:                             ;   in Loop: Header=BB153_25 Depth=1
	s_wait_xcnt 0x0
	s_or_b32 exec_lo, exec_lo, s6
	global_store_b64 v[8:9], v[6:7], off
.LBB153_24:                             ;   in Loop: Header=BB153_25 Depth=1
	s_wait_xcnt 0x0
	s_or_b32 exec_lo, exec_lo, s5
	s_addk_co_i32 s4, 0x100
	s_delay_alu instid0(SALU_CYCLE_1)
	s_cmp_lt_u32 s4, s14
	s_cbranch_scc0 .LBB153_30
.LBB153_25:                             ; =>This Loop Header: Depth=1
                                        ;     Child Loop BB153_27 Depth 2
	v_add_nc_u32_e32 v1, s4, v0
	s_mov_b32 s5, exec_lo
	s_delay_alu instid0(VALU_DEP_1)
	v_cmpx_gt_u32_e64 s1, v1
	s_cbranch_execz .LBB153_24
; %bb.26:                               ;   in Loop: Header=BB153_25 Depth=1
	v_dual_add_nc_u32 v6, s18, v1 :: v_dual_lshlrev_b32 v1, s17, v1
	s_mov_b32 s6, 1
	global_load_b32 v8, v6, s[12:13] scale_offset
	s_wait_xcnt 0x0
	v_dual_mov_b32 v6, 0 :: v_dual_lshlrev_b32 v1, 3, v1
	s_delay_alu instid0(VALU_DEP_1)
	v_mov_b32_e32 v7, v6
.LBB153_27:                             ;   Parent Loop BB153_25 Depth=1
                                        ; =>  This Inner Loop Header: Depth=2
	ds_load_b64 v[10:11], v1
	v_add_nc_u32_e32 v1, 8, v1
	s_lshr_b32 s7, s6, s17
	s_add_co_i32 s6, s6, 1
	s_cmp_lg_u32 s7, 0
	s_wait_dscnt 0x0
	v_pk_add_f32 v[6:7], v[6:7], v[10:11]
	s_cbranch_scc0 .LBB153_27
; %bb.28:                               ;   in Loop: Header=BB153_25 Depth=1
	s_wait_loadcnt 0x0
	v_ashrrev_i32_e32 v9, 31, v8
	s_wait_kmcnt 0x0
	s_delay_alu instid0(VALU_DEP_1)
	v_lshl_add_u64 v[8:9], v[8:9], 3, s[2:3]
	s_and_saveexec_b32 s6, s0
	s_cbranch_execz .LBB153_23
; %bb.29:                               ;   in Loop: Header=BB153_25 Depth=1
	global_load_b64 v[10:11], v[8:9], off
	s_wait_loadcnt 0x0
	v_pk_fma_f32 v[6:7], v[2:3], v[10:11], v[6:7] op_sel_hi:[1,0,1]
	s_delay_alu instid0(VALU_DEP_1)
	v_pk_fma_f32 v[6:7], v[4:5], v[10:11], v[6:7] op_sel:[0,1,0]
	s_branch .LBB153_23
.LBB153_30:
	s_endpgm
	.section	.rodata,"a",@progbits
	.p2align	6, 0x0
	.amdhsa_kernel _ZN9rocsparseL30csrmvn_lrb_short_rows_2_kernelIiif21rocsparse_complex_numIfES2_S2_EEvbT_PT0_S5_jNS_24const_host_device_scalarIT4_EEPKS3_PKS4_PKT1_PKT2_S8_PT3_21rocsparse_index_base_b
		.amdhsa_group_segment_fixed_size 8192
		.amdhsa_private_segment_fixed_size 0
		.amdhsa_kernarg_size 96
		.amdhsa_user_sgpr_count 2
		.amdhsa_user_sgpr_dispatch_ptr 0
		.amdhsa_user_sgpr_queue_ptr 0
		.amdhsa_user_sgpr_kernarg_segment_ptr 1
		.amdhsa_user_sgpr_dispatch_id 0
		.amdhsa_user_sgpr_kernarg_preload_length 0
		.amdhsa_user_sgpr_kernarg_preload_offset 0
		.amdhsa_user_sgpr_private_segment_size 0
		.amdhsa_wavefront_size32 1
		.amdhsa_uses_dynamic_stack 0
		.amdhsa_enable_private_segment 0
		.amdhsa_system_sgpr_workgroup_id_x 1
		.amdhsa_system_sgpr_workgroup_id_y 0
		.amdhsa_system_sgpr_workgroup_id_z 0
		.amdhsa_system_sgpr_workgroup_info 0
		.amdhsa_system_vgpr_workitem_id 0
		.amdhsa_next_free_vgpr 16
		.amdhsa_next_free_sgpr 21
		.amdhsa_named_barrier_count 0
		.amdhsa_reserve_vcc 1
		.amdhsa_float_round_mode_32 0
		.amdhsa_float_round_mode_16_64 0
		.amdhsa_float_denorm_mode_32 3
		.amdhsa_float_denorm_mode_16_64 3
		.amdhsa_fp16_overflow 0
		.amdhsa_memory_ordered 1
		.amdhsa_forward_progress 1
		.amdhsa_inst_pref_size 13
		.amdhsa_round_robin_scheduling 0
		.amdhsa_exception_fp_ieee_invalid_op 0
		.amdhsa_exception_fp_denorm_src 0
		.amdhsa_exception_fp_ieee_div_zero 0
		.amdhsa_exception_fp_ieee_overflow 0
		.amdhsa_exception_fp_ieee_underflow 0
		.amdhsa_exception_fp_ieee_inexact 0
		.amdhsa_exception_int_div_zero 0
	.end_amdhsa_kernel
	.section	.text._ZN9rocsparseL30csrmvn_lrb_short_rows_2_kernelIiif21rocsparse_complex_numIfES2_S2_EEvbT_PT0_S5_jNS_24const_host_device_scalarIT4_EEPKS3_PKS4_PKT1_PKT2_S8_PT3_21rocsparse_index_base_b,"axG",@progbits,_ZN9rocsparseL30csrmvn_lrb_short_rows_2_kernelIiif21rocsparse_complex_numIfES2_S2_EEvbT_PT0_S5_jNS_24const_host_device_scalarIT4_EEPKS3_PKS4_PKT1_PKT2_S8_PT3_21rocsparse_index_base_b,comdat
.Lfunc_end153:
	.size	_ZN9rocsparseL30csrmvn_lrb_short_rows_2_kernelIiif21rocsparse_complex_numIfES2_S2_EEvbT_PT0_S5_jNS_24const_host_device_scalarIT4_EEPKS3_PKS4_PKT1_PKT2_S8_PT3_21rocsparse_index_base_b, .Lfunc_end153-_ZN9rocsparseL30csrmvn_lrb_short_rows_2_kernelIiif21rocsparse_complex_numIfES2_S2_EEvbT_PT0_S5_jNS_24const_host_device_scalarIT4_EEPKS3_PKS4_PKT1_PKT2_S8_PT3_21rocsparse_index_base_b
                                        ; -- End function
	.set _ZN9rocsparseL30csrmvn_lrb_short_rows_2_kernelIiif21rocsparse_complex_numIfES2_S2_EEvbT_PT0_S5_jNS_24const_host_device_scalarIT4_EEPKS3_PKS4_PKT1_PKT2_S8_PT3_21rocsparse_index_base_b.num_vgpr, 16
	.set _ZN9rocsparseL30csrmvn_lrb_short_rows_2_kernelIiif21rocsparse_complex_numIfES2_S2_EEvbT_PT0_S5_jNS_24const_host_device_scalarIT4_EEPKS3_PKS4_PKT1_PKT2_S8_PT3_21rocsparse_index_base_b.num_agpr, 0
	.set _ZN9rocsparseL30csrmvn_lrb_short_rows_2_kernelIiif21rocsparse_complex_numIfES2_S2_EEvbT_PT0_S5_jNS_24const_host_device_scalarIT4_EEPKS3_PKS4_PKT1_PKT2_S8_PT3_21rocsparse_index_base_b.numbered_sgpr, 21
	.set _ZN9rocsparseL30csrmvn_lrb_short_rows_2_kernelIiif21rocsparse_complex_numIfES2_S2_EEvbT_PT0_S5_jNS_24const_host_device_scalarIT4_EEPKS3_PKS4_PKT1_PKT2_S8_PT3_21rocsparse_index_base_b.num_named_barrier, 0
	.set _ZN9rocsparseL30csrmvn_lrb_short_rows_2_kernelIiif21rocsparse_complex_numIfES2_S2_EEvbT_PT0_S5_jNS_24const_host_device_scalarIT4_EEPKS3_PKS4_PKT1_PKT2_S8_PT3_21rocsparse_index_base_b.private_seg_size, 0
	.set _ZN9rocsparseL30csrmvn_lrb_short_rows_2_kernelIiif21rocsparse_complex_numIfES2_S2_EEvbT_PT0_S5_jNS_24const_host_device_scalarIT4_EEPKS3_PKS4_PKT1_PKT2_S8_PT3_21rocsparse_index_base_b.uses_vcc, 1
	.set _ZN9rocsparseL30csrmvn_lrb_short_rows_2_kernelIiif21rocsparse_complex_numIfES2_S2_EEvbT_PT0_S5_jNS_24const_host_device_scalarIT4_EEPKS3_PKS4_PKT1_PKT2_S8_PT3_21rocsparse_index_base_b.uses_flat_scratch, 1
	.set _ZN9rocsparseL30csrmvn_lrb_short_rows_2_kernelIiif21rocsparse_complex_numIfES2_S2_EEvbT_PT0_S5_jNS_24const_host_device_scalarIT4_EEPKS3_PKS4_PKT1_PKT2_S8_PT3_21rocsparse_index_base_b.has_dyn_sized_stack, 0
	.set _ZN9rocsparseL30csrmvn_lrb_short_rows_2_kernelIiif21rocsparse_complex_numIfES2_S2_EEvbT_PT0_S5_jNS_24const_host_device_scalarIT4_EEPKS3_PKS4_PKT1_PKT2_S8_PT3_21rocsparse_index_base_b.has_recursion, 0
	.set _ZN9rocsparseL30csrmvn_lrb_short_rows_2_kernelIiif21rocsparse_complex_numIfES2_S2_EEvbT_PT0_S5_jNS_24const_host_device_scalarIT4_EEPKS3_PKS4_PKT1_PKT2_S8_PT3_21rocsparse_index_base_b.has_indirect_call, 0
	.section	.AMDGPU.csdata,"",@progbits
; Kernel info:
; codeLenInByte = 1624
; TotalNumSgprs: 23
; NumVgprs: 16
; ScratchSize: 0
; MemoryBound: 0
; FloatMode: 240
; IeeeMode: 1
; LDSByteSize: 8192 bytes/workgroup (compile time only)
; SGPRBlocks: 0
; VGPRBlocks: 0
; NumSGPRsForWavesPerEU: 23
; NumVGPRsForWavesPerEU: 16
; NamedBarCnt: 0
; Occupancy: 16
; WaveLimiterHint : 1
; COMPUTE_PGM_RSRC2:SCRATCH_EN: 0
; COMPUTE_PGM_RSRC2:USER_SGPR: 2
; COMPUTE_PGM_RSRC2:TRAP_HANDLER: 0
; COMPUTE_PGM_RSRC2:TGID_X_EN: 1
; COMPUTE_PGM_RSRC2:TGID_Y_EN: 0
; COMPUTE_PGM_RSRC2:TGID_Z_EN: 0
; COMPUTE_PGM_RSRC2:TIDIG_COMP_CNT: 0
	.section	.text._ZN9rocsparseL41csrmvn_lrb_medium_rows_warp_reduce_kernelILj256ELj32Eiif21rocsparse_complex_numIfES2_S2_EEvbT1_lPT2_S5_jNS_24const_host_device_scalarIT6_EEPKS3_PKS4_PKT3_PKT4_S8_PT5_21rocsparse_index_base_b,"axG",@progbits,_ZN9rocsparseL41csrmvn_lrb_medium_rows_warp_reduce_kernelILj256ELj32Eiif21rocsparse_complex_numIfES2_S2_EEvbT1_lPT2_S5_jNS_24const_host_device_scalarIT6_EEPKS3_PKS4_PKT3_PKT4_S8_PT5_21rocsparse_index_base_b,comdat
	.globl	_ZN9rocsparseL41csrmvn_lrb_medium_rows_warp_reduce_kernelILj256ELj32Eiif21rocsparse_complex_numIfES2_S2_EEvbT1_lPT2_S5_jNS_24const_host_device_scalarIT6_EEPKS3_PKS4_PKT3_PKT4_S8_PT5_21rocsparse_index_base_b ; -- Begin function _ZN9rocsparseL41csrmvn_lrb_medium_rows_warp_reduce_kernelILj256ELj32Eiif21rocsparse_complex_numIfES2_S2_EEvbT1_lPT2_S5_jNS_24const_host_device_scalarIT6_EEPKS3_PKS4_PKT3_PKT4_S8_PT5_21rocsparse_index_base_b
	.p2align	8
	.type	_ZN9rocsparseL41csrmvn_lrb_medium_rows_warp_reduce_kernelILj256ELj32Eiif21rocsparse_complex_numIfES2_S2_EEvbT1_lPT2_S5_jNS_24const_host_device_scalarIT6_EEPKS3_PKS4_PKT3_PKT4_S8_PT5_21rocsparse_index_base_b,@function
_ZN9rocsparseL41csrmvn_lrb_medium_rows_warp_reduce_kernelILj256ELj32Eiif21rocsparse_complex_numIfES2_S2_EEvbT1_lPT2_S5_jNS_24const_host_device_scalarIT6_EEPKS3_PKS4_PKT3_PKT4_S8_PT5_21rocsparse_index_base_b: ; @_ZN9rocsparseL41csrmvn_lrb_medium_rows_warp_reduce_kernelILj256ELj32Eiif21rocsparse_complex_numIfES2_S2_EEvbT1_lPT2_S5_jNS_24const_host_device_scalarIT6_EEPKS3_PKS4_PKT3_PKT4_S8_PT5_21rocsparse_index_base_b
; %bb.0:
	s_clause 0x2
	s_load_b64 s[8:9], s[0:1], 0x60
	s_load_b64 s[2:3], s[0:1], 0x28
	;; [unrolled: 1-line block ×3, first 2 shown]
	v_mov_b32_e32 v1, 0
	s_add_nc_u64 s[6:7], s[0:1], 40
	s_add_nc_u64 s[10:11], s[0:1], 0x50
	s_wait_kmcnt 0x0
	s_bitcmp1_b32 s9, 0
	s_cselect_b32 s3, s7, s3
	s_cselect_b32 s2, s6, s2
	;; [unrolled: 1-line block ×4, first 2 shown]
	s_clause 0x1
	flat_load_b64 v[6:7], v1, s[2:3]
	flat_load_b64 v[2:3], v1, s[4:5]
	s_wait_loadcnt_dscnt 0x101
	s_wait_xcnt 0x1
	v_cmp_neq_f32_e64 s2, 0, v6
	v_cmp_neq_f32_e64 s3, 0, v7
	s_wait_loadcnt_dscnt 0x0
	v_cmp_neq_f32_e64 s4, 1.0, v2
	v_cmp_neq_f32_e32 vcc_lo, 0, v3
	s_or_b32 s2, s2, s3
	s_or_b32 s3, s4, vcc_lo
	s_delay_alu instid0(SALU_CYCLE_1) | instskip(NEXT) | instid1(SALU_CYCLE_1)
	s_or_b32 s2, s2, s3
	s_and_saveexec_b32 s3, s2
	s_cbranch_execz .LBB154_10
; %bb.1:
	s_bfe_u32 s4, ttmp6, 0x4000c
	s_load_b64 s[2:3], s[0:1], 0x8
	s_add_co_i32 s4, s4, 1
	s_and_b32 s5, ttmp6, 15
	s_mul_i32 s4, ttmp9, s4
	s_getreg_b32 s6, hwreg(HW_REG_IB_STS2, 6, 4)
	v_lshrrev_b32_e32 v1, 5, v0
	s_add_co_i32 s5, s5, s4
	s_cmp_eq_u32 s6, 0
	s_cselect_b32 s4, ttmp9, s5
	s_delay_alu instid0(VALU_DEP_1) | instid1(SALU_CYCLE_1)
	v_lshl_or_b32 v4, s4, 3, v1
	s_delay_alu instid0(VALU_DEP_1) | instskip(SKIP_1) | instid1(VALU_DEP_1)
	v_ashrrev_i32_e32 v5, 31, v4
	s_wait_kmcnt 0x0
	v_cmp_gt_i64_e64 s2, s[2:3], v[4:5]
	s_and_b32 exec_lo, exec_lo, s2
	s_cbranch_execz .LBB154_10
; %bb.2:
	s_clause 0x1
	s_load_b128 s[4:7], s[0:1], 0x10
	s_load_b32 s2, s[0:1], 0x20
	s_wait_kmcnt 0x0
	s_load_b32 s2, s[6:7], s2 offset:0x0 scale_offset
	s_wait_kmcnt 0x0
	v_add_nc_u32_e32 v1, s2, v4
	s_load_b64 s[2:3], s[0:1], 0x30
	global_load_b32 v4, v1, s[4:5] scale_offset
	s_wait_loadcnt 0x0
	v_dual_mov_b32 v1, 0 :: v_dual_ashrrev_i32 v5, 31, v4
	s_wait_kmcnt 0x0
	s_delay_alu instid0(VALU_DEP_1) | instskip(SKIP_3) | instid1(VALU_DEP_1)
	v_lshl_add_u64 v[8:9], v[4:5], 2, s[2:3]
	s_mov_b32 s3, exec_lo
	global_load_b64 v[8:9], v[8:9], off
	v_and_b32_e32 v10, 31, v0
	v_subrev_nc_u32_e32 v0, s8, v10
	s_wait_loadcnt 0x0
	v_subrev_nc_u32_e32 v11, s8, v9
	s_delay_alu instid0(VALU_DEP_2) | instskip(NEXT) | instid1(VALU_DEP_1)
	v_dual_add_nc_u32 v12, v8, v0 :: v_dual_mov_b32 v0, v1
	v_cmpx_lt_i32_e64 v12, v11
	s_cbranch_execz .LBB154_6
; %bb.3:
	s_clause 0x1
	s_load_b128 s[4:7], s[0:1], 0x38
	s_load_b64 s[10:11], s[0:1], 0x48
	v_mov_b64_e32 v[0:1], 0x8000000000000000
	s_mov_b32 s9, 0
	s_delay_alu instid0(VALU_DEP_1) | instskip(NEXT) | instid1(VALU_DEP_1)
	v_pk_mul_f32 v[14:15], v[6:7], v[0:1]
	v_dual_mov_b32 v1, 0 :: v_dual_mov_b32 v8, v15
	s_delay_alu instid0(VALU_DEP_1)
	v_dual_mov_b32 v9, v14 :: v_dual_mov_b32 v0, v1
.LBB154_4:                              ; =>This Inner Loop Header: Depth=1
	s_wait_kmcnt 0x0
	s_clause 0x1
	global_load_b32 v13, v12, s[4:5] scale_offset
	global_load_b32 v14, v12, s[6:7] scale_offset
	s_wait_xcnt 0x0
	v_add_nc_u32_e32 v12, 32, v12
	s_delay_alu instid0(VALU_DEP_1)
	v_cmp_ge_i32_e64 s2, v12, v11
	s_or_b32 s9, s2, s9
	s_wait_loadcnt 0x1
	v_subrev_nc_u32_e32 v13, s8, v13
	s_wait_loadcnt 0x0
	v_pk_fma_f32 v[14:15], v[6:7], v[14:15], v[8:9] op_sel_hi:[1,0,1]
	global_load_b64 v[16:17], v13, s[10:11] scale_offset
	s_wait_loadcnt 0x0
	v_pk_fma_f32 v[0:1], v[14:15], v[16:17], v[0:1] op_sel_hi:[1,0,1]
	s_delay_alu instid0(VALU_DEP_1)
	v_pk_fma_f32 v[0:1], v[14:15], v[16:17], v[0:1] op_sel:[1,1,0] op_sel_hi:[0,1,1] neg_lo:[1,0,0]
	s_and_not1_b32 exec_lo, exec_lo, s9
	s_cbranch_execnz .LBB154_4
; %bb.5:
	s_or_b32 exec_lo, exec_lo, s9
.LBB154_6:
	s_delay_alu instid0(SALU_CYCLE_1) | instskip(SKIP_2) | instid1(VALU_DEP_1)
	s_or_b32 exec_lo, exec_lo, s3
	v_mbcnt_lo_u32_b32 v8, -1, 0
	s_load_b64 s[2:3], s[0:1], 0x58
	v_xor_b32_e32 v9, 8, v8
	v_xor_b32_e32 v6, 16, v8
	s_wait_xcnt 0x0
	s_delay_alu instid0(VALU_DEP_1) | instskip(NEXT) | instid1(VALU_DEP_1)
	v_cmp_gt_i32_e64 s0, 32, v6
	v_cndmask_b32_e64 v6, v8, v6, s0
	v_cmp_gt_i32_e64 s0, 32, v9
	s_delay_alu instid0(VALU_DEP_1) | instskip(NEXT) | instid1(VALU_DEP_1)
	v_cndmask_b32_e64 v9, v8, v9, s0
	v_dual_lshlrev_b32 v9, 2, v9 :: v_dual_lshlrev_b32 v7, 2, v6
	ds_bpermute_b32 v6, v7, v0
	ds_bpermute_b32 v7, v7, v1
	s_wait_dscnt 0x0
	v_pk_add_f32 v[0:1], v[0:1], v[6:7]
	ds_bpermute_b32 v6, v9, v0
	ds_bpermute_b32 v7, v9, v1
	v_xor_b32_e32 v9, 4, v8
	s_delay_alu instid0(VALU_DEP_1) | instskip(NEXT) | instid1(VALU_DEP_1)
	v_cmp_gt_i32_e64 s0, 32, v9
	v_cndmask_b32_e64 v9, v8, v9, s0
	s_delay_alu instid0(VALU_DEP_1)
	v_lshlrev_b32_e32 v9, 2, v9
	s_wait_dscnt 0x0
	v_pk_add_f32 v[0:1], v[0:1], v[6:7]
	ds_bpermute_b32 v6, v9, v0
	ds_bpermute_b32 v7, v9, v1
	v_xor_b32_e32 v9, 2, v8
	s_delay_alu instid0(VALU_DEP_1) | instskip(NEXT) | instid1(VALU_DEP_1)
	v_cmp_gt_i32_e64 s0, 32, v9
	v_cndmask_b32_e64 v9, v8, v9, s0
	s_delay_alu instid0(VALU_DEP_1)
	v_lshlrev_b32_e32 v9, 2, v9
	s_wait_dscnt 0x0
	v_pk_add_f32 v[0:1], v[0:1], v[6:7]
	ds_bpermute_b32 v6, v9, v0
	ds_bpermute_b32 v7, v9, v1
	v_xor_b32_e32 v9, 1, v8
	s_delay_alu instid0(VALU_DEP_1) | instskip(NEXT) | instid1(VALU_DEP_1)
	v_cmp_gt_i32_e64 s0, 32, v9
	v_cndmask_b32_e64 v8, v8, v9, s0
	v_cmp_eq_u32_e64 s0, 31, v10
	s_delay_alu instid0(VALU_DEP_2)
	v_lshlrev_b32_e32 v8, 2, v8
	s_wait_dscnt 0x0
	v_pk_add_f32 v[0:1], v[0:1], v[6:7]
	ds_bpermute_b32 v6, v8, v0
	ds_bpermute_b32 v7, v8, v1
	s_and_b32 exec_lo, exec_lo, s0
	s_cbranch_execz .LBB154_10
; %bb.7:
	v_cmp_neq_f32_e64 s0, 0, v2
	s_wait_dscnt 0x0
	v_pk_add_f32 v[6:7], v[0:1], v[6:7]
	s_wait_kmcnt 0x0
	v_lshl_add_u64 v[0:1], v[4:5], 3, s[2:3]
	s_or_b32 s1, s0, vcc_lo
	s_delay_alu instid0(SALU_CYCLE_1)
	s_and_saveexec_b32 s0, s1
	s_cbranch_execz .LBB154_9
; %bb.8:
	global_load_b64 v[4:5], v[0:1], off
	v_xor_b32_e32 v8, 0x80000000, v3
	v_mov_b32_e32 v9, v2
	s_wait_loadcnt 0x0
	v_pk_fma_f32 v[6:7], v[2:3], v[4:5], v[6:7] op_sel_hi:[1,0,1]
	s_delay_alu instid0(VALU_DEP_1)
	v_pk_fma_f32 v[6:7], v[8:9], v[4:5], v[6:7] op_sel:[0,1,0]
.LBB154_9:
	s_or_b32 exec_lo, exec_lo, s0
	global_store_b64 v[0:1], v[6:7], off
.LBB154_10:
	s_endpgm
	.section	.rodata,"a",@progbits
	.p2align	6, 0x0
	.amdhsa_kernel _ZN9rocsparseL41csrmvn_lrb_medium_rows_warp_reduce_kernelILj256ELj32Eiif21rocsparse_complex_numIfES2_S2_EEvbT1_lPT2_S5_jNS_24const_host_device_scalarIT6_EEPKS3_PKS4_PKT3_PKT4_S8_PT5_21rocsparse_index_base_b
		.amdhsa_group_segment_fixed_size 0
		.amdhsa_private_segment_fixed_size 0
		.amdhsa_kernarg_size 104
		.amdhsa_user_sgpr_count 2
		.amdhsa_user_sgpr_dispatch_ptr 0
		.amdhsa_user_sgpr_queue_ptr 0
		.amdhsa_user_sgpr_kernarg_segment_ptr 1
		.amdhsa_user_sgpr_dispatch_id 0
		.amdhsa_user_sgpr_kernarg_preload_length 0
		.amdhsa_user_sgpr_kernarg_preload_offset 0
		.amdhsa_user_sgpr_private_segment_size 0
		.amdhsa_wavefront_size32 1
		.amdhsa_uses_dynamic_stack 0
		.amdhsa_enable_private_segment 0
		.amdhsa_system_sgpr_workgroup_id_x 1
		.amdhsa_system_sgpr_workgroup_id_y 0
		.amdhsa_system_sgpr_workgroup_id_z 0
		.amdhsa_system_sgpr_workgroup_info 0
		.amdhsa_system_vgpr_workitem_id 0
		.amdhsa_next_free_vgpr 18
		.amdhsa_next_free_sgpr 12
		.amdhsa_named_barrier_count 0
		.amdhsa_reserve_vcc 1
		.amdhsa_float_round_mode_32 0
		.amdhsa_float_round_mode_16_64 0
		.amdhsa_float_denorm_mode_32 3
		.amdhsa_float_denorm_mode_16_64 3
		.amdhsa_fp16_overflow 0
		.amdhsa_memory_ordered 1
		.amdhsa_forward_progress 1
		.amdhsa_inst_pref_size 9
		.amdhsa_round_robin_scheduling 0
		.amdhsa_exception_fp_ieee_invalid_op 0
		.amdhsa_exception_fp_denorm_src 0
		.amdhsa_exception_fp_ieee_div_zero 0
		.amdhsa_exception_fp_ieee_overflow 0
		.amdhsa_exception_fp_ieee_underflow 0
		.amdhsa_exception_fp_ieee_inexact 0
		.amdhsa_exception_int_div_zero 0
	.end_amdhsa_kernel
	.section	.text._ZN9rocsparseL41csrmvn_lrb_medium_rows_warp_reduce_kernelILj256ELj32Eiif21rocsparse_complex_numIfES2_S2_EEvbT1_lPT2_S5_jNS_24const_host_device_scalarIT6_EEPKS3_PKS4_PKT3_PKT4_S8_PT5_21rocsparse_index_base_b,"axG",@progbits,_ZN9rocsparseL41csrmvn_lrb_medium_rows_warp_reduce_kernelILj256ELj32Eiif21rocsparse_complex_numIfES2_S2_EEvbT1_lPT2_S5_jNS_24const_host_device_scalarIT6_EEPKS3_PKS4_PKT3_PKT4_S8_PT5_21rocsparse_index_base_b,comdat
.Lfunc_end154:
	.size	_ZN9rocsparseL41csrmvn_lrb_medium_rows_warp_reduce_kernelILj256ELj32Eiif21rocsparse_complex_numIfES2_S2_EEvbT1_lPT2_S5_jNS_24const_host_device_scalarIT6_EEPKS3_PKS4_PKT3_PKT4_S8_PT5_21rocsparse_index_base_b, .Lfunc_end154-_ZN9rocsparseL41csrmvn_lrb_medium_rows_warp_reduce_kernelILj256ELj32Eiif21rocsparse_complex_numIfES2_S2_EEvbT1_lPT2_S5_jNS_24const_host_device_scalarIT6_EEPKS3_PKS4_PKT3_PKT4_S8_PT5_21rocsparse_index_base_b
                                        ; -- End function
	.set _ZN9rocsparseL41csrmvn_lrb_medium_rows_warp_reduce_kernelILj256ELj32Eiif21rocsparse_complex_numIfES2_S2_EEvbT1_lPT2_S5_jNS_24const_host_device_scalarIT6_EEPKS3_PKS4_PKT3_PKT4_S8_PT5_21rocsparse_index_base_b.num_vgpr, 18
	.set _ZN9rocsparseL41csrmvn_lrb_medium_rows_warp_reduce_kernelILj256ELj32Eiif21rocsparse_complex_numIfES2_S2_EEvbT1_lPT2_S5_jNS_24const_host_device_scalarIT6_EEPKS3_PKS4_PKT3_PKT4_S8_PT5_21rocsparse_index_base_b.num_agpr, 0
	.set _ZN9rocsparseL41csrmvn_lrb_medium_rows_warp_reduce_kernelILj256ELj32Eiif21rocsparse_complex_numIfES2_S2_EEvbT1_lPT2_S5_jNS_24const_host_device_scalarIT6_EEPKS3_PKS4_PKT3_PKT4_S8_PT5_21rocsparse_index_base_b.numbered_sgpr, 12
	.set _ZN9rocsparseL41csrmvn_lrb_medium_rows_warp_reduce_kernelILj256ELj32Eiif21rocsparse_complex_numIfES2_S2_EEvbT1_lPT2_S5_jNS_24const_host_device_scalarIT6_EEPKS3_PKS4_PKT3_PKT4_S8_PT5_21rocsparse_index_base_b.num_named_barrier, 0
	.set _ZN9rocsparseL41csrmvn_lrb_medium_rows_warp_reduce_kernelILj256ELj32Eiif21rocsparse_complex_numIfES2_S2_EEvbT1_lPT2_S5_jNS_24const_host_device_scalarIT6_EEPKS3_PKS4_PKT3_PKT4_S8_PT5_21rocsparse_index_base_b.private_seg_size, 0
	.set _ZN9rocsparseL41csrmvn_lrb_medium_rows_warp_reduce_kernelILj256ELj32Eiif21rocsparse_complex_numIfES2_S2_EEvbT1_lPT2_S5_jNS_24const_host_device_scalarIT6_EEPKS3_PKS4_PKT3_PKT4_S8_PT5_21rocsparse_index_base_b.uses_vcc, 1
	.set _ZN9rocsparseL41csrmvn_lrb_medium_rows_warp_reduce_kernelILj256ELj32Eiif21rocsparse_complex_numIfES2_S2_EEvbT1_lPT2_S5_jNS_24const_host_device_scalarIT6_EEPKS3_PKS4_PKT3_PKT4_S8_PT5_21rocsparse_index_base_b.uses_flat_scratch, 1
	.set _ZN9rocsparseL41csrmvn_lrb_medium_rows_warp_reduce_kernelILj256ELj32Eiif21rocsparse_complex_numIfES2_S2_EEvbT1_lPT2_S5_jNS_24const_host_device_scalarIT6_EEPKS3_PKS4_PKT3_PKT4_S8_PT5_21rocsparse_index_base_b.has_dyn_sized_stack, 0
	.set _ZN9rocsparseL41csrmvn_lrb_medium_rows_warp_reduce_kernelILj256ELj32Eiif21rocsparse_complex_numIfES2_S2_EEvbT1_lPT2_S5_jNS_24const_host_device_scalarIT6_EEPKS3_PKS4_PKT3_PKT4_S8_PT5_21rocsparse_index_base_b.has_recursion, 0
	.set _ZN9rocsparseL41csrmvn_lrb_medium_rows_warp_reduce_kernelILj256ELj32Eiif21rocsparse_complex_numIfES2_S2_EEvbT1_lPT2_S5_jNS_24const_host_device_scalarIT6_EEPKS3_PKS4_PKT3_PKT4_S8_PT5_21rocsparse_index_base_b.has_indirect_call, 0
	.section	.AMDGPU.csdata,"",@progbits
; Kernel info:
; codeLenInByte = 1036
; TotalNumSgprs: 14
; NumVgprs: 18
; ScratchSize: 0
; MemoryBound: 0
; FloatMode: 240
; IeeeMode: 1
; LDSByteSize: 0 bytes/workgroup (compile time only)
; SGPRBlocks: 0
; VGPRBlocks: 1
; NumSGPRsForWavesPerEU: 14
; NumVGPRsForWavesPerEU: 18
; NamedBarCnt: 0
; Occupancy: 16
; WaveLimiterHint : 1
; COMPUTE_PGM_RSRC2:SCRATCH_EN: 0
; COMPUTE_PGM_RSRC2:USER_SGPR: 2
; COMPUTE_PGM_RSRC2:TRAP_HANDLER: 0
; COMPUTE_PGM_RSRC2:TGID_X_EN: 1
; COMPUTE_PGM_RSRC2:TGID_Y_EN: 0
; COMPUTE_PGM_RSRC2:TGID_Z_EN: 0
; COMPUTE_PGM_RSRC2:TIDIG_COMP_CNT: 0
	.section	.text._ZN9rocsparseL41csrmvn_lrb_medium_rows_warp_reduce_kernelILj256ELj64Eiif21rocsparse_complex_numIfES2_S2_EEvbT1_lPT2_S5_jNS_24const_host_device_scalarIT6_EEPKS3_PKS4_PKT3_PKT4_S8_PT5_21rocsparse_index_base_b,"axG",@progbits,_ZN9rocsparseL41csrmvn_lrb_medium_rows_warp_reduce_kernelILj256ELj64Eiif21rocsparse_complex_numIfES2_S2_EEvbT1_lPT2_S5_jNS_24const_host_device_scalarIT6_EEPKS3_PKS4_PKT3_PKT4_S8_PT5_21rocsparse_index_base_b,comdat
	.globl	_ZN9rocsparseL41csrmvn_lrb_medium_rows_warp_reduce_kernelILj256ELj64Eiif21rocsparse_complex_numIfES2_S2_EEvbT1_lPT2_S5_jNS_24const_host_device_scalarIT6_EEPKS3_PKS4_PKT3_PKT4_S8_PT5_21rocsparse_index_base_b ; -- Begin function _ZN9rocsparseL41csrmvn_lrb_medium_rows_warp_reduce_kernelILj256ELj64Eiif21rocsparse_complex_numIfES2_S2_EEvbT1_lPT2_S5_jNS_24const_host_device_scalarIT6_EEPKS3_PKS4_PKT3_PKT4_S8_PT5_21rocsparse_index_base_b
	.p2align	8
	.type	_ZN9rocsparseL41csrmvn_lrb_medium_rows_warp_reduce_kernelILj256ELj64Eiif21rocsparse_complex_numIfES2_S2_EEvbT1_lPT2_S5_jNS_24const_host_device_scalarIT6_EEPKS3_PKS4_PKT3_PKT4_S8_PT5_21rocsparse_index_base_b,@function
_ZN9rocsparseL41csrmvn_lrb_medium_rows_warp_reduce_kernelILj256ELj64Eiif21rocsparse_complex_numIfES2_S2_EEvbT1_lPT2_S5_jNS_24const_host_device_scalarIT6_EEPKS3_PKS4_PKT3_PKT4_S8_PT5_21rocsparse_index_base_b: ; @_ZN9rocsparseL41csrmvn_lrb_medium_rows_warp_reduce_kernelILj256ELj64Eiif21rocsparse_complex_numIfES2_S2_EEvbT1_lPT2_S5_jNS_24const_host_device_scalarIT6_EEPKS3_PKS4_PKT3_PKT4_S8_PT5_21rocsparse_index_base_b
; %bb.0:
	s_clause 0x2
	s_load_b64 s[8:9], s[0:1], 0x60
	s_load_b64 s[2:3], s[0:1], 0x28
	;; [unrolled: 1-line block ×3, first 2 shown]
	v_mov_b32_e32 v1, 0
	s_add_nc_u64 s[6:7], s[0:1], 40
	s_add_nc_u64 s[10:11], s[0:1], 0x50
	s_wait_kmcnt 0x0
	s_bitcmp1_b32 s9, 0
	s_cselect_b32 s3, s7, s3
	s_cselect_b32 s2, s6, s2
	;; [unrolled: 1-line block ×4, first 2 shown]
	s_clause 0x1
	flat_load_b64 v[6:7], v1, s[2:3]
	flat_load_b64 v[2:3], v1, s[4:5]
	s_wait_loadcnt_dscnt 0x101
	s_wait_xcnt 0x1
	v_cmp_neq_f32_e64 s2, 0, v6
	v_cmp_neq_f32_e64 s3, 0, v7
	s_wait_loadcnt_dscnt 0x0
	v_cmp_neq_f32_e64 s4, 1.0, v2
	v_cmp_neq_f32_e32 vcc_lo, 0, v3
	s_or_b32 s2, s2, s3
	s_or_b32 s3, s4, vcc_lo
	s_delay_alu instid0(SALU_CYCLE_1) | instskip(NEXT) | instid1(SALU_CYCLE_1)
	s_or_b32 s2, s2, s3
	s_and_saveexec_b32 s3, s2
	s_cbranch_execz .LBB155_10
; %bb.1:
	s_bfe_u32 s4, ttmp6, 0x4000c
	s_load_b64 s[2:3], s[0:1], 0x8
	s_add_co_i32 s4, s4, 1
	s_and_b32 s5, ttmp6, 15
	s_mul_i32 s4, ttmp9, s4
	s_getreg_b32 s6, hwreg(HW_REG_IB_STS2, 6, 4)
	v_lshrrev_b32_e32 v1, 6, v0
	s_add_co_i32 s5, s5, s4
	s_cmp_eq_u32 s6, 0
	s_cselect_b32 s4, ttmp9, s5
	s_delay_alu instid0(VALU_DEP_1) | instid1(SALU_CYCLE_1)
	v_lshl_or_b32 v4, s4, 2, v1
	s_delay_alu instid0(VALU_DEP_1) | instskip(SKIP_1) | instid1(VALU_DEP_1)
	v_ashrrev_i32_e32 v5, 31, v4
	s_wait_kmcnt 0x0
	v_cmp_gt_i64_e64 s2, s[2:3], v[4:5]
	s_and_b32 exec_lo, exec_lo, s2
	s_cbranch_execz .LBB155_10
; %bb.2:
	s_clause 0x1
	s_load_b128 s[4:7], s[0:1], 0x10
	s_load_b32 s2, s[0:1], 0x20
	s_wait_kmcnt 0x0
	s_load_b32 s2, s[6:7], s2 offset:0x0 scale_offset
	s_wait_kmcnt 0x0
	v_add_nc_u32_e32 v1, s2, v4
	s_load_b64 s[2:3], s[0:1], 0x30
	global_load_b32 v4, v1, s[4:5] scale_offset
	s_wait_loadcnt 0x0
	v_dual_mov_b32 v1, 0 :: v_dual_ashrrev_i32 v5, 31, v4
	s_wait_kmcnt 0x0
	s_delay_alu instid0(VALU_DEP_1) | instskip(SKIP_3) | instid1(VALU_DEP_1)
	v_lshl_add_u64 v[8:9], v[4:5], 2, s[2:3]
	s_mov_b32 s3, exec_lo
	global_load_b64 v[8:9], v[8:9], off
	v_and_b32_e32 v10, 63, v0
	v_subrev_nc_u32_e32 v0, s8, v10
	s_wait_loadcnt 0x0
	v_subrev_nc_u32_e32 v11, s8, v9
	s_delay_alu instid0(VALU_DEP_2) | instskip(NEXT) | instid1(VALU_DEP_1)
	v_dual_add_nc_u32 v12, v8, v0 :: v_dual_mov_b32 v0, v1
	v_cmpx_lt_i32_e64 v12, v11
	s_cbranch_execz .LBB155_6
; %bb.3:
	s_clause 0x1
	s_load_b128 s[4:7], s[0:1], 0x38
	s_load_b64 s[10:11], s[0:1], 0x48
	v_mov_b64_e32 v[0:1], 0x8000000000000000
	s_mov_b32 s9, 0
	s_delay_alu instid0(VALU_DEP_1) | instskip(NEXT) | instid1(VALU_DEP_1)
	v_pk_mul_f32 v[14:15], v[6:7], v[0:1]
	v_dual_mov_b32 v0, 0 :: v_dual_mov_b32 v8, v15
	s_delay_alu instid0(VALU_DEP_1)
	v_dual_mov_b32 v9, v14 :: v_dual_mov_b32 v1, v0
.LBB155_4:                              ; =>This Inner Loop Header: Depth=1
	s_wait_kmcnt 0x0
	s_clause 0x1
	global_load_b32 v13, v12, s[4:5] scale_offset
	global_load_b32 v14, v12, s[6:7] scale_offset
	s_wait_xcnt 0x0
	v_add_nc_u32_e32 v12, 64, v12
	s_delay_alu instid0(VALU_DEP_1)
	v_cmp_ge_i32_e64 s2, v12, v11
	s_or_b32 s9, s2, s9
	s_wait_loadcnt 0x1
	v_subrev_nc_u32_e32 v13, s8, v13
	s_wait_loadcnt 0x0
	v_pk_fma_f32 v[14:15], v[6:7], v[14:15], v[8:9] op_sel_hi:[1,0,1]
	global_load_b64 v[16:17], v13, s[10:11] scale_offset
	s_wait_loadcnt 0x0
	v_pk_fma_f32 v[0:1], v[14:15], v[16:17], v[0:1] op_sel_hi:[1,0,1]
	s_delay_alu instid0(VALU_DEP_1)
	v_pk_fma_f32 v[0:1], v[14:15], v[16:17], v[0:1] op_sel:[1,1,0] op_sel_hi:[0,1,1] neg_lo:[1,0,0]
	s_and_not1_b32 exec_lo, exec_lo, s9
	s_cbranch_execnz .LBB155_4
; %bb.5:
	s_or_b32 exec_lo, exec_lo, s9
.LBB155_6:
	s_delay_alu instid0(SALU_CYCLE_1) | instskip(SKIP_2) | instid1(VALU_DEP_1)
	s_or_b32 exec_lo, exec_lo, s3
	v_mbcnt_lo_u32_b32 v8, -1, 0
	s_load_b64 s[2:3], s[0:1], 0x58
	v_xor_b32_e32 v9, 16, v8
	v_or_b32_e32 v6, 32, v8
	s_wait_xcnt 0x0
	s_delay_alu instid0(VALU_DEP_1) | instskip(NEXT) | instid1(VALU_DEP_1)
	v_cmp_gt_i32_e64 s0, 32, v6
	v_cndmask_b32_e64 v6, v8, v6, s0
	v_cmp_gt_i32_e64 s0, 32, v9
	s_delay_alu instid0(VALU_DEP_1) | instskip(NEXT) | instid1(VALU_DEP_1)
	v_cndmask_b32_e64 v9, v8, v9, s0
	v_dual_lshlrev_b32 v9, 2, v9 :: v_dual_lshlrev_b32 v7, 2, v6
	ds_bpermute_b32 v6, v7, v0
	ds_bpermute_b32 v7, v7, v1
	s_wait_dscnt 0x0
	v_pk_add_f32 v[0:1], v[0:1], v[6:7]
	ds_bpermute_b32 v6, v9, v0
	ds_bpermute_b32 v7, v9, v1
	v_xor_b32_e32 v9, 8, v8
	s_delay_alu instid0(VALU_DEP_1) | instskip(NEXT) | instid1(VALU_DEP_1)
	v_cmp_gt_i32_e64 s0, 32, v9
	v_cndmask_b32_e64 v9, v8, v9, s0
	s_delay_alu instid0(VALU_DEP_1)
	v_lshlrev_b32_e32 v9, 2, v9
	s_wait_dscnt 0x0
	v_pk_add_f32 v[0:1], v[0:1], v[6:7]
	ds_bpermute_b32 v6, v9, v0
	ds_bpermute_b32 v7, v9, v1
	v_xor_b32_e32 v9, 4, v8
	s_delay_alu instid0(VALU_DEP_1) | instskip(NEXT) | instid1(VALU_DEP_1)
	v_cmp_gt_i32_e64 s0, 32, v9
	v_cndmask_b32_e64 v9, v8, v9, s0
	s_delay_alu instid0(VALU_DEP_1)
	v_lshlrev_b32_e32 v9, 2, v9
	;; [unrolled: 10-line block ×3, first 2 shown]
	s_wait_dscnt 0x0
	v_pk_add_f32 v[0:1], v[0:1], v[6:7]
	ds_bpermute_b32 v6, v9, v0
	ds_bpermute_b32 v7, v9, v1
	v_xor_b32_e32 v9, 1, v8
	s_delay_alu instid0(VALU_DEP_1) | instskip(NEXT) | instid1(VALU_DEP_1)
	v_cmp_gt_i32_e64 s0, 32, v9
	v_cndmask_b32_e64 v8, v8, v9, s0
	v_cmp_eq_u32_e64 s0, 63, v10
	s_delay_alu instid0(VALU_DEP_2)
	v_lshlrev_b32_e32 v8, 2, v8
	s_wait_dscnt 0x0
	v_pk_add_f32 v[0:1], v[0:1], v[6:7]
	ds_bpermute_b32 v6, v8, v0
	ds_bpermute_b32 v7, v8, v1
	s_and_b32 exec_lo, exec_lo, s0
	s_cbranch_execz .LBB155_10
; %bb.7:
	v_cmp_neq_f32_e64 s0, 0, v2
	s_wait_dscnt 0x0
	v_pk_add_f32 v[6:7], v[0:1], v[6:7]
	s_wait_kmcnt 0x0
	v_lshl_add_u64 v[0:1], v[4:5], 3, s[2:3]
	s_or_b32 s1, s0, vcc_lo
	s_delay_alu instid0(SALU_CYCLE_1)
	s_and_saveexec_b32 s0, s1
	s_cbranch_execz .LBB155_9
; %bb.8:
	global_load_b64 v[4:5], v[0:1], off
	v_xor_b32_e32 v8, 0x80000000, v3
	v_mov_b32_e32 v9, v2
	s_wait_loadcnt 0x0
	v_pk_fma_f32 v[6:7], v[2:3], v[4:5], v[6:7] op_sel_hi:[1,0,1]
	s_delay_alu instid0(VALU_DEP_1)
	v_pk_fma_f32 v[6:7], v[8:9], v[4:5], v[6:7] op_sel:[0,1,0]
.LBB155_9:
	s_or_b32 exec_lo, exec_lo, s0
	global_store_b64 v[0:1], v[6:7], off
.LBB155_10:
	s_endpgm
	.section	.rodata,"a",@progbits
	.p2align	6, 0x0
	.amdhsa_kernel _ZN9rocsparseL41csrmvn_lrb_medium_rows_warp_reduce_kernelILj256ELj64Eiif21rocsparse_complex_numIfES2_S2_EEvbT1_lPT2_S5_jNS_24const_host_device_scalarIT6_EEPKS3_PKS4_PKT3_PKT4_S8_PT5_21rocsparse_index_base_b
		.amdhsa_group_segment_fixed_size 0
		.amdhsa_private_segment_fixed_size 0
		.amdhsa_kernarg_size 104
		.amdhsa_user_sgpr_count 2
		.amdhsa_user_sgpr_dispatch_ptr 0
		.amdhsa_user_sgpr_queue_ptr 0
		.amdhsa_user_sgpr_kernarg_segment_ptr 1
		.amdhsa_user_sgpr_dispatch_id 0
		.amdhsa_user_sgpr_kernarg_preload_length 0
		.amdhsa_user_sgpr_kernarg_preload_offset 0
		.amdhsa_user_sgpr_private_segment_size 0
		.amdhsa_wavefront_size32 1
		.amdhsa_uses_dynamic_stack 0
		.amdhsa_enable_private_segment 0
		.amdhsa_system_sgpr_workgroup_id_x 1
		.amdhsa_system_sgpr_workgroup_id_y 0
		.amdhsa_system_sgpr_workgroup_id_z 0
		.amdhsa_system_sgpr_workgroup_info 0
		.amdhsa_system_vgpr_workitem_id 0
		.amdhsa_next_free_vgpr 18
		.amdhsa_next_free_sgpr 12
		.amdhsa_named_barrier_count 0
		.amdhsa_reserve_vcc 1
		.amdhsa_float_round_mode_32 0
		.amdhsa_float_round_mode_16_64 0
		.amdhsa_float_denorm_mode_32 3
		.amdhsa_float_denorm_mode_16_64 3
		.amdhsa_fp16_overflow 0
		.amdhsa_memory_ordered 1
		.amdhsa_forward_progress 1
		.amdhsa_inst_pref_size 9
		.amdhsa_round_robin_scheduling 0
		.amdhsa_exception_fp_ieee_invalid_op 0
		.amdhsa_exception_fp_denorm_src 0
		.amdhsa_exception_fp_ieee_div_zero 0
		.amdhsa_exception_fp_ieee_overflow 0
		.amdhsa_exception_fp_ieee_underflow 0
		.amdhsa_exception_fp_ieee_inexact 0
		.amdhsa_exception_int_div_zero 0
	.end_amdhsa_kernel
	.section	.text._ZN9rocsparseL41csrmvn_lrb_medium_rows_warp_reduce_kernelILj256ELj64Eiif21rocsparse_complex_numIfES2_S2_EEvbT1_lPT2_S5_jNS_24const_host_device_scalarIT6_EEPKS3_PKS4_PKT3_PKT4_S8_PT5_21rocsparse_index_base_b,"axG",@progbits,_ZN9rocsparseL41csrmvn_lrb_medium_rows_warp_reduce_kernelILj256ELj64Eiif21rocsparse_complex_numIfES2_S2_EEvbT1_lPT2_S5_jNS_24const_host_device_scalarIT6_EEPKS3_PKS4_PKT3_PKT4_S8_PT5_21rocsparse_index_base_b,comdat
.Lfunc_end155:
	.size	_ZN9rocsparseL41csrmvn_lrb_medium_rows_warp_reduce_kernelILj256ELj64Eiif21rocsparse_complex_numIfES2_S2_EEvbT1_lPT2_S5_jNS_24const_host_device_scalarIT6_EEPKS3_PKS4_PKT3_PKT4_S8_PT5_21rocsparse_index_base_b, .Lfunc_end155-_ZN9rocsparseL41csrmvn_lrb_medium_rows_warp_reduce_kernelILj256ELj64Eiif21rocsparse_complex_numIfES2_S2_EEvbT1_lPT2_S5_jNS_24const_host_device_scalarIT6_EEPKS3_PKS4_PKT3_PKT4_S8_PT5_21rocsparse_index_base_b
                                        ; -- End function
	.set _ZN9rocsparseL41csrmvn_lrb_medium_rows_warp_reduce_kernelILj256ELj64Eiif21rocsparse_complex_numIfES2_S2_EEvbT1_lPT2_S5_jNS_24const_host_device_scalarIT6_EEPKS3_PKS4_PKT3_PKT4_S8_PT5_21rocsparse_index_base_b.num_vgpr, 18
	.set _ZN9rocsparseL41csrmvn_lrb_medium_rows_warp_reduce_kernelILj256ELj64Eiif21rocsparse_complex_numIfES2_S2_EEvbT1_lPT2_S5_jNS_24const_host_device_scalarIT6_EEPKS3_PKS4_PKT3_PKT4_S8_PT5_21rocsparse_index_base_b.num_agpr, 0
	.set _ZN9rocsparseL41csrmvn_lrb_medium_rows_warp_reduce_kernelILj256ELj64Eiif21rocsparse_complex_numIfES2_S2_EEvbT1_lPT2_S5_jNS_24const_host_device_scalarIT6_EEPKS3_PKS4_PKT3_PKT4_S8_PT5_21rocsparse_index_base_b.numbered_sgpr, 12
	.set _ZN9rocsparseL41csrmvn_lrb_medium_rows_warp_reduce_kernelILj256ELj64Eiif21rocsparse_complex_numIfES2_S2_EEvbT1_lPT2_S5_jNS_24const_host_device_scalarIT6_EEPKS3_PKS4_PKT3_PKT4_S8_PT5_21rocsparse_index_base_b.num_named_barrier, 0
	.set _ZN9rocsparseL41csrmvn_lrb_medium_rows_warp_reduce_kernelILj256ELj64Eiif21rocsparse_complex_numIfES2_S2_EEvbT1_lPT2_S5_jNS_24const_host_device_scalarIT6_EEPKS3_PKS4_PKT3_PKT4_S8_PT5_21rocsparse_index_base_b.private_seg_size, 0
	.set _ZN9rocsparseL41csrmvn_lrb_medium_rows_warp_reduce_kernelILj256ELj64Eiif21rocsparse_complex_numIfES2_S2_EEvbT1_lPT2_S5_jNS_24const_host_device_scalarIT6_EEPKS3_PKS4_PKT3_PKT4_S8_PT5_21rocsparse_index_base_b.uses_vcc, 1
	.set _ZN9rocsparseL41csrmvn_lrb_medium_rows_warp_reduce_kernelILj256ELj64Eiif21rocsparse_complex_numIfES2_S2_EEvbT1_lPT2_S5_jNS_24const_host_device_scalarIT6_EEPKS3_PKS4_PKT3_PKT4_S8_PT5_21rocsparse_index_base_b.uses_flat_scratch, 1
	.set _ZN9rocsparseL41csrmvn_lrb_medium_rows_warp_reduce_kernelILj256ELj64Eiif21rocsparse_complex_numIfES2_S2_EEvbT1_lPT2_S5_jNS_24const_host_device_scalarIT6_EEPKS3_PKS4_PKT3_PKT4_S8_PT5_21rocsparse_index_base_b.has_dyn_sized_stack, 0
	.set _ZN9rocsparseL41csrmvn_lrb_medium_rows_warp_reduce_kernelILj256ELj64Eiif21rocsparse_complex_numIfES2_S2_EEvbT1_lPT2_S5_jNS_24const_host_device_scalarIT6_EEPKS3_PKS4_PKT3_PKT4_S8_PT5_21rocsparse_index_base_b.has_recursion, 0
	.set _ZN9rocsparseL41csrmvn_lrb_medium_rows_warp_reduce_kernelILj256ELj64Eiif21rocsparse_complex_numIfES2_S2_EEvbT1_lPT2_S5_jNS_24const_host_device_scalarIT6_EEPKS3_PKS4_PKT3_PKT4_S8_PT5_21rocsparse_index_base_b.has_indirect_call, 0
	.section	.AMDGPU.csdata,"",@progbits
; Kernel info:
; codeLenInByte = 1104
; TotalNumSgprs: 14
; NumVgprs: 18
; ScratchSize: 0
; MemoryBound: 0
; FloatMode: 240
; IeeeMode: 1
; LDSByteSize: 0 bytes/workgroup (compile time only)
; SGPRBlocks: 0
; VGPRBlocks: 1
; NumSGPRsForWavesPerEU: 14
; NumVGPRsForWavesPerEU: 18
; NamedBarCnt: 0
; Occupancy: 16
; WaveLimiterHint : 1
; COMPUTE_PGM_RSRC2:SCRATCH_EN: 0
; COMPUTE_PGM_RSRC2:USER_SGPR: 2
; COMPUTE_PGM_RSRC2:TRAP_HANDLER: 0
; COMPUTE_PGM_RSRC2:TGID_X_EN: 1
; COMPUTE_PGM_RSRC2:TGID_Y_EN: 0
; COMPUTE_PGM_RSRC2:TGID_Z_EN: 0
; COMPUTE_PGM_RSRC2:TIDIG_COMP_CNT: 0
	.section	.text._ZN9rocsparseL29csrmvn_lrb_medium_rows_kernelILj256Eiif21rocsparse_complex_numIfES2_S2_EEvbT0_PT1_S5_jNS_24const_host_device_scalarIT5_EEPKS3_PKS4_PKT2_PKT3_S8_PT4_21rocsparse_index_base_b,"axG",@progbits,_ZN9rocsparseL29csrmvn_lrb_medium_rows_kernelILj256Eiif21rocsparse_complex_numIfES2_S2_EEvbT0_PT1_S5_jNS_24const_host_device_scalarIT5_EEPKS3_PKS4_PKT2_PKT3_S8_PT4_21rocsparse_index_base_b,comdat
	.globl	_ZN9rocsparseL29csrmvn_lrb_medium_rows_kernelILj256Eiif21rocsparse_complex_numIfES2_S2_EEvbT0_PT1_S5_jNS_24const_host_device_scalarIT5_EEPKS3_PKS4_PKT2_PKT3_S8_PT4_21rocsparse_index_base_b ; -- Begin function _ZN9rocsparseL29csrmvn_lrb_medium_rows_kernelILj256Eiif21rocsparse_complex_numIfES2_S2_EEvbT0_PT1_S5_jNS_24const_host_device_scalarIT5_EEPKS3_PKS4_PKT2_PKT3_S8_PT4_21rocsparse_index_base_b
	.p2align	8
	.type	_ZN9rocsparseL29csrmvn_lrb_medium_rows_kernelILj256Eiif21rocsparse_complex_numIfES2_S2_EEvbT0_PT1_S5_jNS_24const_host_device_scalarIT5_EEPKS3_PKS4_PKT2_PKT3_S8_PT4_21rocsparse_index_base_b,@function
_ZN9rocsparseL29csrmvn_lrb_medium_rows_kernelILj256Eiif21rocsparse_complex_numIfES2_S2_EEvbT0_PT1_S5_jNS_24const_host_device_scalarIT5_EEPKS3_PKS4_PKT2_PKT3_S8_PT4_21rocsparse_index_base_b: ; @_ZN9rocsparseL29csrmvn_lrb_medium_rows_kernelILj256Eiif21rocsparse_complex_numIfES2_S2_EEvbT0_PT1_S5_jNS_24const_host_device_scalarIT5_EEPKS3_PKS4_PKT2_PKT3_S8_PT4_21rocsparse_index_base_b
; %bb.0:
	s_clause 0x2
	s_load_b64 s[10:11], s[0:1], 0x58
	s_load_b64 s[2:3], s[0:1], 0x20
	;; [unrolled: 1-line block ×3, first 2 shown]
	v_mov_b32_e32 v5, 0
	s_add_nc_u64 s[6:7], s[0:1], 32
	s_add_nc_u64 s[8:9], s[0:1], 0x48
	s_wait_kmcnt 0x0
	s_bitcmp1_b32 s11, 0
	s_cselect_b32 s3, s7, s3
	s_cselect_b32 s2, s6, s2
	;; [unrolled: 1-line block ×4, first 2 shown]
	s_clause 0x1
	flat_load_b64 v[6:7], v5, s[2:3]
	flat_load_b64 v[2:3], v5, s[4:5]
	s_wait_loadcnt_dscnt 0x101
	s_wait_xcnt 0x1
	v_cmp_neq_f32_e64 s2, 0, v6
	v_cmp_neq_f32_e64 s3, 0, v7
	s_wait_loadcnt_dscnt 0x0
	v_cmp_neq_f32_e64 s4, 1.0, v2
	v_cmp_neq_f32_e32 vcc_lo, 0, v3
	s_or_b32 s2, s2, s3
	s_or_b32 s3, s4, vcc_lo
	s_delay_alu instid0(SALU_CYCLE_1) | instskip(NEXT) | instid1(SALU_CYCLE_1)
	s_or_b32 s2, s2, s3
	s_and_saveexec_b32 s3, s2
	s_cbranch_execz .LBB156_25
; %bb.1:
	s_clause 0x1
	s_load_b128 s[4:7], s[0:1], 0x8
	s_load_b32 s2, s[0:1], 0x18
	s_bfe_u32 s3, ttmp6, 0x4000c
	v_subrev_nc_u32_e32 v1, s10, v0
	s_add_co_i32 s3, s3, 1
	v_mov_b32_e32 v4, 0
	s_mul_i32 s3, ttmp9, s3
	s_wait_kmcnt 0x0
	s_load_b32 s2, s[6:7], s2 offset:0x0 scale_offset
	s_wait_xcnt 0x0
	s_and_b32 s6, ttmp6, 15
	s_getreg_b32 s7, hwreg(HW_REG_IB_STS2, 6, 4)
	s_add_co_i32 s6, s6, s3
	s_cmp_eq_u32 s7, 0
	s_cselect_b32 s3, ttmp9, s6
	s_wait_kmcnt 0x0
	s_add_co_i32 s2, s2, s3
	s_delay_alu instid0(SALU_CYCLE_1) | instskip(NEXT) | instid1(SALU_CYCLE_1)
	s_ashr_i32 s3, s2, 31
	s_lshl_b64 s[2:3], s[2:3], 2
	s_delay_alu instid0(SALU_CYCLE_1) | instskip(SKIP_4) | instid1(SALU_CYCLE_1)
	s_add_nc_u64 s[2:3], s[4:5], s[2:3]
	s_load_b32 s8, s[2:3], 0x0
	s_load_b64 s[4:5], s[0:1], 0x28
	s_wait_kmcnt 0x0
	s_ashr_i32 s9, s8, 31
	s_lshl_b64 s[2:3], s[8:9], 2
	s_delay_alu instid0(SALU_CYCLE_1)
	s_add_nc_u64 s[2:3], s[4:5], s[2:3]
	s_load_b64 s[4:5], s[2:3], 0x0
	s_wait_xcnt 0x0
	s_mov_b32 s3, exec_lo
	s_wait_kmcnt 0x0
	v_add_nc_u32_e32 v1, s4, v1
	s_sub_co_i32 s11, s5, s10
	s_delay_alu instid0(VALU_DEP_1) | instid1(SALU_CYCLE_1)
	v_cmpx_gt_i32_e64 s11, v1
	s_cbranch_execz .LBB156_5
; %bb.2:
	s_clause 0x1
	s_load_b128 s[4:7], s[0:1], 0x30
	s_load_b64 s[12:13], s[0:1], 0x40
	v_mov_b64_e32 v[4:5], 0x8000000000000000
	s_mov_b32 s14, 0
	s_delay_alu instid0(VALU_DEP_1) | instskip(NEXT) | instid1(VALU_DEP_1)
	v_pk_mul_f32 v[10:11], v[6:7], v[4:5]
	v_dual_mov_b32 v4, 0 :: v_dual_mov_b32 v8, v11
	s_delay_alu instid0(VALU_DEP_1)
	v_dual_mov_b32 v9, v10 :: v_dual_mov_b32 v5, v4
.LBB156_3:                              ; =>This Inner Loop Header: Depth=1
	s_wait_kmcnt 0x0
	s_clause 0x1
	global_load_b32 v11, v1, s[4:5] scale_offset
	global_load_b32 v10, v1, s[6:7] scale_offset
	s_wait_xcnt 0x0
	v_add_nc_u32_e32 v1, 0x100, v1
	s_delay_alu instid0(VALU_DEP_1)
	v_cmp_le_i32_e64 s2, s11, v1
	s_or_b32 s14, s2, s14
	s_wait_loadcnt 0x1
	v_subrev_nc_u32_e32 v11, s10, v11
	global_load_b64 v[12:13], v11, s[12:13] scale_offset
	s_wait_loadcnt 0x1
	s_wait_xcnt 0x0
	v_pk_fma_f32 v[10:11], v[6:7], v[10:11], v[8:9] op_sel_hi:[1,0,1]
	s_wait_loadcnt 0x0
	s_delay_alu instid0(VALU_DEP_1) | instskip(NEXT) | instid1(VALU_DEP_1)
	v_pk_fma_f32 v[4:5], v[10:11], v[12:13], v[4:5] op_sel_hi:[1,0,1]
	v_pk_fma_f32 v[4:5], v[10:11], v[12:13], v[4:5] op_sel:[1,1,0] op_sel_hi:[0,1,1] neg_lo:[1,0,0]
	s_and_not1_b32 exec_lo, exec_lo, s14
	s_cbranch_execnz .LBB156_3
; %bb.4:
	s_or_b32 exec_lo, exec_lo, s14
.LBB156_5:
	s_delay_alu instid0(SALU_CYCLE_1)
	s_or_b32 exec_lo, exec_lo, s3
	s_load_b64 s[2:3], s[0:1], 0x50
	v_lshlrev_b32_e32 v1, 3, v0
	s_wait_xcnt 0x0
	s_mov_b32 s1, exec_lo
	ds_store_b64 v1, v[4:5]
	s_wait_dscnt 0x0
	s_barrier_signal -1
	s_barrier_wait -1
	v_cmpx_gt_u32_e32 0x80, v0
	s_cbranch_execz .LBB156_7
; %bb.6:
	ds_load_2addr_stride64_b64 v[4:7], v1 offset1:2
	s_wait_dscnt 0x0
	v_pk_add_f32 v[4:5], v[6:7], v[4:5]
	ds_store_b64 v1, v[4:5]
.LBB156_7:
	s_or_b32 exec_lo, exec_lo, s1
	s_delay_alu instid0(SALU_CYCLE_1)
	s_mov_b32 s1, exec_lo
	s_wait_dscnt 0x0
	s_barrier_signal -1
	s_barrier_wait -1
	v_cmpx_gt_u32_e32 64, v0
	s_cbranch_execz .LBB156_9
; %bb.8:
	ds_load_2addr_stride64_b64 v[4:7], v1 offset1:1
	s_wait_dscnt 0x0
	v_pk_add_f32 v[4:5], v[6:7], v[4:5]
	ds_store_b64 v1, v[4:5]
.LBB156_9:
	s_or_b32 exec_lo, exec_lo, s1
	s_delay_alu instid0(SALU_CYCLE_1)
	s_mov_b32 s1, exec_lo
	s_wait_dscnt 0x0
	s_barrier_signal -1
	s_barrier_wait -1
	v_cmpx_gt_u32_e32 32, v0
	s_cbranch_execz .LBB156_11
; %bb.10:
	ds_load_2addr_b64 v[4:7], v1 offset1:32
	s_wait_dscnt 0x0
	v_pk_add_f32 v[4:5], v[6:7], v[4:5]
	ds_store_b64 v1, v[4:5]
.LBB156_11:
	s_or_b32 exec_lo, exec_lo, s1
	s_delay_alu instid0(SALU_CYCLE_1)
	s_mov_b32 s1, exec_lo
	s_wait_dscnt 0x0
	s_barrier_signal -1
	s_barrier_wait -1
	v_cmpx_gt_u32_e32 16, v0
	s_cbranch_execz .LBB156_13
; %bb.12:
	ds_load_2addr_b64 v[4:7], v1 offset1:16
	s_wait_dscnt 0x0
	v_pk_add_f32 v[4:5], v[6:7], v[4:5]
	ds_store_b64 v1, v[4:5]
.LBB156_13:
	;; [unrolled: 14-line block ×5, first 2 shown]
	s_or_b32 exec_lo, exec_lo, s1
	v_cmp_eq_u32_e64 s0, 0, v0
	s_wait_dscnt 0x0
	s_barrier_signal -1
	s_barrier_wait -1
	s_and_saveexec_b32 s1, s0
	s_cbranch_execz .LBB156_21
; %bb.20:
	v_mov_b32_e32 v8, 0
	ds_load_2addr_b64 v[4:7], v8 offset1:1
	s_wait_dscnt 0x0
	v_pk_add_f32 v[0:1], v[6:7], v[4:5]
	ds_store_b64 v8, v[0:1]
.LBB156_21:
	s_or_b32 exec_lo, exec_lo, s1
	s_wait_dscnt 0x0
	s_barrier_signal -1
	s_barrier_wait -1
	s_and_b32 exec_lo, exec_lo, s0
	s_cbranch_execz .LBB156_25
; %bb.22:
	v_mov_b32_e32 v4, 0
	v_cmp_neq_f32_e64 s0, 0, v2
	ds_load_b64 v[0:1], v4
	s_or_b32 s1, s0, vcc_lo
	s_delay_alu instid0(SALU_CYCLE_1)
	s_and_saveexec_b32 s0, s1
	s_cbranch_execz .LBB156_24
; %bb.23:
	s_lshl_b64 s[4:5], s[8:9], 3
	v_xor_b32_e32 v6, 0x80000000, v3
	s_wait_kmcnt 0x0
	s_add_nc_u64 s[4:5], s[2:3], s[4:5]
	v_mov_b32_e32 v7, v2
	s_load_b64 s[6:7], s[4:5], 0x0
	s_wait_dscnt 0x0
	s_wait_kmcnt 0x0
	v_pk_fma_f32 v[0:1], v[2:3], s[6:7], v[0:1] op_sel_hi:[1,0,1]
	v_mov_b64_e32 v[2:3], s[6:7]
	s_delay_alu instid0(VALU_DEP_1)
	v_pk_fma_f32 v[0:1], v[6:7], v[2:3], v[0:1] op_sel:[0,1,0]
.LBB156_24:
	s_or_b32 exec_lo, exec_lo, s0
	s_lshl_b64 s[0:1], s[8:9], 3
	s_wait_kmcnt 0x0
	s_add_nc_u64 s[0:1], s[2:3], s[0:1]
	s_wait_dscnt 0x0
	global_store_b64 v4, v[0:1], s[0:1]
.LBB156_25:
	s_endpgm
	.section	.rodata,"a",@progbits
	.p2align	6, 0x0
	.amdhsa_kernel _ZN9rocsparseL29csrmvn_lrb_medium_rows_kernelILj256Eiif21rocsparse_complex_numIfES2_S2_EEvbT0_PT1_S5_jNS_24const_host_device_scalarIT5_EEPKS3_PKS4_PKT2_PKT3_S8_PT4_21rocsparse_index_base_b
		.amdhsa_group_segment_fixed_size 2048
		.amdhsa_private_segment_fixed_size 0
		.amdhsa_kernarg_size 96
		.amdhsa_user_sgpr_count 2
		.amdhsa_user_sgpr_dispatch_ptr 0
		.amdhsa_user_sgpr_queue_ptr 0
		.amdhsa_user_sgpr_kernarg_segment_ptr 1
		.amdhsa_user_sgpr_dispatch_id 0
		.amdhsa_user_sgpr_kernarg_preload_length 0
		.amdhsa_user_sgpr_kernarg_preload_offset 0
		.amdhsa_user_sgpr_private_segment_size 0
		.amdhsa_wavefront_size32 1
		.amdhsa_uses_dynamic_stack 0
		.amdhsa_enable_private_segment 0
		.amdhsa_system_sgpr_workgroup_id_x 1
		.amdhsa_system_sgpr_workgroup_id_y 0
		.amdhsa_system_sgpr_workgroup_id_z 0
		.amdhsa_system_sgpr_workgroup_info 0
		.amdhsa_system_vgpr_workitem_id 0
		.amdhsa_next_free_vgpr 14
		.amdhsa_next_free_sgpr 15
		.amdhsa_named_barrier_count 0
		.amdhsa_reserve_vcc 1
		.amdhsa_float_round_mode_32 0
		.amdhsa_float_round_mode_16_64 0
		.amdhsa_float_denorm_mode_32 3
		.amdhsa_float_denorm_mode_16_64 3
		.amdhsa_fp16_overflow 0
		.amdhsa_memory_ordered 1
		.amdhsa_forward_progress 1
		.amdhsa_inst_pref_size 10
		.amdhsa_round_robin_scheduling 0
		.amdhsa_exception_fp_ieee_invalid_op 0
		.amdhsa_exception_fp_denorm_src 0
		.amdhsa_exception_fp_ieee_div_zero 0
		.amdhsa_exception_fp_ieee_overflow 0
		.amdhsa_exception_fp_ieee_underflow 0
		.amdhsa_exception_fp_ieee_inexact 0
		.amdhsa_exception_int_div_zero 0
	.end_amdhsa_kernel
	.section	.text._ZN9rocsparseL29csrmvn_lrb_medium_rows_kernelILj256Eiif21rocsparse_complex_numIfES2_S2_EEvbT0_PT1_S5_jNS_24const_host_device_scalarIT5_EEPKS3_PKS4_PKT2_PKT3_S8_PT4_21rocsparse_index_base_b,"axG",@progbits,_ZN9rocsparseL29csrmvn_lrb_medium_rows_kernelILj256Eiif21rocsparse_complex_numIfES2_S2_EEvbT0_PT1_S5_jNS_24const_host_device_scalarIT5_EEPKS3_PKS4_PKT2_PKT3_S8_PT4_21rocsparse_index_base_b,comdat
.Lfunc_end156:
	.size	_ZN9rocsparseL29csrmvn_lrb_medium_rows_kernelILj256Eiif21rocsparse_complex_numIfES2_S2_EEvbT0_PT1_S5_jNS_24const_host_device_scalarIT5_EEPKS3_PKS4_PKT2_PKT3_S8_PT4_21rocsparse_index_base_b, .Lfunc_end156-_ZN9rocsparseL29csrmvn_lrb_medium_rows_kernelILj256Eiif21rocsparse_complex_numIfES2_S2_EEvbT0_PT1_S5_jNS_24const_host_device_scalarIT5_EEPKS3_PKS4_PKT2_PKT3_S8_PT4_21rocsparse_index_base_b
                                        ; -- End function
	.set _ZN9rocsparseL29csrmvn_lrb_medium_rows_kernelILj256Eiif21rocsparse_complex_numIfES2_S2_EEvbT0_PT1_S5_jNS_24const_host_device_scalarIT5_EEPKS3_PKS4_PKT2_PKT3_S8_PT4_21rocsparse_index_base_b.num_vgpr, 14
	.set _ZN9rocsparseL29csrmvn_lrb_medium_rows_kernelILj256Eiif21rocsparse_complex_numIfES2_S2_EEvbT0_PT1_S5_jNS_24const_host_device_scalarIT5_EEPKS3_PKS4_PKT2_PKT3_S8_PT4_21rocsparse_index_base_b.num_agpr, 0
	.set _ZN9rocsparseL29csrmvn_lrb_medium_rows_kernelILj256Eiif21rocsparse_complex_numIfES2_S2_EEvbT0_PT1_S5_jNS_24const_host_device_scalarIT5_EEPKS3_PKS4_PKT2_PKT3_S8_PT4_21rocsparse_index_base_b.numbered_sgpr, 15
	.set _ZN9rocsparseL29csrmvn_lrb_medium_rows_kernelILj256Eiif21rocsparse_complex_numIfES2_S2_EEvbT0_PT1_S5_jNS_24const_host_device_scalarIT5_EEPKS3_PKS4_PKT2_PKT3_S8_PT4_21rocsparse_index_base_b.num_named_barrier, 0
	.set _ZN9rocsparseL29csrmvn_lrb_medium_rows_kernelILj256Eiif21rocsparse_complex_numIfES2_S2_EEvbT0_PT1_S5_jNS_24const_host_device_scalarIT5_EEPKS3_PKS4_PKT2_PKT3_S8_PT4_21rocsparse_index_base_b.private_seg_size, 0
	.set _ZN9rocsparseL29csrmvn_lrb_medium_rows_kernelILj256Eiif21rocsparse_complex_numIfES2_S2_EEvbT0_PT1_S5_jNS_24const_host_device_scalarIT5_EEPKS3_PKS4_PKT2_PKT3_S8_PT4_21rocsparse_index_base_b.uses_vcc, 1
	.set _ZN9rocsparseL29csrmvn_lrb_medium_rows_kernelILj256Eiif21rocsparse_complex_numIfES2_S2_EEvbT0_PT1_S5_jNS_24const_host_device_scalarIT5_EEPKS3_PKS4_PKT2_PKT3_S8_PT4_21rocsparse_index_base_b.uses_flat_scratch, 1
	.set _ZN9rocsparseL29csrmvn_lrb_medium_rows_kernelILj256Eiif21rocsparse_complex_numIfES2_S2_EEvbT0_PT1_S5_jNS_24const_host_device_scalarIT5_EEPKS3_PKS4_PKT2_PKT3_S8_PT4_21rocsparse_index_base_b.has_dyn_sized_stack, 0
	.set _ZN9rocsparseL29csrmvn_lrb_medium_rows_kernelILj256Eiif21rocsparse_complex_numIfES2_S2_EEvbT0_PT1_S5_jNS_24const_host_device_scalarIT5_EEPKS3_PKS4_PKT2_PKT3_S8_PT4_21rocsparse_index_base_b.has_recursion, 0
	.set _ZN9rocsparseL29csrmvn_lrb_medium_rows_kernelILj256Eiif21rocsparse_complex_numIfES2_S2_EEvbT0_PT1_S5_jNS_24const_host_device_scalarIT5_EEPKS3_PKS4_PKT2_PKT3_S8_PT4_21rocsparse_index_base_b.has_indirect_call, 0
	.section	.AMDGPU.csdata,"",@progbits
; Kernel info:
; codeLenInByte = 1228
; TotalNumSgprs: 17
; NumVgprs: 14
; ScratchSize: 0
; MemoryBound: 0
; FloatMode: 240
; IeeeMode: 1
; LDSByteSize: 2048 bytes/workgroup (compile time only)
; SGPRBlocks: 0
; VGPRBlocks: 0
; NumSGPRsForWavesPerEU: 17
; NumVGPRsForWavesPerEU: 14
; NamedBarCnt: 0
; Occupancy: 16
; WaveLimiterHint : 1
; COMPUTE_PGM_RSRC2:SCRATCH_EN: 0
; COMPUTE_PGM_RSRC2:USER_SGPR: 2
; COMPUTE_PGM_RSRC2:TRAP_HANDLER: 0
; COMPUTE_PGM_RSRC2:TGID_X_EN: 1
; COMPUTE_PGM_RSRC2:TGID_Y_EN: 0
; COMPUTE_PGM_RSRC2:TGID_Z_EN: 0
; COMPUTE_PGM_RSRC2:TIDIG_COMP_CNT: 0
	.section	.text._ZN9rocsparseL27csrmvn_lrb_long_rows_kernelIiif21rocsparse_complex_numIfES2_S2_EEvbT_PjPT0_S6_jNS_24const_host_device_scalarIT4_EEPKS3_PKS5_PKT1_PKT2_S9_PT3_21rocsparse_index_base_b,"axG",@progbits,_ZN9rocsparseL27csrmvn_lrb_long_rows_kernelIiif21rocsparse_complex_numIfES2_S2_EEvbT_PjPT0_S6_jNS_24const_host_device_scalarIT4_EEPKS3_PKS5_PKT1_PKT2_S9_PT3_21rocsparse_index_base_b,comdat
	.globl	_ZN9rocsparseL27csrmvn_lrb_long_rows_kernelIiif21rocsparse_complex_numIfES2_S2_EEvbT_PjPT0_S6_jNS_24const_host_device_scalarIT4_EEPKS3_PKS5_PKT1_PKT2_S9_PT3_21rocsparse_index_base_b ; -- Begin function _ZN9rocsparseL27csrmvn_lrb_long_rows_kernelIiif21rocsparse_complex_numIfES2_S2_EEvbT_PjPT0_S6_jNS_24const_host_device_scalarIT4_EEPKS3_PKS5_PKT1_PKT2_S9_PT3_21rocsparse_index_base_b
	.p2align	8
	.type	_ZN9rocsparseL27csrmvn_lrb_long_rows_kernelIiif21rocsparse_complex_numIfES2_S2_EEvbT_PjPT0_S6_jNS_24const_host_device_scalarIT4_EEPKS3_PKS5_PKT1_PKT2_S9_PT3_21rocsparse_index_base_b,@function
_ZN9rocsparseL27csrmvn_lrb_long_rows_kernelIiif21rocsparse_complex_numIfES2_S2_EEvbT_PjPT0_S6_jNS_24const_host_device_scalarIT4_EEPKS3_PKS5_PKT1_PKT2_S9_PT3_21rocsparse_index_base_b: ; @_ZN9rocsparseL27csrmvn_lrb_long_rows_kernelIiif21rocsparse_complex_numIfES2_S2_EEvbT_PjPT0_S6_jNS_24const_host_device_scalarIT4_EEPKS3_PKS5_PKT1_PKT2_S9_PT3_21rocsparse_index_base_b
; %bb.0:
	s_clause 0x2
	s_load_b64 s[16:17], s[0:1], 0x60
	s_load_b64 s[2:3], s[0:1], 0x28
	s_load_b64 s[4:5], s[0:1], 0x50
	v_mov_b32_e32 v1, 0
	s_add_nc_u64 s[6:7], s[0:1], 40
	s_wait_kmcnt 0x0
	s_bitcmp1_b32 s17, 0
	s_cselect_b32 s3, s7, s3
	s_cselect_b32 s2, s6, s2
	flat_load_b64 v[2:3], v1, s[2:3]
	s_wait_xcnt 0x0
	s_add_nc_u64 s[2:3], s[0:1], 0x50
	s_delay_alu instid0(SALU_CYCLE_1)
	s_cselect_b32 s3, s3, s5
	s_cselect_b32 s2, s2, s4
	flat_load_b64 v[4:5], v1, s[2:3]
	s_wait_loadcnt_dscnt 0x101
	v_cmp_eq_f32_e32 vcc_lo, 0, v2
	s_wait_xcnt 0x0
	v_cmp_eq_f32_e64 s2, 0, v3
	s_and_b32 s4, vcc_lo, s2
	s_mov_b32 s2, -1
	s_and_saveexec_b32 s3, s4
	s_cbranch_execz .LBB157_2
; %bb.1:
	s_wait_loadcnt_dscnt 0x0
	v_cmp_neq_f32_e32 vcc_lo, 1.0, v4
	v_cmp_neq_f32_e64 s2, 0, v5
	s_or_b32 s2, vcc_lo, s2
	s_delay_alu instid0(SALU_CYCLE_1)
	s_or_not1_b32 s2, s2, exec_lo
.LBB157_2:
	s_or_b32 exec_lo, exec_lo, s3
	s_and_saveexec_b32 s3, s2
	s_cbranch_execz .LBB157_38
; %bb.3:
	s_load_b96 s[4:6], s[0:1], 0x18
	s_bfe_u32 s8, ttmp6, 0x4000c
	s_and_b32 s7, ttmp6, 15
	s_add_co_i32 s8, s8, 1
	s_getreg_b32 s9, hwreg(HW_REG_IB_STS2, 6, 4)
	s_mul_i32 s8, ttmp9, s8
	v_mov_b64_e32 v[6:7], 0
	s_add_co_i32 s7, s7, s8
	s_wait_kmcnt 0x0
	s_lshl_b32 s2, -1, s6
	s_load_b32 s8, s[4:5], s6 offset:0x0 scale_offset
	s_not_b32 s2, s2
	s_delay_alu instid0(SALU_CYCLE_1) | instskip(NEXT) | instid1(SALU_CYCLE_1)
	s_mul_hi_u32 s2, s2, 0x2aaaaaab
	s_lshr_b32 s2, s2, 7
	s_delay_alu instid0(SALU_CYCLE_1) | instskip(SKIP_2) | instid1(SALU_CYCLE_3)
	s_add_co_i32 s20, s2, 1
	s_not_b32 s2, s2
	s_cvt_f32_u32 s3, s20
	v_rcp_iflag_f32_e32 v1, s3
	v_nop
	s_delay_alu instid0(TRANS32_DEP_1) | instskip(SKIP_1) | instid1(SALU_CYCLE_3)
	v_readfirstlane_b32 s3, v1
	s_mul_f32 s3, s3, 0x4f7ffffe
	s_cvt_u32_f32 s3, s3
	s_delay_alu instid0(SALU_CYCLE_3) | instskip(NEXT) | instid1(SALU_CYCLE_1)
	s_mul_i32 s2, s2, s3
	s_mul_hi_u32 s2, s3, s2
	s_delay_alu instid0(SALU_CYCLE_1)
	s_add_co_i32 s3, s3, s2
	s_cmp_eq_u32 s9, 0
	s_cselect_b32 s10, ttmp9, s7
	s_wait_xcnt 0x0
	s_load_b128 s[4:7], s[0:1], 0x8
	s_mul_hi_u32 s2, s10, s3
	s_delay_alu instid0(SALU_CYCLE_1) | instskip(SKIP_2) | instid1(SALU_CYCLE_1)
	s_mul_i32 s3, s2, s20
	s_add_co_i32 s9, s2, 1
	s_sub_co_i32 s3, s10, s3
	s_sub_co_i32 s11, s3, s20
	s_cmp_ge_u32 s3, s20
	s_cselect_b32 s2, s9, s2
	s_cselect_b32 s3, s11, s3
	s_add_co_i32 s9, s2, 1
	s_cmp_ge_u32 s3, s20
	s_cselect_b32 s21, s9, s2
	s_ashr_i32 s11, s10, 31
	s_wait_kmcnt 0x0
	s_add_co_i32 s2, s21, s8
	s_lshl_b64 s[14:15], s[10:11], 2
	s_ashr_i32 s3, s2, 31
	s_delay_alu instid0(SALU_CYCLE_1) | instskip(NEXT) | instid1(SALU_CYCLE_1)
	s_lshl_b64 s[2:3], s[2:3], 2
	s_add_nc_u64 s[8:9], s[6:7], s[2:3]
	s_load_b32 s2, s[8:9], 0x0
	s_clause 0x1
	s_load_b64 s[12:13], s[0:1], 0x30
	s_load_b64 s[6:7], s[0:1], 0x58
	s_wait_kmcnt 0x0
	s_ashr_i32 s3, s2, 31
	s_delay_alu instid0(SALU_CYCLE_1) | instskip(NEXT) | instid1(SALU_CYCLE_1)
	s_lshl_b64 s[8:9], s[2:3], 2
	s_add_nc_u64 s[18:19], s[12:13], s[8:9]
	s_add_nc_u64 s[12:13], s[4:5], s[14:15]
	s_load_b64 s[8:9], s[18:19], 0x0
	s_load_b32 s17, s[12:13], 0x0
	s_mul_i32 s14, s21, s20
	s_wait_xcnt 0x0
	s_mov_b32 s18, exec_lo
	s_sub_co_i32 s15, s10, s14
	s_delay_alu instid0(SALU_CYCLE_1) | instskip(NEXT) | instid1(VALU_DEP_1)
	v_or_b32_e32 v1, s15, v0
	v_cmpx_eq_u32_e32 0, v1
	s_cbranch_execz .LBB157_7
; %bb.4:
	s_lshl_b64 s[10:11], s[2:3], 3
	s_wait_loadcnt_dscnt 0x0
	v_add_f32_e32 v7, -1.0, v4
	s_add_nc_u64 s[20:21], s[6:7], s[10:11]
	v_xor_b32_e32 v6, 0x80000000, v5
	s_load_b64 s[10:11], s[20:21], 0x0
	s_mov_b32 s19, exec_lo
	v_mov_b32_e32 v4, v7
	v_mbcnt_lo_u32_b32 v1, s19, 0
	s_wait_xcnt 0x0
	s_mov_b32 s20, exec_lo
	global_wb scope:SCOPE_DEV
	s_wait_storecnt 0x0
	global_inv scope:SCOPE_DEV
	s_wait_kmcnt 0x0
	v_mov_b64_e32 v[8:9], s[10:11]
	s_delay_alu instid0(VALU_DEP_1)
	v_pk_mul_f32 v[6:7], v[8:9], v[6:7] op_sel:[1,0]
	v_cmpx_eq_u32_e32 0, v1
	s_cbranch_execz .LBB157_6
; %bb.5:
	s_bcnt1_i32_b32 s19, s19
	s_delay_alu instid0(SALU_CYCLE_1) | instskip(NEXT) | instid1(SALU_CYCLE_1)
	s_and_b32 s19, s19, 1
	v_dual_mov_b32 v1, s14 :: v_dual_mov_b32 v8, s19
	global_atomic_xor_b32 v1, v8, s[4:5] scale_offset scope:SCOPE_DEV
.LBB157_6:
	s_wait_xcnt 0x0
	s_or_b32 exec_lo, exec_lo, s20
	v_pk_fma_f32 v[6:7], v[4:5], s[10:11], v[6:7] op_sel_hi:[1,0,1]
.LBB157_7:
	s_or_b32 exec_lo, exec_lo, s18
	s_mul_i32 s10, s15, 0x300
	s_wait_kmcnt 0x0
	s_sub_co_i32 s9, s9, s16
	s_sub_co_i32 s10, s10, s16
	s_mov_b32 s20, exec_lo
	s_add_co_i32 s8, s10, s8
	s_delay_alu instid0(SALU_CYCLE_1) | instskip(SKIP_1) | instid1(SALU_CYCLE_1)
	v_add_nc_u32_e32 v1, s8, v0
	s_addk_co_i32 s8, 0x300
	s_min_i32 s21, s8, s9
	s_delay_alu instid0(VALU_DEP_1) | instid1(SALU_CYCLE_1)
	v_cmpx_gt_i32_e64 s21, v1
	s_cbranch_execz .LBB157_11
; %bb.8:
	s_clause 0x1
	s_load_b64 s[18:19], s[0:1], 0x48
	s_load_b128 s[8:11], s[0:1], 0x38
	s_wait_loadcnt_dscnt 0x0
	v_mov_b64_e32 v[4:5], 0x8000000000000000
	s_wait_xcnt 0x0
	s_mov_b32 s0, 0
	s_delay_alu instid0(VALU_DEP_1) | instskip(NEXT) | instid1(VALU_DEP_1)
	v_pk_mul_f32 v[8:9], v[2:3], v[4:5]
	v_dual_mov_b32 v4, v9 :: v_dual_mov_b32 v5, v8
.LBB157_9:                              ; =>This Inner Loop Header: Depth=1
	s_wait_kmcnt 0x0
	s_clause 0x1
	global_load_b32 v9, v1, s[8:9] scale_offset
	global_load_b32 v8, v1, s[10:11] scale_offset
	s_wait_xcnt 0x0
	v_add_nc_u32_e32 v1, 0x100, v1
	s_delay_alu instid0(VALU_DEP_1)
	v_cmp_le_i32_e32 vcc_lo, s21, v1
	s_or_b32 s0, vcc_lo, s0
	s_wait_loadcnt 0x1
	v_subrev_nc_u32_e32 v9, s16, v9
	global_load_b64 v[10:11], v9, s[18:19] scale_offset
	s_wait_loadcnt 0x1
	s_wait_xcnt 0x0
	v_pk_fma_f32 v[8:9], v[2:3], v[8:9], v[4:5] op_sel_hi:[1,0,1]
	s_wait_loadcnt 0x0
	s_delay_alu instid0(VALU_DEP_1) | instskip(NEXT) | instid1(VALU_DEP_1)
	v_pk_fma_f32 v[6:7], v[8:9], v[10:11], v[6:7] op_sel_hi:[1,0,1]
	v_pk_fma_f32 v[6:7], v[8:9], v[10:11], v[6:7] op_sel:[1,1,0] op_sel_hi:[0,1,1] neg_lo:[1,0,0]
	s_and_not1_b32 exec_lo, exec_lo, s0
	s_cbranch_execnz .LBB157_9
; %bb.10:
	s_or_b32 exec_lo, exec_lo, s0
.LBB157_11:
	s_delay_alu instid0(SALU_CYCLE_1)
	s_or_b32 exec_lo, exec_lo, s20
	v_lshlrev_b32_e32 v1, 3, v0
	s_mov_b32 s0, exec_lo
	ds_store_b64 v1, v[6:7]
	s_wait_storecnt 0x0
	s_wait_loadcnt_dscnt 0x0
	s_barrier_signal -1
	s_barrier_wait -1
	v_cmpx_gt_u32_e32 0x80, v0
	s_cbranch_execz .LBB157_13
; %bb.12:
	ds_load_2addr_stride64_b64 v[2:5], v1 offset1:2
	s_wait_dscnt 0x0
	v_pk_add_f32 v[2:3], v[4:5], v[2:3]
	ds_store_b64 v1, v[2:3]
.LBB157_13:
	s_or_b32 exec_lo, exec_lo, s0
	s_delay_alu instid0(SALU_CYCLE_1)
	s_mov_b32 s0, exec_lo
	s_wait_dscnt 0x0
	s_barrier_signal -1
	s_barrier_wait -1
	v_cmpx_gt_u32_e32 64, v0
	s_cbranch_execz .LBB157_15
; %bb.14:
	ds_load_2addr_stride64_b64 v[2:5], v1 offset1:1
	s_wait_dscnt 0x0
	v_pk_add_f32 v[2:3], v[4:5], v[2:3]
	ds_store_b64 v1, v[2:3]
.LBB157_15:
	s_or_b32 exec_lo, exec_lo, s0
	s_delay_alu instid0(SALU_CYCLE_1)
	s_mov_b32 s0, exec_lo
	s_wait_dscnt 0x0
	s_barrier_signal -1
	s_barrier_wait -1
	v_cmpx_gt_u32_e32 32, v0
	s_cbranch_execz .LBB157_17
; %bb.16:
	ds_load_2addr_b64 v[2:5], v1 offset1:32
	s_wait_dscnt 0x0
	v_pk_add_f32 v[2:3], v[4:5], v[2:3]
	ds_store_b64 v1, v[2:3]
.LBB157_17:
	s_or_b32 exec_lo, exec_lo, s0
	s_delay_alu instid0(SALU_CYCLE_1)
	s_mov_b32 s0, exec_lo
	s_wait_dscnt 0x0
	s_barrier_signal -1
	s_barrier_wait -1
	v_cmpx_gt_u32_e32 16, v0
	s_cbranch_execz .LBB157_19
; %bb.18:
	ds_load_2addr_b64 v[2:5], v1 offset1:16
	s_wait_dscnt 0x0
	v_pk_add_f32 v[2:3], v[4:5], v[2:3]
	ds_store_b64 v1, v[2:3]
.LBB157_19:
	;; [unrolled: 14-line block ×5, first 2 shown]
	s_or_b32 exec_lo, exec_lo, s0
	v_cmp_eq_u32_e32 vcc_lo, 0, v0
	s_wait_dscnt 0x0
	s_barrier_signal -1
	s_barrier_wait -1
	s_and_saveexec_b32 s0, vcc_lo
	s_cbranch_execz .LBB157_27
; %bb.26:
	v_mov_b32_e32 v4, 0
	ds_load_2addr_b64 v[0:3], v4 offset1:1
	s_wait_dscnt 0x0
	v_pk_add_f32 v[0:1], v[2:3], v[0:1]
	ds_store_b64 v4, v[0:1]
.LBB157_27:
	s_or_b32 exec_lo, exec_lo, s0
	s_wait_dscnt 0x0
	s_barrier_signal -1
	s_barrier_wait -1
	s_and_b32 exec_lo, exec_lo, vcc_lo
	s_cbranch_execz .LBB157_38
; %bb.28:
	s_cmp_eq_u32 s15, 0
	s_cbranch_scc1 .LBB157_34
; %bb.29:
	s_ashr_i32 s15, s14, 31
	v_mov_b32_e32 v0, 0
	s_lshl_b64 s[0:1], s[14:15], 2
	s_delay_alu instid0(SALU_CYCLE_1)
	s_add_nc_u64 s[0:1], s[4:5], s[0:1]
	s_branch .LBB157_31
.LBB157_30:                             ;   in Loop: Header=BB157_31 Depth=1
	s_wait_xcnt 0x0
	s_or_b32 exec_lo, exec_lo, s4
	s_wait_loadcnt 0x0
	v_readfirstlane_b32 s4, v1
	s_cmp_eq_u32 s4, s17
	s_cbranch_scc0 .LBB157_33
.LBB157_31:                             ; =>This Inner Loop Header: Depth=1
	v_mbcnt_lo_u32_b32 v1, exec_lo, 0
	s_delay_alu instid0(VALU_DEP_1)
	v_cmp_eq_u32_e32 vcc_lo, 0, v1
                                        ; implicit-def: $vgpr1
	s_and_saveexec_b32 s4, vcc_lo
	s_cbranch_execz .LBB157_30
; %bb.32:                               ;   in Loop: Header=BB157_31 Depth=1
	global_load_b32 v1, v0, s[0:1] scope:SCOPE_DEV
	s_branch .LBB157_30
.LBB157_33:
	v_mov_b32_e32 v0, 0
	global_load_u16 v1, v0, s[12:13]
	s_wait_loadcnt 0x0
	v_xor_b32_e32 v1, 1, v1
	global_store_b16 v0, v1, s[12:13]
.LBB157_34:
	v_mov_b32_e32 v2, 0
	s_mov_b32 s4, exec_lo
	s_lshl_b64 s[0:1], s[2:3], 3
	v_mbcnt_lo_u32_b32 v3, s4, 0
	s_add_nc_u64 s[0:1], s[6:7], s[0:1]
	s_wait_xcnt 0x0
	ds_load_b64 v[0:1], v2
	s_mov_b32 s2, exec_lo
	v_cmpx_eq_u32_e32 0, v3
	s_cbranch_execz .LBB157_36
; %bb.35:
	s_bcnt1_i32_b32 s3, s4
	s_delay_alu instid0(SALU_CYCLE_1) | instskip(SKIP_1) | instid1(VALU_DEP_1)
	v_cvt_f32_ubyte0_e32 v3, s3
	s_wait_dscnt 0x0
	v_mul_f32_e32 v0, v0, v3
	global_atomic_add_f32 v2, v0, s[0:1] scope:SCOPE_DEV
.LBB157_36:
	s_wait_xcnt 0x0
	s_or_b32 exec_lo, exec_lo, s2
	s_delay_alu instid0(SALU_CYCLE_1) | instskip(SKIP_2) | instid1(VALU_DEP_1)
	s_mov_b32 s2, exec_lo
	s_wait_dscnt 0x0
	v_mbcnt_lo_u32_b32 v0, s2, 0
	v_cmp_eq_u32_e32 vcc_lo, 0, v0
	s_and_b32 s3, exec_lo, vcc_lo
	s_delay_alu instid0(SALU_CYCLE_1)
	s_mov_b32 exec_lo, s3
	s_cbranch_execz .LBB157_38
; %bb.37:
	s_bcnt1_i32_b32 s2, s2
	s_delay_alu instid0(SALU_CYCLE_1) | instskip(NEXT) | instid1(VALU_DEP_1)
	v_cvt_f32_ubyte0_e32 v0, s2
	v_dual_mul_f32 v0, v1, v0 :: v_dual_mov_b32 v1, 0
	global_atomic_add_f32 v1, v0, s[0:1] offset:4 scope:SCOPE_DEV
.LBB157_38:
	s_endpgm
	.section	.rodata,"a",@progbits
	.p2align	6, 0x0
	.amdhsa_kernel _ZN9rocsparseL27csrmvn_lrb_long_rows_kernelIiif21rocsparse_complex_numIfES2_S2_EEvbT_PjPT0_S6_jNS_24const_host_device_scalarIT4_EEPKS3_PKS5_PKT1_PKT2_S9_PT3_21rocsparse_index_base_b
		.amdhsa_group_segment_fixed_size 2048
		.amdhsa_private_segment_fixed_size 0
		.amdhsa_kernarg_size 104
		.amdhsa_user_sgpr_count 2
		.amdhsa_user_sgpr_dispatch_ptr 0
		.amdhsa_user_sgpr_queue_ptr 0
		.amdhsa_user_sgpr_kernarg_segment_ptr 1
		.amdhsa_user_sgpr_dispatch_id 0
		.amdhsa_user_sgpr_kernarg_preload_length 0
		.amdhsa_user_sgpr_kernarg_preload_offset 0
		.amdhsa_user_sgpr_private_segment_size 0
		.amdhsa_wavefront_size32 1
		.amdhsa_uses_dynamic_stack 0
		.amdhsa_enable_private_segment 0
		.amdhsa_system_sgpr_workgroup_id_x 1
		.amdhsa_system_sgpr_workgroup_id_y 0
		.amdhsa_system_sgpr_workgroup_id_z 0
		.amdhsa_system_sgpr_workgroup_info 0
		.amdhsa_system_vgpr_workitem_id 0
		.amdhsa_next_free_vgpr 12
		.amdhsa_next_free_sgpr 22
		.amdhsa_named_barrier_count 0
		.amdhsa_reserve_vcc 1
		.amdhsa_float_round_mode_32 0
		.amdhsa_float_round_mode_16_64 0
		.amdhsa_float_denorm_mode_32 3
		.amdhsa_float_denorm_mode_16_64 3
		.amdhsa_fp16_overflow 0
		.amdhsa_memory_ordered 1
		.amdhsa_forward_progress 1
		.amdhsa_inst_pref_size 14
		.amdhsa_round_robin_scheduling 0
		.amdhsa_exception_fp_ieee_invalid_op 0
		.amdhsa_exception_fp_denorm_src 0
		.amdhsa_exception_fp_ieee_div_zero 0
		.amdhsa_exception_fp_ieee_overflow 0
		.amdhsa_exception_fp_ieee_underflow 0
		.amdhsa_exception_fp_ieee_inexact 0
		.amdhsa_exception_int_div_zero 0
	.end_amdhsa_kernel
	.section	.text._ZN9rocsparseL27csrmvn_lrb_long_rows_kernelIiif21rocsparse_complex_numIfES2_S2_EEvbT_PjPT0_S6_jNS_24const_host_device_scalarIT4_EEPKS3_PKS5_PKT1_PKT2_S9_PT3_21rocsparse_index_base_b,"axG",@progbits,_ZN9rocsparseL27csrmvn_lrb_long_rows_kernelIiif21rocsparse_complex_numIfES2_S2_EEvbT_PjPT0_S6_jNS_24const_host_device_scalarIT4_EEPKS3_PKS5_PKT1_PKT2_S9_PT3_21rocsparse_index_base_b,comdat
.Lfunc_end157:
	.size	_ZN9rocsparseL27csrmvn_lrb_long_rows_kernelIiif21rocsparse_complex_numIfES2_S2_EEvbT_PjPT0_S6_jNS_24const_host_device_scalarIT4_EEPKS3_PKS5_PKT1_PKT2_S9_PT3_21rocsparse_index_base_b, .Lfunc_end157-_ZN9rocsparseL27csrmvn_lrb_long_rows_kernelIiif21rocsparse_complex_numIfES2_S2_EEvbT_PjPT0_S6_jNS_24const_host_device_scalarIT4_EEPKS3_PKS5_PKT1_PKT2_S9_PT3_21rocsparse_index_base_b
                                        ; -- End function
	.set _ZN9rocsparseL27csrmvn_lrb_long_rows_kernelIiif21rocsparse_complex_numIfES2_S2_EEvbT_PjPT0_S6_jNS_24const_host_device_scalarIT4_EEPKS3_PKS5_PKT1_PKT2_S9_PT3_21rocsparse_index_base_b.num_vgpr, 12
	.set _ZN9rocsparseL27csrmvn_lrb_long_rows_kernelIiif21rocsparse_complex_numIfES2_S2_EEvbT_PjPT0_S6_jNS_24const_host_device_scalarIT4_EEPKS3_PKS5_PKT1_PKT2_S9_PT3_21rocsparse_index_base_b.num_agpr, 0
	.set _ZN9rocsparseL27csrmvn_lrb_long_rows_kernelIiif21rocsparse_complex_numIfES2_S2_EEvbT_PjPT0_S6_jNS_24const_host_device_scalarIT4_EEPKS3_PKS5_PKT1_PKT2_S9_PT3_21rocsparse_index_base_b.numbered_sgpr, 22
	.set _ZN9rocsparseL27csrmvn_lrb_long_rows_kernelIiif21rocsparse_complex_numIfES2_S2_EEvbT_PjPT0_S6_jNS_24const_host_device_scalarIT4_EEPKS3_PKS5_PKT1_PKT2_S9_PT3_21rocsparse_index_base_b.num_named_barrier, 0
	.set _ZN9rocsparseL27csrmvn_lrb_long_rows_kernelIiif21rocsparse_complex_numIfES2_S2_EEvbT_PjPT0_S6_jNS_24const_host_device_scalarIT4_EEPKS3_PKS5_PKT1_PKT2_S9_PT3_21rocsparse_index_base_b.private_seg_size, 0
	.set _ZN9rocsparseL27csrmvn_lrb_long_rows_kernelIiif21rocsparse_complex_numIfES2_S2_EEvbT_PjPT0_S6_jNS_24const_host_device_scalarIT4_EEPKS3_PKS5_PKT1_PKT2_S9_PT3_21rocsparse_index_base_b.uses_vcc, 1
	.set _ZN9rocsparseL27csrmvn_lrb_long_rows_kernelIiif21rocsparse_complex_numIfES2_S2_EEvbT_PjPT0_S6_jNS_24const_host_device_scalarIT4_EEPKS3_PKS5_PKT1_PKT2_S9_PT3_21rocsparse_index_base_b.uses_flat_scratch, 0
	.set _ZN9rocsparseL27csrmvn_lrb_long_rows_kernelIiif21rocsparse_complex_numIfES2_S2_EEvbT_PjPT0_S6_jNS_24const_host_device_scalarIT4_EEPKS3_PKS5_PKT1_PKT2_S9_PT3_21rocsparse_index_base_b.has_dyn_sized_stack, 0
	.set _ZN9rocsparseL27csrmvn_lrb_long_rows_kernelIiif21rocsparse_complex_numIfES2_S2_EEvbT_PjPT0_S6_jNS_24const_host_device_scalarIT4_EEPKS3_PKS5_PKT1_PKT2_S9_PT3_21rocsparse_index_base_b.has_recursion, 0
	.set _ZN9rocsparseL27csrmvn_lrb_long_rows_kernelIiif21rocsparse_complex_numIfES2_S2_EEvbT_PjPT0_S6_jNS_24const_host_device_scalarIT4_EEPKS3_PKS5_PKT1_PKT2_S9_PT3_21rocsparse_index_base_b.has_indirect_call, 0
	.section	.AMDGPU.csdata,"",@progbits
; Kernel info:
; codeLenInByte = 1752
; TotalNumSgprs: 24
; NumVgprs: 12
; ScratchSize: 0
; MemoryBound: 0
; FloatMode: 240
; IeeeMode: 1
; LDSByteSize: 2048 bytes/workgroup (compile time only)
; SGPRBlocks: 0
; VGPRBlocks: 0
; NumSGPRsForWavesPerEU: 24
; NumVGPRsForWavesPerEU: 12
; NamedBarCnt: 0
; Occupancy: 16
; WaveLimiterHint : 1
; COMPUTE_PGM_RSRC2:SCRATCH_EN: 0
; COMPUTE_PGM_RSRC2:USER_SGPR: 2
; COMPUTE_PGM_RSRC2:TRAP_HANDLER: 0
; COMPUTE_PGM_RSRC2:TGID_X_EN: 1
; COMPUTE_PGM_RSRC2:TGID_Y_EN: 0
; COMPUTE_PGM_RSRC2:TGID_Z_EN: 0
; COMPUTE_PGM_RSRC2:TIDIG_COMP_CNT: 0
	.section	.text._ZN9rocsparseL28csrmvn_lrb_short_rows_kernelIlif21rocsparse_complex_numIfES2_S2_EEvbT_PT0_S5_jNS_24const_host_device_scalarIT4_EEPKS3_PKS4_PKT1_PKT2_S8_PT3_21rocsparse_index_base_b,"axG",@progbits,_ZN9rocsparseL28csrmvn_lrb_short_rows_kernelIlif21rocsparse_complex_numIfES2_S2_EEvbT_PT0_S5_jNS_24const_host_device_scalarIT4_EEPKS3_PKS4_PKT1_PKT2_S8_PT3_21rocsparse_index_base_b,comdat
	.globl	_ZN9rocsparseL28csrmvn_lrb_short_rows_kernelIlif21rocsparse_complex_numIfES2_S2_EEvbT_PT0_S5_jNS_24const_host_device_scalarIT4_EEPKS3_PKS4_PKT1_PKT2_S8_PT3_21rocsparse_index_base_b ; -- Begin function _ZN9rocsparseL28csrmvn_lrb_short_rows_kernelIlif21rocsparse_complex_numIfES2_S2_EEvbT_PT0_S5_jNS_24const_host_device_scalarIT4_EEPKS3_PKS4_PKT1_PKT2_S8_PT3_21rocsparse_index_base_b
	.p2align	8
	.type	_ZN9rocsparseL28csrmvn_lrb_short_rows_kernelIlif21rocsparse_complex_numIfES2_S2_EEvbT_PT0_S5_jNS_24const_host_device_scalarIT4_EEPKS3_PKS4_PKT1_PKT2_S8_PT3_21rocsparse_index_base_b,@function
_ZN9rocsparseL28csrmvn_lrb_short_rows_kernelIlif21rocsparse_complex_numIfES2_S2_EEvbT_PT0_S5_jNS_24const_host_device_scalarIT4_EEPKS3_PKS4_PKT1_PKT2_S8_PT3_21rocsparse_index_base_b: ; @_ZN9rocsparseL28csrmvn_lrb_short_rows_kernelIlif21rocsparse_complex_numIfES2_S2_EEvbT_PT0_S5_jNS_24const_host_device_scalarIT4_EEPKS3_PKS4_PKT1_PKT2_S8_PT3_21rocsparse_index_base_b
; %bb.0:
	s_clause 0x2
	s_load_b64 s[16:17], s[0:1], 0x60
	s_load_b64 s[2:3], s[0:1], 0x28
	;; [unrolled: 1-line block ×3, first 2 shown]
	v_mov_b32_e32 v1, 0
	s_add_nc_u64 s[6:7], s[0:1], 40
	s_add_nc_u64 s[8:9], s[0:1], 0x50
	s_wait_kmcnt 0x0
	s_bitcmp1_b32 s17, 0
	s_cselect_b32 s3, s7, s3
	s_cselect_b32 s2, s6, s2
	;; [unrolled: 1-line block ×4, first 2 shown]
	s_clause 0x1
	flat_load_b64 v[8:9], v1, s[2:3]
	flat_load_b64 v[6:7], v1, s[4:5]
	s_wait_loadcnt_dscnt 0x101
	s_wait_xcnt 0x1
	v_cmp_neq_f32_e64 s2, 0, v8
	v_cmp_neq_f32_e64 s3, 0, v9
	s_wait_loadcnt_dscnt 0x0
	v_cmp_neq_f32_e64 s4, 1.0, v6
	v_cmp_neq_f32_e32 vcc_lo, 0, v7
	s_or_b32 s2, s2, s3
	s_or_b32 s3, s4, vcc_lo
	s_delay_alu instid0(SALU_CYCLE_1) | instskip(NEXT) | instid1(SALU_CYCLE_1)
	s_or_b32 s2, s2, s3
	s_and_saveexec_b32 s3, s2
	s_cbranch_execz .LBB158_15
; %bb.1:
	s_clause 0x1
	s_load_b32 s18, s[0:1], 0x20
	s_load_b128 s[12:15], s[0:1], 0x10
	s_and_b32 s5, ttmp6, 15
	s_getreg_b32 s6, hwreg(HW_REG_IB_STS2, 6, 4)
	s_wait_kmcnt 0x0
	s_add_co_i32 s2, s18, 1
	s_clause 0x1
	s_load_b32 s3, s[14:15], s18 offset:0x0 scale_offset
	s_load_b32 s4, s[14:15], s2 offset:0x0 scale_offset
	s_wait_xcnt 0x0
	s_bfe_u32 s2, ttmp6, 0x4000c
	s_delay_alu instid0(SALU_CYCLE_1) | instskip(NEXT) | instid1(SALU_CYCLE_1)
	s_add_co_i32 s2, s2, 1
	s_mul_i32 s2, ttmp9, s2
	s_delay_alu instid0(SALU_CYCLE_1) | instskip(SKIP_4) | instid1(SALU_CYCLE_1)
	s_add_co_i32 s5, s5, s2
	s_wait_kmcnt 0x0
	s_sub_co_i32 s4, s4, s3
	s_cmp_eq_u32 s6, 0
	s_cselect_b32 s2, ttmp9, s5
	s_lshl_b32 s14, s2, 8
	s_delay_alu instid0(SALU_CYCLE_1) | instskip(NEXT) | instid1(SALU_CYCLE_1)
	s_add_co_i32 s2, s14, 0x100
	s_min_u32 s15, s4, s2
	s_cmp_gt_u32 s18, 23
	s_cbranch_scc1 .LBB158_9
; %bb.2:
	s_load_b256 s[4:11], s[0:1], 0x30
	v_mov_b64_e32 v[2:3], 0x8000000000000000
	v_bfe_u32 v10, v0, 0, s18
	v_lshl_add_u32 v1, v0, 3, 0
	s_mov_b32 s17, 0
	s_lshl_b32 s19, 0x100, s18
	s_mov_b32 s20, s17
	s_delay_alu instid0(VALU_DEP_3) | instskip(NEXT) | instid1(VALU_DEP_1)
	v_pk_mul_f32 v[2:3], v[8:9], v[2:3]
	v_dual_mov_b32 v11, 0 :: v_dual_mov_b32 v12, v3
	s_delay_alu instid0(VALU_DEP_2)
	v_mov_b32_e32 v13, v2
	s_branch .LBB158_4
.LBB158_3:                              ;   in Loop: Header=BB158_4 Depth=1
	s_or_b32 exec_lo, exec_lo, s21
	v_add_nc_u32_e32 v1, 0x800, v1
	s_addk_co_i32 s20, 0x100
	s_delay_alu instid0(SALU_CYCLE_1)
	s_cmp_ge_u32 s20, s19
	s_cbranch_scc1 .LBB158_9
.LBB158_4:                              ; =>This Inner Loop Header: Depth=1
	v_add_nc_u32_e32 v2, s20, v0
	s_mov_b32 s21, exec_lo
	s_delay_alu instid0(VALU_DEP_1) | instskip(NEXT) | instid1(VALU_DEP_1)
	v_lshrrev_b32_e32 v2, s18, v2
	v_add_nc_u32_e32 v2, s14, v2
	s_delay_alu instid0(VALU_DEP_1)
	v_cmpx_gt_u32_e64 s15, v2
	s_cbranch_execz .LBB158_3
; %bb.5:                                ;   in Loop: Header=BB158_4 Depth=1
	v_add_nc_u32_e32 v2, s3, v2
	global_load_b32 v2, v2, s[12:13] scale_offset
	s_wait_loadcnt 0x0
	v_ashrrev_i32_e32 v3, 31, v2
	s_wait_kmcnt 0x0
	s_wait_xcnt 0x0
	s_delay_alu instid0(VALU_DEP_1) | instskip(SKIP_3) | instid1(VALU_DEP_1)
	v_lshl_add_u64 v[2:3], v[2:3], 3, s[4:5]
	global_load_b128 v[2:5], v[2:3], off
	s_wait_loadcnt 0x0
	v_sub_nc_u64_e32 v[4:5], v[4:5], v[2:3]
	v_cmp_le_i64_e64 s2, v[4:5], v[10:11]
	s_wait_xcnt 0x0
	s_and_saveexec_b32 s22, s2
	s_delay_alu instid0(SALU_CYCLE_1)
	s_xor_b32 s2, exec_lo, s22
; %bb.6:                                ;   in Loop: Header=BB158_4 Depth=1
	ds_store_2addr_b32 v1, v11, v11 offset1:1
                                        ; implicit-def: $vgpr2_vgpr3
; %bb.7:                                ;   in Loop: Header=BB158_4 Depth=1
	s_and_not1_saveexec_b32 s2, s2
	s_cbranch_execz .LBB158_3
; %bb.8:                                ;   in Loop: Header=BB158_4 Depth=1
	v_sub_nc_u64_e64 v[2:3], v[2:3], s[16:17]
	s_delay_alu instid0(VALU_DEP_1) | instskip(NEXT) | instid1(VALU_DEP_1)
	v_add_nc_u64_e32 v[2:3], v[2:3], v[10:11]
	v_lshlrev_b64_e32 v[2:3], 2, v[2:3]
	s_delay_alu instid0(VALU_DEP_1)
	v_add_nc_u64_e32 v[4:5], s[6:7], v[2:3]
	v_add_nc_u64_e32 v[2:3], s[8:9], v[2:3]
	global_load_b32 v4, v[4:5], off
	global_load_b32 v2, v[2:3], off
	s_wait_loadcnt 0x1
	s_wait_xcnt 0x0
	v_subrev_nc_u32_e32 v3, s16, v4
	global_load_b64 v[4:5], v3, s[10:11] scale_offset
	s_wait_loadcnt 0x1
	s_wait_xcnt 0x0
	v_pk_fma_f32 v[2:3], v[8:9], v[2:3], v[12:13] op_sel_hi:[1,0,1]
	s_wait_loadcnt 0x0
	s_delay_alu instid0(VALU_DEP_1) | instskip(NEXT) | instid1(VALU_DEP_1)
	v_pk_mul_f32 v[14:15], v[4:5], v[2:3] op_sel:[1,1] op_sel_hi:[1,0] neg_lo:[0,1]
	v_pk_fma_f32 v[2:3], v[2:3], v[4:5], v[14:15] op_sel_hi:[1,0,1]
	ds_store_2addr_b32 v1, v2, v3 offset1:1
	s_branch .LBB158_3
.LBB158_9:
	s_sub_co_i32 s2, s15, s14
	s_wait_dscnt 0x0
	v_cmp_gt_u32_e64 s2, s2, v0
	s_barrier_signal -1
	s_barrier_wait -1
	s_and_b32 exec_lo, exec_lo, s2
	s_cbranch_execz .LBB158_15
; %bb.10:
	v_add3_u32 v1, s3, s14, v0
	s_load_b64 s[2:3], s[0:1], 0x58
	s_wait_xcnt 0x0
	s_mov_b32 s0, 1
	global_load_b32 v2, v1, s[12:13] scale_offset
	s_wait_xcnt 0x0
	v_dual_mov_b32 v0, 0 :: v_dual_lshlrev_b32 v1, s18, v0
	s_delay_alu instid0(VALU_DEP_1) | instskip(NEXT) | instid1(VALU_DEP_2)
	v_lshl_add_u32 v3, v1, 3, 0
	v_mov_b32_e32 v1, v0
.LBB158_11:                             ; =>This Inner Loop Header: Depth=1
	ds_load_2addr_b32 v[4:5], v3 offset1:1
	v_add_nc_u32_e32 v3, 8, v3
	s_lshr_b32 s1, s0, s18
	s_add_co_i32 s0, s0, 1
	s_cmp_lg_u32 s1, 0
	s_wait_dscnt 0x0
	v_pk_add_f32 v[0:1], v[0:1], v[4:5]
	s_cbranch_scc0 .LBB158_11
; %bb.12:
	s_wait_loadcnt 0x0
	v_ashrrev_i32_e32 v3, 31, v2
	v_cmp_neq_f32_e64 s0, 0, v6
	s_wait_kmcnt 0x0
	s_delay_alu instid0(VALU_DEP_2) | instskip(SKIP_1) | instid1(SALU_CYCLE_1)
	v_lshl_add_u64 v[2:3], v[2:3], 3, s[2:3]
	s_or_b32 s1, s0, vcc_lo
	s_and_saveexec_b32 s0, s1
	s_cbranch_execz .LBB158_14
; %bb.13:
	global_load_b64 v[4:5], v[2:3], off
	v_xor_b32_e32 v8, 0x80000000, v7
	v_mov_b32_e32 v9, v6
	s_wait_loadcnt 0x0
	v_pk_fma_f32 v[0:1], v[6:7], v[4:5], v[0:1] op_sel_hi:[1,0,1]
	s_delay_alu instid0(VALU_DEP_1)
	v_pk_fma_f32 v[0:1], v[8:9], v[4:5], v[0:1] op_sel:[0,1,0]
.LBB158_14:
	s_or_b32 exec_lo, exec_lo, s0
	global_store_b64 v[2:3], v[0:1], off
.LBB158_15:
	s_endpgm
	.section	.rodata,"a",@progbits
	.p2align	6, 0x0
	.amdhsa_kernel _ZN9rocsparseL28csrmvn_lrb_short_rows_kernelIlif21rocsparse_complex_numIfES2_S2_EEvbT_PT0_S5_jNS_24const_host_device_scalarIT4_EEPKS3_PKS4_PKT1_PKT2_S8_PT3_21rocsparse_index_base_b
		.amdhsa_group_segment_fixed_size 0
		.amdhsa_private_segment_fixed_size 0
		.amdhsa_kernarg_size 104
		.amdhsa_user_sgpr_count 2
		.amdhsa_user_sgpr_dispatch_ptr 0
		.amdhsa_user_sgpr_queue_ptr 0
		.amdhsa_user_sgpr_kernarg_segment_ptr 1
		.amdhsa_user_sgpr_dispatch_id 0
		.amdhsa_user_sgpr_kernarg_preload_length 0
		.amdhsa_user_sgpr_kernarg_preload_offset 0
		.amdhsa_user_sgpr_private_segment_size 0
		.amdhsa_wavefront_size32 1
		.amdhsa_uses_dynamic_stack 0
		.amdhsa_enable_private_segment 0
		.amdhsa_system_sgpr_workgroup_id_x 1
		.amdhsa_system_sgpr_workgroup_id_y 0
		.amdhsa_system_sgpr_workgroup_id_z 0
		.amdhsa_system_sgpr_workgroup_info 0
		.amdhsa_system_vgpr_workitem_id 0
		.amdhsa_next_free_vgpr 16
		.amdhsa_next_free_sgpr 23
		.amdhsa_named_barrier_count 0
		.amdhsa_reserve_vcc 1
		.amdhsa_float_round_mode_32 0
		.amdhsa_float_round_mode_16_64 0
		.amdhsa_float_denorm_mode_32 3
		.amdhsa_float_denorm_mode_16_64 3
		.amdhsa_fp16_overflow 0
		.amdhsa_memory_ordered 1
		.amdhsa_forward_progress 1
		.amdhsa_inst_pref_size 8
		.amdhsa_round_robin_scheduling 0
		.amdhsa_exception_fp_ieee_invalid_op 0
		.amdhsa_exception_fp_denorm_src 0
		.amdhsa_exception_fp_ieee_div_zero 0
		.amdhsa_exception_fp_ieee_overflow 0
		.amdhsa_exception_fp_ieee_underflow 0
		.amdhsa_exception_fp_ieee_inexact 0
		.amdhsa_exception_int_div_zero 0
	.end_amdhsa_kernel
	.section	.text._ZN9rocsparseL28csrmvn_lrb_short_rows_kernelIlif21rocsparse_complex_numIfES2_S2_EEvbT_PT0_S5_jNS_24const_host_device_scalarIT4_EEPKS3_PKS4_PKT1_PKT2_S8_PT3_21rocsparse_index_base_b,"axG",@progbits,_ZN9rocsparseL28csrmvn_lrb_short_rows_kernelIlif21rocsparse_complex_numIfES2_S2_EEvbT_PT0_S5_jNS_24const_host_device_scalarIT4_EEPKS3_PKS4_PKT1_PKT2_S8_PT3_21rocsparse_index_base_b,comdat
.Lfunc_end158:
	.size	_ZN9rocsparseL28csrmvn_lrb_short_rows_kernelIlif21rocsparse_complex_numIfES2_S2_EEvbT_PT0_S5_jNS_24const_host_device_scalarIT4_EEPKS3_PKS4_PKT1_PKT2_S8_PT3_21rocsparse_index_base_b, .Lfunc_end158-_ZN9rocsparseL28csrmvn_lrb_short_rows_kernelIlif21rocsparse_complex_numIfES2_S2_EEvbT_PT0_S5_jNS_24const_host_device_scalarIT4_EEPKS3_PKS4_PKT1_PKT2_S8_PT3_21rocsparse_index_base_b
                                        ; -- End function
	.set _ZN9rocsparseL28csrmvn_lrb_short_rows_kernelIlif21rocsparse_complex_numIfES2_S2_EEvbT_PT0_S5_jNS_24const_host_device_scalarIT4_EEPKS3_PKS4_PKT1_PKT2_S8_PT3_21rocsparse_index_base_b.num_vgpr, 16
	.set _ZN9rocsparseL28csrmvn_lrb_short_rows_kernelIlif21rocsparse_complex_numIfES2_S2_EEvbT_PT0_S5_jNS_24const_host_device_scalarIT4_EEPKS3_PKS4_PKT1_PKT2_S8_PT3_21rocsparse_index_base_b.num_agpr, 0
	.set _ZN9rocsparseL28csrmvn_lrb_short_rows_kernelIlif21rocsparse_complex_numIfES2_S2_EEvbT_PT0_S5_jNS_24const_host_device_scalarIT4_EEPKS3_PKS4_PKT1_PKT2_S8_PT3_21rocsparse_index_base_b.numbered_sgpr, 23
	.set _ZN9rocsparseL28csrmvn_lrb_short_rows_kernelIlif21rocsparse_complex_numIfES2_S2_EEvbT_PT0_S5_jNS_24const_host_device_scalarIT4_EEPKS3_PKS4_PKT1_PKT2_S8_PT3_21rocsparse_index_base_b.num_named_barrier, 0
	.set _ZN9rocsparseL28csrmvn_lrb_short_rows_kernelIlif21rocsparse_complex_numIfES2_S2_EEvbT_PT0_S5_jNS_24const_host_device_scalarIT4_EEPKS3_PKS4_PKT1_PKT2_S8_PT3_21rocsparse_index_base_b.private_seg_size, 0
	.set _ZN9rocsparseL28csrmvn_lrb_short_rows_kernelIlif21rocsparse_complex_numIfES2_S2_EEvbT_PT0_S5_jNS_24const_host_device_scalarIT4_EEPKS3_PKS4_PKT1_PKT2_S8_PT3_21rocsparse_index_base_b.uses_vcc, 1
	.set _ZN9rocsparseL28csrmvn_lrb_short_rows_kernelIlif21rocsparse_complex_numIfES2_S2_EEvbT_PT0_S5_jNS_24const_host_device_scalarIT4_EEPKS3_PKS4_PKT1_PKT2_S8_PT3_21rocsparse_index_base_b.uses_flat_scratch, 1
	.set _ZN9rocsparseL28csrmvn_lrb_short_rows_kernelIlif21rocsparse_complex_numIfES2_S2_EEvbT_PT0_S5_jNS_24const_host_device_scalarIT4_EEPKS3_PKS4_PKT1_PKT2_S8_PT3_21rocsparse_index_base_b.has_dyn_sized_stack, 0
	.set _ZN9rocsparseL28csrmvn_lrb_short_rows_kernelIlif21rocsparse_complex_numIfES2_S2_EEvbT_PT0_S5_jNS_24const_host_device_scalarIT4_EEPKS3_PKS4_PKT1_PKT2_S8_PT3_21rocsparse_index_base_b.has_recursion, 0
	.set _ZN9rocsparseL28csrmvn_lrb_short_rows_kernelIlif21rocsparse_complex_numIfES2_S2_EEvbT_PT0_S5_jNS_24const_host_device_scalarIT4_EEPKS3_PKS4_PKT1_PKT2_S8_PT3_21rocsparse_index_base_b.has_indirect_call, 0
	.section	.AMDGPU.csdata,"",@progbits
; Kernel info:
; codeLenInByte = 924
; TotalNumSgprs: 25
; NumVgprs: 16
; ScratchSize: 0
; MemoryBound: 0
; FloatMode: 240
; IeeeMode: 1
; LDSByteSize: 0 bytes/workgroup (compile time only)
; SGPRBlocks: 0
; VGPRBlocks: 0
; NumSGPRsForWavesPerEU: 25
; NumVGPRsForWavesPerEU: 16
; NamedBarCnt: 0
; Occupancy: 16
; WaveLimiterHint : 1
; COMPUTE_PGM_RSRC2:SCRATCH_EN: 0
; COMPUTE_PGM_RSRC2:USER_SGPR: 2
; COMPUTE_PGM_RSRC2:TRAP_HANDLER: 0
; COMPUTE_PGM_RSRC2:TGID_X_EN: 1
; COMPUTE_PGM_RSRC2:TGID_Y_EN: 0
; COMPUTE_PGM_RSRC2:TGID_Z_EN: 0
; COMPUTE_PGM_RSRC2:TIDIG_COMP_CNT: 0
	.section	.text._ZN9rocsparseL30csrmvn_lrb_short_rows_2_kernelIlif21rocsparse_complex_numIfES2_S2_EEvbT_PT0_S5_jNS_24const_host_device_scalarIT4_EEPKS3_PKS4_PKT1_PKT2_S8_PT3_21rocsparse_index_base_b,"axG",@progbits,_ZN9rocsparseL30csrmvn_lrb_short_rows_2_kernelIlif21rocsparse_complex_numIfES2_S2_EEvbT_PT0_S5_jNS_24const_host_device_scalarIT4_EEPKS3_PKS4_PKT1_PKT2_S8_PT3_21rocsparse_index_base_b,comdat
	.globl	_ZN9rocsparseL30csrmvn_lrb_short_rows_2_kernelIlif21rocsparse_complex_numIfES2_S2_EEvbT_PT0_S5_jNS_24const_host_device_scalarIT4_EEPKS3_PKS4_PKT1_PKT2_S8_PT3_21rocsparse_index_base_b ; -- Begin function _ZN9rocsparseL30csrmvn_lrb_short_rows_2_kernelIlif21rocsparse_complex_numIfES2_S2_EEvbT_PT0_S5_jNS_24const_host_device_scalarIT4_EEPKS3_PKS4_PKT1_PKT2_S8_PT3_21rocsparse_index_base_b
	.p2align	8
	.type	_ZN9rocsparseL30csrmvn_lrb_short_rows_2_kernelIlif21rocsparse_complex_numIfES2_S2_EEvbT_PT0_S5_jNS_24const_host_device_scalarIT4_EEPKS3_PKS4_PKT1_PKT2_S8_PT3_21rocsparse_index_base_b,@function
_ZN9rocsparseL30csrmvn_lrb_short_rows_2_kernelIlif21rocsparse_complex_numIfES2_S2_EEvbT_PT0_S5_jNS_24const_host_device_scalarIT4_EEPKS3_PKS4_PKT1_PKT2_S8_PT3_21rocsparse_index_base_b: ; @_ZN9rocsparseL30csrmvn_lrb_short_rows_2_kernelIlif21rocsparse_complex_numIfES2_S2_EEvbT_PT0_S5_jNS_24const_host_device_scalarIT4_EEPKS3_PKS4_PKT1_PKT2_S8_PT3_21rocsparse_index_base_b
; %bb.0:
	s_clause 0x2
	s_load_b64 s[16:17], s[0:1], 0x60
	s_load_b64 s[2:3], s[0:1], 0x28
	;; [unrolled: 1-line block ×3, first 2 shown]
	v_mov_b32_e32 v11, 0
	s_add_nc_u64 s[6:7], s[0:1], 40
	s_add_nc_u64 s[8:9], s[0:1], 0x50
	s_wait_kmcnt 0x0
	s_bitcmp1_b32 s17, 0
	s_mov_b32 s17, 0
	s_cselect_b32 s3, s7, s3
	s_cselect_b32 s2, s6, s2
	;; [unrolled: 1-line block ×4, first 2 shown]
	s_clause 0x1
	flat_load_b64 v[8:9], v11, s[2:3]
	flat_load_b64 v[6:7], v11, s[4:5]
	s_wait_loadcnt_dscnt 0x101
	s_wait_xcnt 0x1
	v_cmp_neq_f32_e64 s2, 0, v8
	v_cmp_neq_f32_e64 s3, 0, v9
	s_wait_loadcnt_dscnt 0x0
	v_cmp_neq_f32_e64 s4, 1.0, v6
	v_cmp_neq_f32_e32 vcc_lo, 0, v7
	s_or_b32 s2, s2, s3
	s_or_b32 s3, s4, vcc_lo
	s_delay_alu instid0(SALU_CYCLE_1) | instskip(NEXT) | instid1(SALU_CYCLE_1)
	s_or_b32 s2, s2, s3
	s_and_saveexec_b32 s3, s2
	s_cbranch_execz .LBB159_30
; %bb.1:
	s_clause 0x1
	s_load_b32 s18, s[0:1], 0x20
	s_load_b128 s[12:15], s[0:1], 0x10
	v_mov_b64_e32 v[2:3], 0x8000000000000000
	s_delay_alu instid0(VALU_DEP_1) | instskip(NEXT) | instid1(VALU_DEP_1)
	v_pk_mul_f32 v[2:3], v[8:9], v[2:3]
	v_dual_mov_b32 v12, v3 :: v_dual_mov_b32 v13, v2
	s_wait_kmcnt 0x0
	s_add_co_i32 s2, s18, 1
	s_clause 0x1
	s_load_b32 s19, s[14:15], s18 offset:0x0 scale_offset
	s_load_b32 s3, s[14:15], s2 offset:0x0 scale_offset
	s_load_b256 s[4:11], s[0:1], 0x30
	s_wait_xcnt 0x0
	s_bfe_u32 s2, ttmp6, 0x4000c
	s_and_b32 s14, ttmp6, 15
	s_add_co_i32 s2, s2, 1
	s_getreg_b32 s15, hwreg(HW_REG_IB_STS2, 6, 4)
	s_mul_i32 s2, ttmp9, s2
	v_lshrrev_b32_e32 v1, s18, v0
	s_add_co_i32 s2, s14, s2
	s_lshr_b32 s14, 0x400, s18
	v_bfe_u32 v10, v0, 0, s18
	s_wait_kmcnt 0x0
	s_sub_co_i32 s3, s3, s19
	s_cmp_eq_u32 s15, 0
	s_cselect_b32 s2, ttmp9, s2
	s_delay_alu instid0(SALU_CYCLE_1) | instskip(NEXT) | instid1(SALU_CYCLE_1)
	s_mul_i32 s15, s14, s2
	v_add_nc_u32_e32 v1, s15, v1
	s_add_co_i32 s2, s15, s14
	s_delay_alu instid0(SALU_CYCLE_1) | instskip(SKIP_1) | instid1(VALU_DEP_1)
	s_min_u32 s20, s3, s2
	s_mov_b32 s3, exec_lo
	v_cmpx_gt_u32_e64 s20, v1
	s_cbranch_execz .LBB159_6
; %bb.2:
	v_add_nc_u32_e32 v1, s19, v1
	global_load_b32 v2, v1, s[12:13] scale_offset
	s_wait_loadcnt 0x0
	v_ashrrev_i32_e32 v3, 31, v2
	s_delay_alu instid0(VALU_DEP_1) | instskip(SKIP_3) | instid1(VALU_DEP_1)
	v_lshl_add_u64 v[2:3], v[2:3], 3, s[4:5]
	global_load_b128 v[2:5], v[2:3], off
	s_wait_loadcnt 0x0
	v_sub_nc_u64_e32 v[4:5], v[4:5], v[2:3]
	v_cmp_le_i64_e64 s2, v[4:5], v[10:11]
	s_and_saveexec_b32 s21, s2
	s_delay_alu instid0(SALU_CYCLE_1)
	s_xor_b32 s2, exec_lo, s21
; %bb.3:
	v_mov_b64_e32 v[2:3], 0
	v_lshlrev_b32_e32 v1, 3, v0
	ds_store_b64 v1, v[2:3]
                                        ; implicit-def: $vgpr2_vgpr3
; %bb.4:
	s_and_not1_saveexec_b32 s2, s2
	s_cbranch_execz .LBB159_6
; %bb.5:
	v_sub_nc_u64_e64 v[2:3], v[2:3], s[16:17]
	s_delay_alu instid0(VALU_DEP_1) | instskip(NEXT) | instid1(VALU_DEP_1)
	v_add_nc_u64_e32 v[2:3], v[2:3], v[10:11]
	v_lshlrev_b64_e32 v[2:3], 2, v[2:3]
	s_delay_alu instid0(VALU_DEP_1)
	v_add_nc_u64_e32 v[4:5], s[6:7], v[2:3]
	v_add_nc_u64_e32 v[2:3], s[8:9], v[2:3]
	global_load_b32 v1, v[4:5], off
	global_load_b32 v2, v[2:3], off
	s_wait_loadcnt 0x1
	v_subrev_nc_u32_e32 v1, s16, v1
	s_wait_loadcnt 0x0
	v_pk_fma_f32 v[2:3], v[8:9], v[2:3], v[12:13] op_sel_hi:[1,0,1]
	global_load_b64 v[4:5], v1, s[10:11] scale_offset
	s_wait_xcnt 0x0
	v_lshlrev_b32_e32 v1, 3, v0
	s_wait_loadcnt 0x0
	v_pk_mul_f32 v[14:15], v[4:5], v[2:3] op_sel:[1,1] op_sel_hi:[1,0] neg_lo:[0,1]
	s_delay_alu instid0(VALU_DEP_1)
	v_pk_fma_f32 v[2:3], v[2:3], v[4:5], v[14:15] op_sel_hi:[1,0,1]
	ds_store_b64 v1, v[2:3]
.LBB159_6:
	s_or_b32 exec_lo, exec_lo, s3
	v_or_b32_e32 v1, 0x100, v0
	s_mov_b32 s3, exec_lo
	s_delay_alu instid0(VALU_DEP_1) | instskip(NEXT) | instid1(VALU_DEP_1)
	v_lshrrev_b32_e32 v1, s18, v1
	v_add_nc_u32_e32 v1, s15, v1
	s_delay_alu instid0(VALU_DEP_1)
	v_cmpx_gt_u32_e64 s20, v1
	s_cbranch_execz .LBB159_11
; %bb.7:
	v_add_nc_u32_e32 v1, s19, v1
	global_load_b32 v2, v1, s[12:13] scale_offset
	s_wait_loadcnt 0x0
	v_ashrrev_i32_e32 v3, 31, v2
	s_delay_alu instid0(VALU_DEP_1) | instskip(SKIP_3) | instid1(VALU_DEP_1)
	v_lshl_add_u64 v[2:3], v[2:3], 3, s[4:5]
	global_load_b128 v[2:5], v[2:3], off
	s_wait_loadcnt 0x0
	v_sub_nc_u64_e32 v[4:5], v[4:5], v[2:3]
	v_cmp_le_i64_e64 s2, v[4:5], v[10:11]
	s_and_saveexec_b32 s21, s2
	s_delay_alu instid0(SALU_CYCLE_1)
	s_xor_b32 s2, exec_lo, s21
; %bb.8:
	v_mov_b64_e32 v[2:3], 0
	v_lshlrev_b32_e32 v1, 3, v0
	ds_store_b64 v1, v[2:3] offset:2048
                                        ; implicit-def: $vgpr2_vgpr3
; %bb.9:
	s_and_not1_saveexec_b32 s2, s2
	s_cbranch_execz .LBB159_11
; %bb.10:
	v_sub_nc_u64_e64 v[2:3], v[2:3], s[16:17]
	s_delay_alu instid0(VALU_DEP_1) | instskip(NEXT) | instid1(VALU_DEP_1)
	v_add_nc_u64_e32 v[2:3], v[2:3], v[10:11]
	v_lshlrev_b64_e32 v[2:3], 2, v[2:3]
	s_delay_alu instid0(VALU_DEP_1)
	v_add_nc_u64_e32 v[4:5], s[6:7], v[2:3]
	v_add_nc_u64_e32 v[2:3], s[8:9], v[2:3]
	global_load_b32 v1, v[4:5], off
	global_load_b32 v2, v[2:3], off
	s_wait_loadcnt 0x1
	v_subrev_nc_u32_e32 v1, s16, v1
	s_wait_loadcnt 0x0
	v_pk_fma_f32 v[2:3], v[8:9], v[2:3], v[12:13] op_sel_hi:[1,0,1]
	global_load_b64 v[4:5], v1, s[10:11] scale_offset
	s_wait_xcnt 0x0
	v_lshlrev_b32_e32 v1, 3, v0
	s_wait_loadcnt 0x0
	v_pk_mul_f32 v[14:15], v[4:5], v[2:3] op_sel:[1,1] op_sel_hi:[1,0] neg_lo:[0,1]
	s_delay_alu instid0(VALU_DEP_1)
	v_pk_fma_f32 v[2:3], v[2:3], v[4:5], v[14:15] op_sel_hi:[1,0,1]
	ds_store_b64 v1, v[2:3] offset:2048
.LBB159_11:
	s_or_b32 exec_lo, exec_lo, s3
	v_or_b32_e32 v1, 0x200, v0
	s_mov_b32 s3, exec_lo
	s_delay_alu instid0(VALU_DEP_1) | instskip(NEXT) | instid1(VALU_DEP_1)
	v_lshrrev_b32_e32 v1, s18, v1
	v_add_nc_u32_e32 v1, s15, v1
	s_delay_alu instid0(VALU_DEP_1)
	v_cmpx_gt_u32_e64 s20, v1
	s_cbranch_execz .LBB159_16
; %bb.12:
	v_add_nc_u32_e32 v1, s19, v1
	global_load_b32 v2, v1, s[12:13] scale_offset
	s_wait_loadcnt 0x0
	v_ashrrev_i32_e32 v3, 31, v2
	s_delay_alu instid0(VALU_DEP_1) | instskip(SKIP_3) | instid1(VALU_DEP_1)
	v_lshl_add_u64 v[2:3], v[2:3], 3, s[4:5]
	global_load_b128 v[2:5], v[2:3], off
	s_wait_loadcnt 0x0
	v_sub_nc_u64_e32 v[4:5], v[4:5], v[2:3]
	v_cmp_le_i64_e64 s2, v[4:5], v[10:11]
	s_and_saveexec_b32 s21, s2
	s_delay_alu instid0(SALU_CYCLE_1)
	s_xor_b32 s2, exec_lo, s21
; %bb.13:
	v_mov_b64_e32 v[2:3], 0
	v_lshlrev_b32_e32 v1, 3, v0
	ds_store_b64 v1, v[2:3] offset:4096
                                        ; implicit-def: $vgpr2_vgpr3
; %bb.14:
	s_and_not1_saveexec_b32 s2, s2
	s_cbranch_execz .LBB159_16
; %bb.15:
	v_sub_nc_u64_e64 v[2:3], v[2:3], s[16:17]
	s_delay_alu instid0(VALU_DEP_1) | instskip(NEXT) | instid1(VALU_DEP_1)
	v_add_nc_u64_e32 v[2:3], v[2:3], v[10:11]
	v_lshlrev_b64_e32 v[2:3], 2, v[2:3]
	s_delay_alu instid0(VALU_DEP_1)
	v_add_nc_u64_e32 v[4:5], s[6:7], v[2:3]
	v_add_nc_u64_e32 v[2:3], s[8:9], v[2:3]
	global_load_b32 v1, v[4:5], off
	global_load_b32 v2, v[2:3], off
	s_wait_loadcnt 0x1
	v_subrev_nc_u32_e32 v1, s16, v1
	s_wait_loadcnt 0x0
	v_pk_fma_f32 v[2:3], v[8:9], v[2:3], v[12:13] op_sel_hi:[1,0,1]
	global_load_b64 v[4:5], v1, s[10:11] scale_offset
	s_wait_xcnt 0x0
	v_lshlrev_b32_e32 v1, 3, v0
	s_wait_loadcnt 0x0
	v_pk_mul_f32 v[14:15], v[4:5], v[2:3] op_sel:[1,1] op_sel_hi:[1,0] neg_lo:[0,1]
	s_delay_alu instid0(VALU_DEP_1)
	v_pk_fma_f32 v[2:3], v[2:3], v[4:5], v[14:15] op_sel_hi:[1,0,1]
	ds_store_b64 v1, v[2:3] offset:4096
.LBB159_16:
	s_or_b32 exec_lo, exec_lo, s3
	v_or_b32_e32 v1, 0x300, v0
	s_mov_b32 s3, exec_lo
	s_delay_alu instid0(VALU_DEP_1) | instskip(NEXT) | instid1(VALU_DEP_1)
	v_lshrrev_b32_e32 v1, s18, v1
	v_add_nc_u32_e32 v1, s15, v1
	s_delay_alu instid0(VALU_DEP_1)
	v_cmpx_gt_u32_e64 s20, v1
	s_cbranch_execz .LBB159_21
; %bb.17:
	v_add_nc_u32_e32 v1, s19, v1
	global_load_b32 v2, v1, s[12:13] scale_offset
	s_wait_loadcnt 0x0
	v_dual_lshlrev_b32 v1, 3, v0 :: v_dual_ashrrev_i32 v3, 31, v2
	s_delay_alu instid0(VALU_DEP_1) | instskip(SKIP_3) | instid1(VALU_DEP_1)
	v_lshl_add_u64 v[2:3], v[2:3], 3, s[4:5]
	global_load_b128 v[2:5], v[2:3], off
	s_wait_loadcnt 0x0
	v_sub_nc_u64_e32 v[4:5], v[4:5], v[2:3]
	v_cmp_le_i64_e64 s2, v[4:5], v[10:11]
	s_and_saveexec_b32 s4, s2
	s_delay_alu instid0(SALU_CYCLE_1)
	s_xor_b32 s2, exec_lo, s4
; %bb.18:
	v_mov_b64_e32 v[2:3], 0
                                        ; implicit-def: $vgpr10_vgpr11
                                        ; implicit-def: $vgpr8_vgpr9
                                        ; implicit-def: $vgpr12_vgpr13
	ds_store_b64 v1, v[2:3] offset:6144
                                        ; implicit-def: $vgpr2_vgpr3
                                        ; implicit-def: $vgpr1
; %bb.19:
	s_and_not1_saveexec_b32 s2, s2
	s_cbranch_execz .LBB159_21
; %bb.20:
	v_sub_nc_u64_e64 v[2:3], v[2:3], s[16:17]
	s_delay_alu instid0(VALU_DEP_1) | instskip(NEXT) | instid1(VALU_DEP_1)
	v_add_nc_u64_e32 v[2:3], v[2:3], v[10:11]
	v_lshlrev_b64_e32 v[2:3], 2, v[2:3]
	s_delay_alu instid0(VALU_DEP_1)
	v_add_nc_u64_e32 v[4:5], s[6:7], v[2:3]
	v_add_nc_u64_e32 v[2:3], s[8:9], v[2:3]
	global_load_b32 v4, v[4:5], off
	global_load_b32 v2, v[2:3], off
	s_wait_loadcnt 0x1
	s_wait_xcnt 0x0
	v_subrev_nc_u32_e32 v3, s16, v4
	global_load_b64 v[4:5], v3, s[10:11] scale_offset
	s_wait_loadcnt 0x1
	s_wait_xcnt 0x0
	v_pk_fma_f32 v[2:3], v[8:9], v[2:3], v[12:13] op_sel_hi:[1,0,1]
	s_wait_loadcnt 0x0
	s_delay_alu instid0(VALU_DEP_1) | instskip(NEXT) | instid1(VALU_DEP_1)
	v_pk_mul_f32 v[8:9], v[4:5], v[2:3] op_sel:[1,1] op_sel_hi:[1,0] neg_lo:[0,1]
	v_pk_fma_f32 v[2:3], v[2:3], v[4:5], v[8:9] op_sel_hi:[1,0,1]
	ds_store_b64 v1, v[2:3] offset:6144
.LBB159_21:
	s_or_b32 exec_lo, exec_lo, s3
	s_cmp_lt_u32 s18, 11
	s_wait_dscnt 0x0
	s_barrier_signal -1
	s_barrier_wait -1
	s_cbranch_scc0 .LBB159_30
; %bb.22:
	s_load_b64 s[2:3], s[0:1], 0x58
	s_wait_xcnt 0x0
	v_cmp_neq_f32_e64 s0, 0, v6
	v_xor_b32_e32 v2, 0x80000000, v7
	v_mov_b32_e32 v3, v6
	s_sub_co_i32 s1, s20, s15
	s_add_co_i32 s19, s19, s15
	s_mov_b32 s4, 0
	s_or_b32 s0, s0, vcc_lo
	s_branch .LBB159_25
.LBB159_23:                             ;   in Loop: Header=BB159_25 Depth=1
	s_wait_xcnt 0x0
	s_or_b32 exec_lo, exec_lo, s6
	global_store_b64 v[8:9], v[4:5], off
.LBB159_24:                             ;   in Loop: Header=BB159_25 Depth=1
	s_wait_xcnt 0x0
	s_or_b32 exec_lo, exec_lo, s5
	s_addk_co_i32 s4, 0x100
	s_delay_alu instid0(SALU_CYCLE_1)
	s_cmp_lt_u32 s4, s14
	s_cbranch_scc0 .LBB159_30
.LBB159_25:                             ; =>This Loop Header: Depth=1
                                        ;     Child Loop BB159_27 Depth 2
	v_add_nc_u32_e32 v1, s4, v0
	s_mov_b32 s5, exec_lo
	s_delay_alu instid0(VALU_DEP_1)
	v_cmpx_gt_u32_e64 s1, v1
	s_cbranch_execz .LBB159_24
; %bb.26:                               ;   in Loop: Header=BB159_25 Depth=1
	v_dual_add_nc_u32 v4, s19, v1 :: v_dual_lshlrev_b32 v1, s18, v1
	s_mov_b32 s6, 1
	global_load_b32 v8, v4, s[12:13] scale_offset
	s_wait_xcnt 0x0
	v_dual_mov_b32 v4, 0 :: v_dual_lshlrev_b32 v1, 3, v1
	s_delay_alu instid0(VALU_DEP_1)
	v_mov_b32_e32 v5, v4
.LBB159_27:                             ;   Parent Loop BB159_25 Depth=1
                                        ; =>  This Inner Loop Header: Depth=2
	ds_load_b64 v[10:11], v1
	v_add_nc_u32_e32 v1, 8, v1
	s_lshr_b32 s7, s6, s18
	s_add_co_i32 s6, s6, 1
	s_cmp_lg_u32 s7, 0
	s_wait_dscnt 0x0
	v_pk_add_f32 v[4:5], v[4:5], v[10:11]
	s_cbranch_scc0 .LBB159_27
; %bb.28:                               ;   in Loop: Header=BB159_25 Depth=1
	s_wait_loadcnt 0x0
	v_ashrrev_i32_e32 v9, 31, v8
	s_wait_kmcnt 0x0
	s_delay_alu instid0(VALU_DEP_1)
	v_lshl_add_u64 v[8:9], v[8:9], 3, s[2:3]
	s_and_saveexec_b32 s6, s0
	s_cbranch_execz .LBB159_23
; %bb.29:                               ;   in Loop: Header=BB159_25 Depth=1
	global_load_b64 v[10:11], v[8:9], off
	s_wait_loadcnt 0x0
	v_pk_fma_f32 v[4:5], v[6:7], v[10:11], v[4:5] op_sel_hi:[1,0,1]
	s_delay_alu instid0(VALU_DEP_1)
	v_pk_fma_f32 v[4:5], v[2:3], v[10:11], v[4:5] op_sel:[0,1,0]
	s_branch .LBB159_23
.LBB159_30:
	s_endpgm
	.section	.rodata,"a",@progbits
	.p2align	6, 0x0
	.amdhsa_kernel _ZN9rocsparseL30csrmvn_lrb_short_rows_2_kernelIlif21rocsparse_complex_numIfES2_S2_EEvbT_PT0_S5_jNS_24const_host_device_scalarIT4_EEPKS3_PKS4_PKT1_PKT2_S8_PT3_21rocsparse_index_base_b
		.amdhsa_group_segment_fixed_size 8192
		.amdhsa_private_segment_fixed_size 0
		.amdhsa_kernarg_size 104
		.amdhsa_user_sgpr_count 2
		.amdhsa_user_sgpr_dispatch_ptr 0
		.amdhsa_user_sgpr_queue_ptr 0
		.amdhsa_user_sgpr_kernarg_segment_ptr 1
		.amdhsa_user_sgpr_dispatch_id 0
		.amdhsa_user_sgpr_kernarg_preload_length 0
		.amdhsa_user_sgpr_kernarg_preload_offset 0
		.amdhsa_user_sgpr_private_segment_size 0
		.amdhsa_wavefront_size32 1
		.amdhsa_uses_dynamic_stack 0
		.amdhsa_enable_private_segment 0
		.amdhsa_system_sgpr_workgroup_id_x 1
		.amdhsa_system_sgpr_workgroup_id_y 0
		.amdhsa_system_sgpr_workgroup_id_z 0
		.amdhsa_system_sgpr_workgroup_info 0
		.amdhsa_system_vgpr_workitem_id 0
		.amdhsa_next_free_vgpr 16
		.amdhsa_next_free_sgpr 22
		.amdhsa_named_barrier_count 0
		.amdhsa_reserve_vcc 1
		.amdhsa_float_round_mode_32 0
		.amdhsa_float_round_mode_16_64 0
		.amdhsa_float_denorm_mode_32 3
		.amdhsa_float_denorm_mode_16_64 3
		.amdhsa_fp16_overflow 0
		.amdhsa_memory_ordered 1
		.amdhsa_forward_progress 1
		.amdhsa_inst_pref_size 14
		.amdhsa_round_robin_scheduling 0
		.amdhsa_exception_fp_ieee_invalid_op 0
		.amdhsa_exception_fp_denorm_src 0
		.amdhsa_exception_fp_ieee_div_zero 0
		.amdhsa_exception_fp_ieee_overflow 0
		.amdhsa_exception_fp_ieee_underflow 0
		.amdhsa_exception_fp_ieee_inexact 0
		.amdhsa_exception_int_div_zero 0
	.end_amdhsa_kernel
	.section	.text._ZN9rocsparseL30csrmvn_lrb_short_rows_2_kernelIlif21rocsparse_complex_numIfES2_S2_EEvbT_PT0_S5_jNS_24const_host_device_scalarIT4_EEPKS3_PKS4_PKT1_PKT2_S8_PT3_21rocsparse_index_base_b,"axG",@progbits,_ZN9rocsparseL30csrmvn_lrb_short_rows_2_kernelIlif21rocsparse_complex_numIfES2_S2_EEvbT_PT0_S5_jNS_24const_host_device_scalarIT4_EEPKS3_PKS4_PKT1_PKT2_S8_PT3_21rocsparse_index_base_b,comdat
.Lfunc_end159:
	.size	_ZN9rocsparseL30csrmvn_lrb_short_rows_2_kernelIlif21rocsparse_complex_numIfES2_S2_EEvbT_PT0_S5_jNS_24const_host_device_scalarIT4_EEPKS3_PKS4_PKT1_PKT2_S8_PT3_21rocsparse_index_base_b, .Lfunc_end159-_ZN9rocsparseL30csrmvn_lrb_short_rows_2_kernelIlif21rocsparse_complex_numIfES2_S2_EEvbT_PT0_S5_jNS_24const_host_device_scalarIT4_EEPKS3_PKS4_PKT1_PKT2_S8_PT3_21rocsparse_index_base_b
                                        ; -- End function
	.set _ZN9rocsparseL30csrmvn_lrb_short_rows_2_kernelIlif21rocsparse_complex_numIfES2_S2_EEvbT_PT0_S5_jNS_24const_host_device_scalarIT4_EEPKS3_PKS4_PKT1_PKT2_S8_PT3_21rocsparse_index_base_b.num_vgpr, 16
	.set _ZN9rocsparseL30csrmvn_lrb_short_rows_2_kernelIlif21rocsparse_complex_numIfES2_S2_EEvbT_PT0_S5_jNS_24const_host_device_scalarIT4_EEPKS3_PKS4_PKT1_PKT2_S8_PT3_21rocsparse_index_base_b.num_agpr, 0
	.set _ZN9rocsparseL30csrmvn_lrb_short_rows_2_kernelIlif21rocsparse_complex_numIfES2_S2_EEvbT_PT0_S5_jNS_24const_host_device_scalarIT4_EEPKS3_PKS4_PKT1_PKT2_S8_PT3_21rocsparse_index_base_b.numbered_sgpr, 22
	.set _ZN9rocsparseL30csrmvn_lrb_short_rows_2_kernelIlif21rocsparse_complex_numIfES2_S2_EEvbT_PT0_S5_jNS_24const_host_device_scalarIT4_EEPKS3_PKS4_PKT1_PKT2_S8_PT3_21rocsparse_index_base_b.num_named_barrier, 0
	.set _ZN9rocsparseL30csrmvn_lrb_short_rows_2_kernelIlif21rocsparse_complex_numIfES2_S2_EEvbT_PT0_S5_jNS_24const_host_device_scalarIT4_EEPKS3_PKS4_PKT1_PKT2_S8_PT3_21rocsparse_index_base_b.private_seg_size, 0
	.set _ZN9rocsparseL30csrmvn_lrb_short_rows_2_kernelIlif21rocsparse_complex_numIfES2_S2_EEvbT_PT0_S5_jNS_24const_host_device_scalarIT4_EEPKS3_PKS4_PKT1_PKT2_S8_PT3_21rocsparse_index_base_b.uses_vcc, 1
	.set _ZN9rocsparseL30csrmvn_lrb_short_rows_2_kernelIlif21rocsparse_complex_numIfES2_S2_EEvbT_PT0_S5_jNS_24const_host_device_scalarIT4_EEPKS3_PKS4_PKT1_PKT2_S8_PT3_21rocsparse_index_base_b.uses_flat_scratch, 1
	.set _ZN9rocsparseL30csrmvn_lrb_short_rows_2_kernelIlif21rocsparse_complex_numIfES2_S2_EEvbT_PT0_S5_jNS_24const_host_device_scalarIT4_EEPKS3_PKS4_PKT1_PKT2_S8_PT3_21rocsparse_index_base_b.has_dyn_sized_stack, 0
	.set _ZN9rocsparseL30csrmvn_lrb_short_rows_2_kernelIlif21rocsparse_complex_numIfES2_S2_EEvbT_PT0_S5_jNS_24const_host_device_scalarIT4_EEPKS3_PKS4_PKT1_PKT2_S8_PT3_21rocsparse_index_base_b.has_recursion, 0
	.set _ZN9rocsparseL30csrmvn_lrb_short_rows_2_kernelIlif21rocsparse_complex_numIfES2_S2_EEvbT_PT0_S5_jNS_24const_host_device_scalarIT4_EEPKS3_PKS4_PKT1_PKT2_S8_PT3_21rocsparse_index_base_b.has_indirect_call, 0
	.section	.AMDGPU.csdata,"",@progbits
; Kernel info:
; codeLenInByte = 1716
; TotalNumSgprs: 24
; NumVgprs: 16
; ScratchSize: 0
; MemoryBound: 0
; FloatMode: 240
; IeeeMode: 1
; LDSByteSize: 8192 bytes/workgroup (compile time only)
; SGPRBlocks: 0
; VGPRBlocks: 0
; NumSGPRsForWavesPerEU: 24
; NumVGPRsForWavesPerEU: 16
; NamedBarCnt: 0
; Occupancy: 16
; WaveLimiterHint : 1
; COMPUTE_PGM_RSRC2:SCRATCH_EN: 0
; COMPUTE_PGM_RSRC2:USER_SGPR: 2
; COMPUTE_PGM_RSRC2:TRAP_HANDLER: 0
; COMPUTE_PGM_RSRC2:TGID_X_EN: 1
; COMPUTE_PGM_RSRC2:TGID_Y_EN: 0
; COMPUTE_PGM_RSRC2:TGID_Z_EN: 0
; COMPUTE_PGM_RSRC2:TIDIG_COMP_CNT: 0
	.section	.text._ZN9rocsparseL41csrmvn_lrb_medium_rows_warp_reduce_kernelILj256ELj32Elif21rocsparse_complex_numIfES2_S2_EEvbT1_lPT2_S5_jNS_24const_host_device_scalarIT6_EEPKS3_PKS4_PKT3_PKT4_S8_PT5_21rocsparse_index_base_b,"axG",@progbits,_ZN9rocsparseL41csrmvn_lrb_medium_rows_warp_reduce_kernelILj256ELj32Elif21rocsparse_complex_numIfES2_S2_EEvbT1_lPT2_S5_jNS_24const_host_device_scalarIT6_EEPKS3_PKS4_PKT3_PKT4_S8_PT5_21rocsparse_index_base_b,comdat
	.globl	_ZN9rocsparseL41csrmvn_lrb_medium_rows_warp_reduce_kernelILj256ELj32Elif21rocsparse_complex_numIfES2_S2_EEvbT1_lPT2_S5_jNS_24const_host_device_scalarIT6_EEPKS3_PKS4_PKT3_PKT4_S8_PT5_21rocsparse_index_base_b ; -- Begin function _ZN9rocsparseL41csrmvn_lrb_medium_rows_warp_reduce_kernelILj256ELj32Elif21rocsparse_complex_numIfES2_S2_EEvbT1_lPT2_S5_jNS_24const_host_device_scalarIT6_EEPKS3_PKS4_PKT3_PKT4_S8_PT5_21rocsparse_index_base_b
	.p2align	8
	.type	_ZN9rocsparseL41csrmvn_lrb_medium_rows_warp_reduce_kernelILj256ELj32Elif21rocsparse_complex_numIfES2_S2_EEvbT1_lPT2_S5_jNS_24const_host_device_scalarIT6_EEPKS3_PKS4_PKT3_PKT4_S8_PT5_21rocsparse_index_base_b,@function
_ZN9rocsparseL41csrmvn_lrb_medium_rows_warp_reduce_kernelILj256ELj32Elif21rocsparse_complex_numIfES2_S2_EEvbT1_lPT2_S5_jNS_24const_host_device_scalarIT6_EEPKS3_PKS4_PKT3_PKT4_S8_PT5_21rocsparse_index_base_b: ; @_ZN9rocsparseL41csrmvn_lrb_medium_rows_warp_reduce_kernelILj256ELj32Elif21rocsparse_complex_numIfES2_S2_EEvbT1_lPT2_S5_jNS_24const_host_device_scalarIT6_EEPKS3_PKS4_PKT3_PKT4_S8_PT5_21rocsparse_index_base_b
; %bb.0:
	s_clause 0x2
	s_load_b64 s[6:7], s[0:1], 0x68
	s_load_b64 s[2:3], s[0:1], 0x30
	;; [unrolled: 1-line block ×3, first 2 shown]
	v_mov_b32_e32 v1, 0
	s_add_nc_u64 s[8:9], s[0:1], 48
	s_add_nc_u64 s[10:11], s[0:1], 0x58
	s_wait_kmcnt 0x0
	s_bitcmp1_b32 s7, 0
	s_cselect_b32 s3, s9, s3
	s_cselect_b32 s2, s8, s2
	;; [unrolled: 1-line block ×4, first 2 shown]
	s_clause 0x1
	flat_load_b64 v[6:7], v1, s[2:3]
	flat_load_b64 v[2:3], v1, s[4:5]
	s_wait_loadcnt_dscnt 0x101
	s_wait_xcnt 0x1
	v_cmp_neq_f32_e64 s2, 0, v6
	v_cmp_neq_f32_e64 s3, 0, v7
	s_wait_loadcnt_dscnt 0x0
	v_cmp_neq_f32_e64 s4, 1.0, v2
	v_cmp_neq_f32_e32 vcc_lo, 0, v3
	s_or_b32 s2, s2, s3
	s_or_b32 s3, s4, vcc_lo
	s_delay_alu instid0(SALU_CYCLE_1) | instskip(NEXT) | instid1(SALU_CYCLE_1)
	s_or_b32 s2, s2, s3
	s_and_saveexec_b32 s3, s2
	s_cbranch_execz .LBB160_10
; %bb.1:
	s_bfe_u32 s4, ttmp6, 0x4000c
	s_load_b64 s[2:3], s[0:1], 0x10
	s_add_co_i32 s4, s4, 1
	s_and_b32 s5, ttmp6, 15
	s_mul_i32 s4, ttmp9, s4
	s_getreg_b32 s7, hwreg(HW_REG_IB_STS2, 6, 4)
	v_lshrrev_b32_e32 v1, 5, v0
	s_add_co_i32 s5, s5, s4
	s_cmp_eq_u32 s7, 0
	s_cselect_b32 s4, ttmp9, s5
	s_delay_alu instid0(VALU_DEP_1) | instid1(SALU_CYCLE_1)
	v_lshl_or_b32 v4, s4, 3, v1
	s_delay_alu instid0(VALU_DEP_1) | instskip(SKIP_1) | instid1(VALU_DEP_1)
	v_ashrrev_i32_e32 v5, 31, v4
	s_wait_kmcnt 0x0
	v_cmp_gt_i64_e64 s2, s[2:3], v[4:5]
	s_and_b32 exec_lo, exec_lo, s2
	s_cbranch_execz .LBB160_10
; %bb.2:
	s_clause 0x1
	s_load_b128 s[8:11], s[0:1], 0x18
	s_load_b32 s2, s[0:1], 0x28
	v_and_b32_e32 v0, 31, v0
	s_mov_b32 s7, 0
	s_wait_kmcnt 0x0
	s_load_b32 s2, s[10:11], s2 offset:0x0 scale_offset
	s_wait_kmcnt 0x0
	v_add_nc_u32_e32 v1, s2, v4
	s_load_b64 s[2:3], s[0:1], 0x38
	global_load_b32 v4, v1, s[8:9] scale_offset
	s_wait_xcnt 0x0
	v_mov_b32_e32 v1, 0
	s_delay_alu instid0(VALU_DEP_1) | instskip(SKIP_3) | instid1(VALU_DEP_1)
	v_sub_nc_u64_e64 v[12:13], v[0:1], s[6:7]
	s_wait_loadcnt 0x0
	v_ashrrev_i32_e32 v5, 31, v4
	s_wait_kmcnt 0x0
	v_lshl_add_u64 v[8:9], v[4:5], 3, s[2:3]
	s_mov_b32 s3, exec_lo
	global_load_b128 v[8:11], v[8:9], off
	s_wait_loadcnt 0x0
	v_sub_nc_u64_e64 v[10:11], v[10:11], s[6:7]
	v_add_nc_u64_e32 v[12:13], v[8:9], v[12:13]
	v_dual_mov_b32 v9, v1 :: v_dual_mov_b32 v8, v1
	s_delay_alu instid0(VALU_DEP_2)
	v_cmpx_lt_i64_e64 v[12:13], v[10:11]
	s_cbranch_execz .LBB160_6
; %bb.3:
	s_clause 0x1
	s_load_b128 s[8:11], s[0:1], 0x40
	s_load_b64 s[4:5], s[0:1], 0x50
	v_mov_b64_e32 v[8:9], 0x8000000000000000
	v_lshlrev_b64_e32 v[18:19], 2, v[12:13]
	s_delay_alu instid0(VALU_DEP_2) | instskip(NEXT) | instid1(VALU_DEP_1)
	v_pk_mul_f32 v[20:21], v[6:7], v[8:9]
	v_dual_mov_b32 v9, 0 :: v_dual_mov_b32 v14, v21
	s_delay_alu instid0(VALU_DEP_1) | instskip(SKIP_1) | instid1(VALU_DEP_4)
	v_dual_mov_b32 v15, v20 :: v_dual_mov_b32 v8, v9
	s_wait_kmcnt 0x0
	v_add_nc_u64_e32 v[16:17], s[10:11], v[18:19]
	v_add_nc_u64_e32 v[18:19], s[8:9], v[18:19]
.LBB160_4:                              ; =>This Inner Loop Header: Depth=1
	global_load_b32 v1, v[18:19], off
	global_load_b32 v20, v[16:17], off
	v_add_nc_u64_e32 v[12:13], 32, v[12:13]
	s_wait_xcnt 0x0
	v_add_nc_u64_e32 v[16:17], 0x80, v[16:17]
	v_add_nc_u64_e32 v[18:19], 0x80, v[18:19]
	s_delay_alu instid0(VALU_DEP_3)
	v_cmp_ge_i64_e64 s2, v[12:13], v[10:11]
	s_or_b32 s7, s2, s7
	s_wait_loadcnt 0x1
	v_subrev_nc_u32_e32 v1, s6, v1
	s_wait_loadcnt 0x0
	v_pk_fma_f32 v[20:21], v[6:7], v[20:21], v[14:15] op_sel_hi:[1,0,1]
	global_load_b64 v[22:23], v1, s[4:5] scale_offset
	s_wait_loadcnt 0x0
	v_pk_fma_f32 v[8:9], v[20:21], v[22:23], v[8:9] op_sel_hi:[1,0,1]
	s_delay_alu instid0(VALU_DEP_1)
	v_pk_fma_f32 v[8:9], v[20:21], v[22:23], v[8:9] op_sel:[1,1,0] op_sel_hi:[0,1,1] neg_lo:[1,0,0]
	s_and_not1_b32 exec_lo, exec_lo, s7
	s_cbranch_execnz .LBB160_4
; %bb.5:
	s_or_b32 exec_lo, exec_lo, s7
.LBB160_6:
	s_delay_alu instid0(SALU_CYCLE_1) | instskip(SKIP_2) | instid1(VALU_DEP_1)
	s_or_b32 exec_lo, exec_lo, s3
	v_mbcnt_lo_u32_b32 v1, -1, 0
	s_load_b64 s[2:3], s[0:1], 0x60
	v_xor_b32_e32 v10, 8, v1
	v_xor_b32_e32 v6, 16, v1
	s_wait_xcnt 0x0
	s_delay_alu instid0(VALU_DEP_1) | instskip(NEXT) | instid1(VALU_DEP_1)
	v_cmp_gt_i32_e64 s0, 32, v6
	v_cndmask_b32_e64 v6, v1, v6, s0
	v_cmp_gt_i32_e64 s0, 32, v10
	s_delay_alu instid0(VALU_DEP_2) | instskip(NEXT) | instid1(VALU_DEP_2)
	v_lshlrev_b32_e32 v7, 2, v6
	v_cndmask_b32_e64 v10, v1, v10, s0
	ds_bpermute_b32 v6, v7, v8
	ds_bpermute_b32 v7, v7, v9
	v_lshlrev_b32_e32 v10, 2, v10
	s_wait_dscnt 0x0
	v_pk_add_f32 v[6:7], v[8:9], v[6:7]
	ds_bpermute_b32 v8, v10, v6
	ds_bpermute_b32 v9, v10, v7
	v_xor_b32_e32 v10, 4, v1
	s_delay_alu instid0(VALU_DEP_1) | instskip(NEXT) | instid1(VALU_DEP_1)
	v_cmp_gt_i32_e64 s0, 32, v10
	v_cndmask_b32_e64 v10, v1, v10, s0
	s_delay_alu instid0(VALU_DEP_1)
	v_lshlrev_b32_e32 v10, 2, v10
	s_wait_dscnt 0x0
	v_pk_add_f32 v[6:7], v[6:7], v[8:9]
	ds_bpermute_b32 v8, v10, v6
	ds_bpermute_b32 v9, v10, v7
	v_xor_b32_e32 v10, 2, v1
	s_delay_alu instid0(VALU_DEP_1) | instskip(NEXT) | instid1(VALU_DEP_1)
	v_cmp_gt_i32_e64 s0, 32, v10
	v_cndmask_b32_e64 v10, v1, v10, s0
	s_delay_alu instid0(VALU_DEP_1)
	v_lshlrev_b32_e32 v10, 2, v10
	s_wait_dscnt 0x0
	v_pk_add_f32 v[6:7], v[6:7], v[8:9]
	ds_bpermute_b32 v8, v10, v6
	ds_bpermute_b32 v9, v10, v7
	v_xor_b32_e32 v10, 1, v1
	s_delay_alu instid0(VALU_DEP_1) | instskip(NEXT) | instid1(VALU_DEP_1)
	v_cmp_gt_i32_e64 s0, 32, v10
	v_cndmask_b32_e64 v1, v1, v10, s0
	v_cmp_eq_u32_e64 s0, 31, v0
	s_delay_alu instid0(VALU_DEP_2)
	v_lshlrev_b32_e32 v1, 2, v1
	s_wait_dscnt 0x0
	v_pk_add_f32 v[6:7], v[6:7], v[8:9]
	ds_bpermute_b32 v8, v1, v6
	ds_bpermute_b32 v9, v1, v7
	s_and_b32 exec_lo, exec_lo, s0
	s_cbranch_execz .LBB160_10
; %bb.7:
	v_cmp_neq_f32_e64 s0, 0, v2
	s_wait_dscnt 0x0
	v_pk_add_f32 v[6:7], v[6:7], v[8:9]
	s_wait_kmcnt 0x0
	v_lshl_add_u64 v[0:1], v[4:5], 3, s[2:3]
	s_or_b32 s1, s0, vcc_lo
	s_delay_alu instid0(SALU_CYCLE_1)
	s_and_saveexec_b32 s0, s1
	s_cbranch_execz .LBB160_9
; %bb.8:
	global_load_b64 v[4:5], v[0:1], off
	v_xor_b32_e32 v8, 0x80000000, v3
	v_mov_b32_e32 v9, v2
	s_wait_loadcnt 0x0
	v_pk_fma_f32 v[6:7], v[2:3], v[4:5], v[6:7] op_sel_hi:[1,0,1]
	s_delay_alu instid0(VALU_DEP_1)
	v_pk_fma_f32 v[6:7], v[8:9], v[4:5], v[6:7] op_sel:[0,1,0]
.LBB160_9:
	s_or_b32 exec_lo, exec_lo, s0
	global_store_b64 v[0:1], v[6:7], off
.LBB160_10:
	s_endpgm
	.section	.rodata,"a",@progbits
	.p2align	6, 0x0
	.amdhsa_kernel _ZN9rocsparseL41csrmvn_lrb_medium_rows_warp_reduce_kernelILj256ELj32Elif21rocsparse_complex_numIfES2_S2_EEvbT1_lPT2_S5_jNS_24const_host_device_scalarIT6_EEPKS3_PKS4_PKT3_PKT4_S8_PT5_21rocsparse_index_base_b
		.amdhsa_group_segment_fixed_size 0
		.amdhsa_private_segment_fixed_size 0
		.amdhsa_kernarg_size 112
		.amdhsa_user_sgpr_count 2
		.amdhsa_user_sgpr_dispatch_ptr 0
		.amdhsa_user_sgpr_queue_ptr 0
		.amdhsa_user_sgpr_kernarg_segment_ptr 1
		.amdhsa_user_sgpr_dispatch_id 0
		.amdhsa_user_sgpr_kernarg_preload_length 0
		.amdhsa_user_sgpr_kernarg_preload_offset 0
		.amdhsa_user_sgpr_private_segment_size 0
		.amdhsa_wavefront_size32 1
		.amdhsa_uses_dynamic_stack 0
		.amdhsa_enable_private_segment 0
		.amdhsa_system_sgpr_workgroup_id_x 1
		.amdhsa_system_sgpr_workgroup_id_y 0
		.amdhsa_system_sgpr_workgroup_id_z 0
		.amdhsa_system_sgpr_workgroup_info 0
		.amdhsa_system_vgpr_workitem_id 0
		.amdhsa_next_free_vgpr 24
		.amdhsa_next_free_sgpr 12
		.amdhsa_named_barrier_count 0
		.amdhsa_reserve_vcc 1
		.amdhsa_float_round_mode_32 0
		.amdhsa_float_round_mode_16_64 0
		.amdhsa_float_denorm_mode_32 3
		.amdhsa_float_denorm_mode_16_64 3
		.amdhsa_fp16_overflow 0
		.amdhsa_memory_ordered 1
		.amdhsa_forward_progress 1
		.amdhsa_inst_pref_size 9
		.amdhsa_round_robin_scheduling 0
		.amdhsa_exception_fp_ieee_invalid_op 0
		.amdhsa_exception_fp_denorm_src 0
		.amdhsa_exception_fp_ieee_div_zero 0
		.amdhsa_exception_fp_ieee_overflow 0
		.amdhsa_exception_fp_ieee_underflow 0
		.amdhsa_exception_fp_ieee_inexact 0
		.amdhsa_exception_int_div_zero 0
	.end_amdhsa_kernel
	.section	.text._ZN9rocsparseL41csrmvn_lrb_medium_rows_warp_reduce_kernelILj256ELj32Elif21rocsparse_complex_numIfES2_S2_EEvbT1_lPT2_S5_jNS_24const_host_device_scalarIT6_EEPKS3_PKS4_PKT3_PKT4_S8_PT5_21rocsparse_index_base_b,"axG",@progbits,_ZN9rocsparseL41csrmvn_lrb_medium_rows_warp_reduce_kernelILj256ELj32Elif21rocsparse_complex_numIfES2_S2_EEvbT1_lPT2_S5_jNS_24const_host_device_scalarIT6_EEPKS3_PKS4_PKT3_PKT4_S8_PT5_21rocsparse_index_base_b,comdat
.Lfunc_end160:
	.size	_ZN9rocsparseL41csrmvn_lrb_medium_rows_warp_reduce_kernelILj256ELj32Elif21rocsparse_complex_numIfES2_S2_EEvbT1_lPT2_S5_jNS_24const_host_device_scalarIT6_EEPKS3_PKS4_PKT3_PKT4_S8_PT5_21rocsparse_index_base_b, .Lfunc_end160-_ZN9rocsparseL41csrmvn_lrb_medium_rows_warp_reduce_kernelILj256ELj32Elif21rocsparse_complex_numIfES2_S2_EEvbT1_lPT2_S5_jNS_24const_host_device_scalarIT6_EEPKS3_PKS4_PKT3_PKT4_S8_PT5_21rocsparse_index_base_b
                                        ; -- End function
	.set _ZN9rocsparseL41csrmvn_lrb_medium_rows_warp_reduce_kernelILj256ELj32Elif21rocsparse_complex_numIfES2_S2_EEvbT1_lPT2_S5_jNS_24const_host_device_scalarIT6_EEPKS3_PKS4_PKT3_PKT4_S8_PT5_21rocsparse_index_base_b.num_vgpr, 24
	.set _ZN9rocsparseL41csrmvn_lrb_medium_rows_warp_reduce_kernelILj256ELj32Elif21rocsparse_complex_numIfES2_S2_EEvbT1_lPT2_S5_jNS_24const_host_device_scalarIT6_EEPKS3_PKS4_PKT3_PKT4_S8_PT5_21rocsparse_index_base_b.num_agpr, 0
	.set _ZN9rocsparseL41csrmvn_lrb_medium_rows_warp_reduce_kernelILj256ELj32Elif21rocsparse_complex_numIfES2_S2_EEvbT1_lPT2_S5_jNS_24const_host_device_scalarIT6_EEPKS3_PKS4_PKT3_PKT4_S8_PT5_21rocsparse_index_base_b.numbered_sgpr, 12
	.set _ZN9rocsparseL41csrmvn_lrb_medium_rows_warp_reduce_kernelILj256ELj32Elif21rocsparse_complex_numIfES2_S2_EEvbT1_lPT2_S5_jNS_24const_host_device_scalarIT6_EEPKS3_PKS4_PKT3_PKT4_S8_PT5_21rocsparse_index_base_b.num_named_barrier, 0
	.set _ZN9rocsparseL41csrmvn_lrb_medium_rows_warp_reduce_kernelILj256ELj32Elif21rocsparse_complex_numIfES2_S2_EEvbT1_lPT2_S5_jNS_24const_host_device_scalarIT6_EEPKS3_PKS4_PKT3_PKT4_S8_PT5_21rocsparse_index_base_b.private_seg_size, 0
	.set _ZN9rocsparseL41csrmvn_lrb_medium_rows_warp_reduce_kernelILj256ELj32Elif21rocsparse_complex_numIfES2_S2_EEvbT1_lPT2_S5_jNS_24const_host_device_scalarIT6_EEPKS3_PKS4_PKT3_PKT4_S8_PT5_21rocsparse_index_base_b.uses_vcc, 1
	.set _ZN9rocsparseL41csrmvn_lrb_medium_rows_warp_reduce_kernelILj256ELj32Elif21rocsparse_complex_numIfES2_S2_EEvbT1_lPT2_S5_jNS_24const_host_device_scalarIT6_EEPKS3_PKS4_PKT3_PKT4_S8_PT5_21rocsparse_index_base_b.uses_flat_scratch, 1
	.set _ZN9rocsparseL41csrmvn_lrb_medium_rows_warp_reduce_kernelILj256ELj32Elif21rocsparse_complex_numIfES2_S2_EEvbT1_lPT2_S5_jNS_24const_host_device_scalarIT6_EEPKS3_PKS4_PKT3_PKT4_S8_PT5_21rocsparse_index_base_b.has_dyn_sized_stack, 0
	.set _ZN9rocsparseL41csrmvn_lrb_medium_rows_warp_reduce_kernelILj256ELj32Elif21rocsparse_complex_numIfES2_S2_EEvbT1_lPT2_S5_jNS_24const_host_device_scalarIT6_EEPKS3_PKS4_PKT3_PKT4_S8_PT5_21rocsparse_index_base_b.has_recursion, 0
	.set _ZN9rocsparseL41csrmvn_lrb_medium_rows_warp_reduce_kernelILj256ELj32Elif21rocsparse_complex_numIfES2_S2_EEvbT1_lPT2_S5_jNS_24const_host_device_scalarIT6_EEPKS3_PKS4_PKT3_PKT4_S8_PT5_21rocsparse_index_base_b.has_indirect_call, 0
	.section	.AMDGPU.csdata,"",@progbits
; Kernel info:
; codeLenInByte = 1064
; TotalNumSgprs: 14
; NumVgprs: 24
; ScratchSize: 0
; MemoryBound: 0
; FloatMode: 240
; IeeeMode: 1
; LDSByteSize: 0 bytes/workgroup (compile time only)
; SGPRBlocks: 0
; VGPRBlocks: 1
; NumSGPRsForWavesPerEU: 14
; NumVGPRsForWavesPerEU: 24
; NamedBarCnt: 0
; Occupancy: 16
; WaveLimiterHint : 1
; COMPUTE_PGM_RSRC2:SCRATCH_EN: 0
; COMPUTE_PGM_RSRC2:USER_SGPR: 2
; COMPUTE_PGM_RSRC2:TRAP_HANDLER: 0
; COMPUTE_PGM_RSRC2:TGID_X_EN: 1
; COMPUTE_PGM_RSRC2:TGID_Y_EN: 0
; COMPUTE_PGM_RSRC2:TGID_Z_EN: 0
; COMPUTE_PGM_RSRC2:TIDIG_COMP_CNT: 0
	.section	.text._ZN9rocsparseL41csrmvn_lrb_medium_rows_warp_reduce_kernelILj256ELj64Elif21rocsparse_complex_numIfES2_S2_EEvbT1_lPT2_S5_jNS_24const_host_device_scalarIT6_EEPKS3_PKS4_PKT3_PKT4_S8_PT5_21rocsparse_index_base_b,"axG",@progbits,_ZN9rocsparseL41csrmvn_lrb_medium_rows_warp_reduce_kernelILj256ELj64Elif21rocsparse_complex_numIfES2_S2_EEvbT1_lPT2_S5_jNS_24const_host_device_scalarIT6_EEPKS3_PKS4_PKT3_PKT4_S8_PT5_21rocsparse_index_base_b,comdat
	.globl	_ZN9rocsparseL41csrmvn_lrb_medium_rows_warp_reduce_kernelILj256ELj64Elif21rocsparse_complex_numIfES2_S2_EEvbT1_lPT2_S5_jNS_24const_host_device_scalarIT6_EEPKS3_PKS4_PKT3_PKT4_S8_PT5_21rocsparse_index_base_b ; -- Begin function _ZN9rocsparseL41csrmvn_lrb_medium_rows_warp_reduce_kernelILj256ELj64Elif21rocsparse_complex_numIfES2_S2_EEvbT1_lPT2_S5_jNS_24const_host_device_scalarIT6_EEPKS3_PKS4_PKT3_PKT4_S8_PT5_21rocsparse_index_base_b
	.p2align	8
	.type	_ZN9rocsparseL41csrmvn_lrb_medium_rows_warp_reduce_kernelILj256ELj64Elif21rocsparse_complex_numIfES2_S2_EEvbT1_lPT2_S5_jNS_24const_host_device_scalarIT6_EEPKS3_PKS4_PKT3_PKT4_S8_PT5_21rocsparse_index_base_b,@function
_ZN9rocsparseL41csrmvn_lrb_medium_rows_warp_reduce_kernelILj256ELj64Elif21rocsparse_complex_numIfES2_S2_EEvbT1_lPT2_S5_jNS_24const_host_device_scalarIT6_EEPKS3_PKS4_PKT3_PKT4_S8_PT5_21rocsparse_index_base_b: ; @_ZN9rocsparseL41csrmvn_lrb_medium_rows_warp_reduce_kernelILj256ELj64Elif21rocsparse_complex_numIfES2_S2_EEvbT1_lPT2_S5_jNS_24const_host_device_scalarIT6_EEPKS3_PKS4_PKT3_PKT4_S8_PT5_21rocsparse_index_base_b
; %bb.0:
	s_clause 0x2
	s_load_b64 s[6:7], s[0:1], 0x68
	s_load_b64 s[2:3], s[0:1], 0x30
	;; [unrolled: 1-line block ×3, first 2 shown]
	v_mov_b32_e32 v1, 0
	s_add_nc_u64 s[8:9], s[0:1], 48
	s_add_nc_u64 s[10:11], s[0:1], 0x58
	s_wait_kmcnt 0x0
	s_bitcmp1_b32 s7, 0
	s_cselect_b32 s3, s9, s3
	s_cselect_b32 s2, s8, s2
	;; [unrolled: 1-line block ×4, first 2 shown]
	s_clause 0x1
	flat_load_b64 v[6:7], v1, s[2:3]
	flat_load_b64 v[2:3], v1, s[4:5]
	s_wait_loadcnt_dscnt 0x101
	s_wait_xcnt 0x1
	v_cmp_neq_f32_e64 s2, 0, v6
	v_cmp_neq_f32_e64 s3, 0, v7
	s_wait_loadcnt_dscnt 0x0
	v_cmp_neq_f32_e64 s4, 1.0, v2
	v_cmp_neq_f32_e32 vcc_lo, 0, v3
	s_or_b32 s2, s2, s3
	s_or_b32 s3, s4, vcc_lo
	s_delay_alu instid0(SALU_CYCLE_1) | instskip(NEXT) | instid1(SALU_CYCLE_1)
	s_or_b32 s2, s2, s3
	s_and_saveexec_b32 s3, s2
	s_cbranch_execz .LBB161_10
; %bb.1:
	s_bfe_u32 s4, ttmp6, 0x4000c
	s_load_b64 s[2:3], s[0:1], 0x10
	s_add_co_i32 s4, s4, 1
	s_and_b32 s5, ttmp6, 15
	s_mul_i32 s4, ttmp9, s4
	s_getreg_b32 s7, hwreg(HW_REG_IB_STS2, 6, 4)
	v_lshrrev_b32_e32 v1, 6, v0
	s_add_co_i32 s5, s5, s4
	s_cmp_eq_u32 s7, 0
	s_cselect_b32 s4, ttmp9, s5
	s_delay_alu instid0(VALU_DEP_1) | instid1(SALU_CYCLE_1)
	v_lshl_or_b32 v4, s4, 2, v1
	s_delay_alu instid0(VALU_DEP_1) | instskip(SKIP_1) | instid1(VALU_DEP_1)
	v_ashrrev_i32_e32 v5, 31, v4
	s_wait_kmcnt 0x0
	v_cmp_gt_i64_e64 s2, s[2:3], v[4:5]
	s_and_b32 exec_lo, exec_lo, s2
	s_cbranch_execz .LBB161_10
; %bb.2:
	s_clause 0x1
	s_load_b128 s[8:11], s[0:1], 0x18
	s_load_b32 s2, s[0:1], 0x28
	v_and_b32_e32 v0, 63, v0
	s_mov_b32 s7, 0
	s_wait_kmcnt 0x0
	s_load_b32 s2, s[10:11], s2 offset:0x0 scale_offset
	s_wait_kmcnt 0x0
	v_add_nc_u32_e32 v1, s2, v4
	s_load_b64 s[2:3], s[0:1], 0x38
	global_load_b32 v4, v1, s[8:9] scale_offset
	s_wait_xcnt 0x0
	v_mov_b32_e32 v1, 0
	s_delay_alu instid0(VALU_DEP_1) | instskip(SKIP_3) | instid1(VALU_DEP_1)
	v_sub_nc_u64_e64 v[12:13], v[0:1], s[6:7]
	s_wait_loadcnt 0x0
	v_ashrrev_i32_e32 v5, 31, v4
	s_wait_kmcnt 0x0
	v_lshl_add_u64 v[8:9], v[4:5], 3, s[2:3]
	s_mov_b32 s3, exec_lo
	global_load_b128 v[8:11], v[8:9], off
	s_wait_loadcnt 0x0
	v_sub_nc_u64_e64 v[10:11], v[10:11], s[6:7]
	v_add_nc_u64_e32 v[12:13], v[8:9], v[12:13]
	v_dual_mov_b32 v9, v1 :: v_dual_mov_b32 v8, v1
	s_delay_alu instid0(VALU_DEP_2)
	v_cmpx_lt_i64_e64 v[12:13], v[10:11]
	s_cbranch_execz .LBB161_6
; %bb.3:
	s_clause 0x1
	s_load_b128 s[8:11], s[0:1], 0x40
	s_load_b64 s[4:5], s[0:1], 0x50
	v_mov_b64_e32 v[8:9], 0x8000000000000000
	v_lshlrev_b64_e32 v[18:19], 2, v[12:13]
	s_delay_alu instid0(VALU_DEP_2) | instskip(NEXT) | instid1(VALU_DEP_1)
	v_pk_mul_f32 v[20:21], v[6:7], v[8:9]
	v_dual_mov_b32 v8, 0 :: v_dual_mov_b32 v14, v21
	s_delay_alu instid0(VALU_DEP_1) | instskip(SKIP_1) | instid1(VALU_DEP_4)
	v_dual_mov_b32 v15, v20 :: v_dual_mov_b32 v9, v8
	s_wait_kmcnt 0x0
	v_add_nc_u64_e32 v[16:17], s[10:11], v[18:19]
	v_add_nc_u64_e32 v[18:19], s[8:9], v[18:19]
.LBB161_4:                              ; =>This Inner Loop Header: Depth=1
	global_load_b32 v1, v[18:19], off
	global_load_b32 v20, v[16:17], off
	v_add_nc_u64_e32 v[12:13], 64, v[12:13]
	s_wait_xcnt 0x0
	v_add_nc_u64_e32 v[16:17], 0x100, v[16:17]
	v_add_nc_u64_e32 v[18:19], 0x100, v[18:19]
	s_delay_alu instid0(VALU_DEP_3)
	v_cmp_ge_i64_e64 s2, v[12:13], v[10:11]
	s_or_b32 s7, s2, s7
	s_wait_loadcnt 0x1
	v_subrev_nc_u32_e32 v1, s6, v1
	s_wait_loadcnt 0x0
	v_pk_fma_f32 v[20:21], v[6:7], v[20:21], v[14:15] op_sel_hi:[1,0,1]
	global_load_b64 v[22:23], v1, s[4:5] scale_offset
	s_wait_loadcnt 0x0
	v_pk_fma_f32 v[8:9], v[20:21], v[22:23], v[8:9] op_sel_hi:[1,0,1]
	s_delay_alu instid0(VALU_DEP_1)
	v_pk_fma_f32 v[8:9], v[20:21], v[22:23], v[8:9] op_sel:[1,1,0] op_sel_hi:[0,1,1] neg_lo:[1,0,0]
	s_and_not1_b32 exec_lo, exec_lo, s7
	s_cbranch_execnz .LBB161_4
; %bb.5:
	s_or_b32 exec_lo, exec_lo, s7
.LBB161_6:
	s_delay_alu instid0(SALU_CYCLE_1) | instskip(SKIP_2) | instid1(VALU_DEP_1)
	s_or_b32 exec_lo, exec_lo, s3
	v_mbcnt_lo_u32_b32 v1, -1, 0
	s_load_b64 s[2:3], s[0:1], 0x60
	v_xor_b32_e32 v10, 16, v1
	v_or_b32_e32 v6, 32, v1
	s_wait_xcnt 0x0
	s_delay_alu instid0(VALU_DEP_1) | instskip(NEXT) | instid1(VALU_DEP_1)
	v_cmp_gt_i32_e64 s0, 32, v6
	v_cndmask_b32_e64 v6, v1, v6, s0
	v_cmp_gt_i32_e64 s0, 32, v10
	s_delay_alu instid0(VALU_DEP_2) | instskip(NEXT) | instid1(VALU_DEP_2)
	v_lshlrev_b32_e32 v7, 2, v6
	v_cndmask_b32_e64 v10, v1, v10, s0
	ds_bpermute_b32 v6, v7, v8
	ds_bpermute_b32 v7, v7, v9
	v_lshlrev_b32_e32 v10, 2, v10
	s_wait_dscnt 0x0
	v_pk_add_f32 v[6:7], v[8:9], v[6:7]
	ds_bpermute_b32 v8, v10, v6
	ds_bpermute_b32 v9, v10, v7
	v_xor_b32_e32 v10, 8, v1
	s_delay_alu instid0(VALU_DEP_1) | instskip(NEXT) | instid1(VALU_DEP_1)
	v_cmp_gt_i32_e64 s0, 32, v10
	v_cndmask_b32_e64 v10, v1, v10, s0
	s_delay_alu instid0(VALU_DEP_1)
	v_lshlrev_b32_e32 v10, 2, v10
	s_wait_dscnt 0x0
	v_pk_add_f32 v[6:7], v[6:7], v[8:9]
	ds_bpermute_b32 v8, v10, v6
	ds_bpermute_b32 v9, v10, v7
	v_xor_b32_e32 v10, 4, v1
	s_delay_alu instid0(VALU_DEP_1) | instskip(NEXT) | instid1(VALU_DEP_1)
	v_cmp_gt_i32_e64 s0, 32, v10
	v_cndmask_b32_e64 v10, v1, v10, s0
	s_delay_alu instid0(VALU_DEP_1)
	;; [unrolled: 10-line block ×3, first 2 shown]
	v_lshlrev_b32_e32 v10, 2, v10
	s_wait_dscnt 0x0
	v_pk_add_f32 v[6:7], v[6:7], v[8:9]
	ds_bpermute_b32 v8, v10, v6
	ds_bpermute_b32 v9, v10, v7
	v_xor_b32_e32 v10, 1, v1
	s_delay_alu instid0(VALU_DEP_1) | instskip(NEXT) | instid1(VALU_DEP_1)
	v_cmp_gt_i32_e64 s0, 32, v10
	v_cndmask_b32_e64 v1, v1, v10, s0
	v_cmp_eq_u32_e64 s0, 63, v0
	s_delay_alu instid0(VALU_DEP_2)
	v_lshlrev_b32_e32 v1, 2, v1
	s_wait_dscnt 0x0
	v_pk_add_f32 v[6:7], v[6:7], v[8:9]
	ds_bpermute_b32 v8, v1, v6
	ds_bpermute_b32 v9, v1, v7
	s_and_b32 exec_lo, exec_lo, s0
	s_cbranch_execz .LBB161_10
; %bb.7:
	v_cmp_neq_f32_e64 s0, 0, v2
	s_wait_dscnt 0x0
	v_pk_add_f32 v[6:7], v[6:7], v[8:9]
	s_wait_kmcnt 0x0
	v_lshl_add_u64 v[0:1], v[4:5], 3, s[2:3]
	s_or_b32 s1, s0, vcc_lo
	s_delay_alu instid0(SALU_CYCLE_1)
	s_and_saveexec_b32 s0, s1
	s_cbranch_execz .LBB161_9
; %bb.8:
	global_load_b64 v[4:5], v[0:1], off
	v_xor_b32_e32 v8, 0x80000000, v3
	v_mov_b32_e32 v9, v2
	s_wait_loadcnt 0x0
	v_pk_fma_f32 v[6:7], v[2:3], v[4:5], v[6:7] op_sel_hi:[1,0,1]
	s_delay_alu instid0(VALU_DEP_1)
	v_pk_fma_f32 v[6:7], v[8:9], v[4:5], v[6:7] op_sel:[0,1,0]
.LBB161_9:
	s_or_b32 exec_lo, exec_lo, s0
	global_store_b64 v[0:1], v[6:7], off
.LBB161_10:
	s_endpgm
	.section	.rodata,"a",@progbits
	.p2align	6, 0x0
	.amdhsa_kernel _ZN9rocsparseL41csrmvn_lrb_medium_rows_warp_reduce_kernelILj256ELj64Elif21rocsparse_complex_numIfES2_S2_EEvbT1_lPT2_S5_jNS_24const_host_device_scalarIT6_EEPKS3_PKS4_PKT3_PKT4_S8_PT5_21rocsparse_index_base_b
		.amdhsa_group_segment_fixed_size 0
		.amdhsa_private_segment_fixed_size 0
		.amdhsa_kernarg_size 112
		.amdhsa_user_sgpr_count 2
		.amdhsa_user_sgpr_dispatch_ptr 0
		.amdhsa_user_sgpr_queue_ptr 0
		.amdhsa_user_sgpr_kernarg_segment_ptr 1
		.amdhsa_user_sgpr_dispatch_id 0
		.amdhsa_user_sgpr_kernarg_preload_length 0
		.amdhsa_user_sgpr_kernarg_preload_offset 0
		.amdhsa_user_sgpr_private_segment_size 0
		.amdhsa_wavefront_size32 1
		.amdhsa_uses_dynamic_stack 0
		.amdhsa_enable_private_segment 0
		.amdhsa_system_sgpr_workgroup_id_x 1
		.amdhsa_system_sgpr_workgroup_id_y 0
		.amdhsa_system_sgpr_workgroup_id_z 0
		.amdhsa_system_sgpr_workgroup_info 0
		.amdhsa_system_vgpr_workitem_id 0
		.amdhsa_next_free_vgpr 24
		.amdhsa_next_free_sgpr 12
		.amdhsa_named_barrier_count 0
		.amdhsa_reserve_vcc 1
		.amdhsa_float_round_mode_32 0
		.amdhsa_float_round_mode_16_64 0
		.amdhsa_float_denorm_mode_32 3
		.amdhsa_float_denorm_mode_16_64 3
		.amdhsa_fp16_overflow 0
		.amdhsa_memory_ordered 1
		.amdhsa_forward_progress 1
		.amdhsa_inst_pref_size 9
		.amdhsa_round_robin_scheduling 0
		.amdhsa_exception_fp_ieee_invalid_op 0
		.amdhsa_exception_fp_denorm_src 0
		.amdhsa_exception_fp_ieee_div_zero 0
		.amdhsa_exception_fp_ieee_overflow 0
		.amdhsa_exception_fp_ieee_underflow 0
		.amdhsa_exception_fp_ieee_inexact 0
		.amdhsa_exception_int_div_zero 0
	.end_amdhsa_kernel
	.section	.text._ZN9rocsparseL41csrmvn_lrb_medium_rows_warp_reduce_kernelILj256ELj64Elif21rocsparse_complex_numIfES2_S2_EEvbT1_lPT2_S5_jNS_24const_host_device_scalarIT6_EEPKS3_PKS4_PKT3_PKT4_S8_PT5_21rocsparse_index_base_b,"axG",@progbits,_ZN9rocsparseL41csrmvn_lrb_medium_rows_warp_reduce_kernelILj256ELj64Elif21rocsparse_complex_numIfES2_S2_EEvbT1_lPT2_S5_jNS_24const_host_device_scalarIT6_EEPKS3_PKS4_PKT3_PKT4_S8_PT5_21rocsparse_index_base_b,comdat
.Lfunc_end161:
	.size	_ZN9rocsparseL41csrmvn_lrb_medium_rows_warp_reduce_kernelILj256ELj64Elif21rocsparse_complex_numIfES2_S2_EEvbT1_lPT2_S5_jNS_24const_host_device_scalarIT6_EEPKS3_PKS4_PKT3_PKT4_S8_PT5_21rocsparse_index_base_b, .Lfunc_end161-_ZN9rocsparseL41csrmvn_lrb_medium_rows_warp_reduce_kernelILj256ELj64Elif21rocsparse_complex_numIfES2_S2_EEvbT1_lPT2_S5_jNS_24const_host_device_scalarIT6_EEPKS3_PKS4_PKT3_PKT4_S8_PT5_21rocsparse_index_base_b
                                        ; -- End function
	.set _ZN9rocsparseL41csrmvn_lrb_medium_rows_warp_reduce_kernelILj256ELj64Elif21rocsparse_complex_numIfES2_S2_EEvbT1_lPT2_S5_jNS_24const_host_device_scalarIT6_EEPKS3_PKS4_PKT3_PKT4_S8_PT5_21rocsparse_index_base_b.num_vgpr, 24
	.set _ZN9rocsparseL41csrmvn_lrb_medium_rows_warp_reduce_kernelILj256ELj64Elif21rocsparse_complex_numIfES2_S2_EEvbT1_lPT2_S5_jNS_24const_host_device_scalarIT6_EEPKS3_PKS4_PKT3_PKT4_S8_PT5_21rocsparse_index_base_b.num_agpr, 0
	.set _ZN9rocsparseL41csrmvn_lrb_medium_rows_warp_reduce_kernelILj256ELj64Elif21rocsparse_complex_numIfES2_S2_EEvbT1_lPT2_S5_jNS_24const_host_device_scalarIT6_EEPKS3_PKS4_PKT3_PKT4_S8_PT5_21rocsparse_index_base_b.numbered_sgpr, 12
	.set _ZN9rocsparseL41csrmvn_lrb_medium_rows_warp_reduce_kernelILj256ELj64Elif21rocsparse_complex_numIfES2_S2_EEvbT1_lPT2_S5_jNS_24const_host_device_scalarIT6_EEPKS3_PKS4_PKT3_PKT4_S8_PT5_21rocsparse_index_base_b.num_named_barrier, 0
	.set _ZN9rocsparseL41csrmvn_lrb_medium_rows_warp_reduce_kernelILj256ELj64Elif21rocsparse_complex_numIfES2_S2_EEvbT1_lPT2_S5_jNS_24const_host_device_scalarIT6_EEPKS3_PKS4_PKT3_PKT4_S8_PT5_21rocsparse_index_base_b.private_seg_size, 0
	.set _ZN9rocsparseL41csrmvn_lrb_medium_rows_warp_reduce_kernelILj256ELj64Elif21rocsparse_complex_numIfES2_S2_EEvbT1_lPT2_S5_jNS_24const_host_device_scalarIT6_EEPKS3_PKS4_PKT3_PKT4_S8_PT5_21rocsparse_index_base_b.uses_vcc, 1
	.set _ZN9rocsparseL41csrmvn_lrb_medium_rows_warp_reduce_kernelILj256ELj64Elif21rocsparse_complex_numIfES2_S2_EEvbT1_lPT2_S5_jNS_24const_host_device_scalarIT6_EEPKS3_PKS4_PKT3_PKT4_S8_PT5_21rocsparse_index_base_b.uses_flat_scratch, 1
	.set _ZN9rocsparseL41csrmvn_lrb_medium_rows_warp_reduce_kernelILj256ELj64Elif21rocsparse_complex_numIfES2_S2_EEvbT1_lPT2_S5_jNS_24const_host_device_scalarIT6_EEPKS3_PKS4_PKT3_PKT4_S8_PT5_21rocsparse_index_base_b.has_dyn_sized_stack, 0
	.set _ZN9rocsparseL41csrmvn_lrb_medium_rows_warp_reduce_kernelILj256ELj64Elif21rocsparse_complex_numIfES2_S2_EEvbT1_lPT2_S5_jNS_24const_host_device_scalarIT6_EEPKS3_PKS4_PKT3_PKT4_S8_PT5_21rocsparse_index_base_b.has_recursion, 0
	.set _ZN9rocsparseL41csrmvn_lrb_medium_rows_warp_reduce_kernelILj256ELj64Elif21rocsparse_complex_numIfES2_S2_EEvbT1_lPT2_S5_jNS_24const_host_device_scalarIT6_EEPKS3_PKS4_PKT3_PKT4_S8_PT5_21rocsparse_index_base_b.has_indirect_call, 0
	.section	.AMDGPU.csdata,"",@progbits
; Kernel info:
; codeLenInByte = 1132
; TotalNumSgprs: 14
; NumVgprs: 24
; ScratchSize: 0
; MemoryBound: 0
; FloatMode: 240
; IeeeMode: 1
; LDSByteSize: 0 bytes/workgroup (compile time only)
; SGPRBlocks: 0
; VGPRBlocks: 1
; NumSGPRsForWavesPerEU: 14
; NumVGPRsForWavesPerEU: 24
; NamedBarCnt: 0
; Occupancy: 16
; WaveLimiterHint : 1
; COMPUTE_PGM_RSRC2:SCRATCH_EN: 0
; COMPUTE_PGM_RSRC2:USER_SGPR: 2
; COMPUTE_PGM_RSRC2:TRAP_HANDLER: 0
; COMPUTE_PGM_RSRC2:TGID_X_EN: 1
; COMPUTE_PGM_RSRC2:TGID_Y_EN: 0
; COMPUTE_PGM_RSRC2:TGID_Z_EN: 0
; COMPUTE_PGM_RSRC2:TIDIG_COMP_CNT: 0
	.section	.text._ZN9rocsparseL29csrmvn_lrb_medium_rows_kernelILj256Elif21rocsparse_complex_numIfES2_S2_EEvbT0_PT1_S5_jNS_24const_host_device_scalarIT5_EEPKS3_PKS4_PKT2_PKT3_S8_PT4_21rocsparse_index_base_b,"axG",@progbits,_ZN9rocsparseL29csrmvn_lrb_medium_rows_kernelILj256Elif21rocsparse_complex_numIfES2_S2_EEvbT0_PT1_S5_jNS_24const_host_device_scalarIT5_EEPKS3_PKS4_PKT2_PKT3_S8_PT4_21rocsparse_index_base_b,comdat
	.globl	_ZN9rocsparseL29csrmvn_lrb_medium_rows_kernelILj256Elif21rocsparse_complex_numIfES2_S2_EEvbT0_PT1_S5_jNS_24const_host_device_scalarIT5_EEPKS3_PKS4_PKT2_PKT3_S8_PT4_21rocsparse_index_base_b ; -- Begin function _ZN9rocsparseL29csrmvn_lrb_medium_rows_kernelILj256Elif21rocsparse_complex_numIfES2_S2_EEvbT0_PT1_S5_jNS_24const_host_device_scalarIT5_EEPKS3_PKS4_PKT2_PKT3_S8_PT4_21rocsparse_index_base_b
	.p2align	8
	.type	_ZN9rocsparseL29csrmvn_lrb_medium_rows_kernelILj256Elif21rocsparse_complex_numIfES2_S2_EEvbT0_PT1_S5_jNS_24const_host_device_scalarIT5_EEPKS3_PKS4_PKT2_PKT3_S8_PT4_21rocsparse_index_base_b,@function
_ZN9rocsparseL29csrmvn_lrb_medium_rows_kernelILj256Elif21rocsparse_complex_numIfES2_S2_EEvbT0_PT1_S5_jNS_24const_host_device_scalarIT5_EEPKS3_PKS4_PKT2_PKT3_S8_PT4_21rocsparse_index_base_b: ; @_ZN9rocsparseL29csrmvn_lrb_medium_rows_kernelILj256Elif21rocsparse_complex_numIfES2_S2_EEvbT0_PT1_S5_jNS_24const_host_device_scalarIT5_EEPKS3_PKS4_PKT2_PKT3_S8_PT4_21rocsparse_index_base_b
; %bb.0:
	s_clause 0x2
	s_load_b64 s[6:7], s[0:1], 0x60
	s_load_b64 s[2:3], s[0:1], 0x28
	;; [unrolled: 1-line block ×3, first 2 shown]
	v_mov_b32_e32 v5, 0
	s_add_nc_u64 s[8:9], s[0:1], 40
	s_add_nc_u64 s[10:11], s[0:1], 0x50
	s_wait_kmcnt 0x0
	s_bitcmp1_b32 s7, 0
	s_mov_b32 s7, 0
	s_cselect_b32 s3, s9, s3
	s_cselect_b32 s2, s8, s2
	;; [unrolled: 1-line block ×4, first 2 shown]
	s_clause 0x1
	flat_load_b64 v[6:7], v5, s[2:3]
	flat_load_b64 v[2:3], v5, s[4:5]
	s_wait_loadcnt_dscnt 0x101
	s_wait_xcnt 0x1
	v_cmp_neq_f32_e64 s2, 0, v6
	v_cmp_neq_f32_e64 s3, 0, v7
	s_wait_loadcnt_dscnt 0x0
	v_cmp_neq_f32_e64 s4, 1.0, v2
	v_cmp_neq_f32_e32 vcc_lo, 0, v3
	s_or_b32 s2, s2, s3
	s_or_b32 s3, s4, vcc_lo
	s_delay_alu instid0(SALU_CYCLE_1) | instskip(NEXT) | instid1(SALU_CYCLE_1)
	s_or_b32 s2, s2, s3
	s_and_saveexec_b32 s3, s2
	s_cbranch_execz .LBB162_25
; %bb.1:
	s_clause 0x1
	s_load_b128 s[8:11], s[0:1], 0x10
	s_load_b32 s2, s[0:1], 0x20
	s_bfe_u32 s3, ttmp6, 0x4000c
	s_and_b32 s4, ttmp6, 15
	s_add_co_i32 s3, s3, 1
	s_getreg_b32 s5, hwreg(HW_REG_IB_STS2, 6, 4)
	s_mul_i32 s3, ttmp9, s3
	v_dual_mov_b32 v1, v5 :: v_dual_mov_b32 v4, 0
	s_add_co_i32 s4, s4, s3
	s_cmp_eq_u32 s5, 0
	s_cselect_b32 s3, ttmp9, s4
	s_delay_alu instid0(VALU_DEP_1) | instskip(SKIP_4) | instid1(SALU_CYCLE_1)
	v_sub_nc_u64_e64 v[8:9], v[0:1], s[6:7]
	s_wait_kmcnt 0x0
	s_load_b32 s2, s[10:11], s2 offset:0x0 scale_offset
	s_wait_kmcnt 0x0
	s_add_co_i32 s2, s2, s3
	s_ashr_i32 s3, s2, 31
	s_delay_alu instid0(SALU_CYCLE_1) | instskip(NEXT) | instid1(SALU_CYCLE_1)
	s_lshl_b64 s[2:3], s[2:3], 2
	s_add_nc_u64 s[2:3], s[8:9], s[2:3]
	s_load_b32 s4, s[2:3], 0x0
	s_load_b64 s[8:9], s[0:1], 0x30
	s_wait_kmcnt 0x0
	s_ashr_i32 s5, s4, 31
	s_delay_alu instid0(SALU_CYCLE_1) | instskip(NEXT) | instid1(SALU_CYCLE_1)
	s_lshl_b64 s[4:5], s[4:5], 3
	s_add_nc_u64 s[2:3], s[8:9], s[4:5]
	s_load_b128 s[8:11], s[2:3], 0x0
	s_wait_xcnt 0x0
	s_mov_b32 s3, exec_lo
	s_wait_kmcnt 0x0
	v_add_nc_u64_e32 v[8:9], s[8:9], v[8:9]
	s_sub_nc_u64 s[8:9], s[10:11], s[6:7]
	s_delay_alu instid0(VALU_DEP_1) | instid1(SALU_CYCLE_1)
	v_cmpx_gt_i64_e64 s[8:9], v[8:9]
	s_cbranch_execz .LBB162_5
; %bb.2:
	s_clause 0x1
	s_load_b128 s[12:15], s[0:1], 0x38
	s_load_b64 s[10:11], s[0:1], 0x48
	v_mov_b64_e32 v[4:5], 0x8000000000000000
	v_lshlrev_b64_e32 v[14:15], 2, v[8:9]
	s_delay_alu instid0(VALU_DEP_2) | instskip(NEXT) | instid1(VALU_DEP_1)
	v_pk_mul_f32 v[16:17], v[6:7], v[4:5]
	v_dual_mov_b32 v4, 0 :: v_dual_mov_b32 v10, v17
	s_delay_alu instid0(VALU_DEP_1) | instskip(SKIP_1) | instid1(VALU_DEP_4)
	v_dual_mov_b32 v11, v16 :: v_dual_mov_b32 v5, v4
	s_wait_kmcnt 0x0
	v_add_nc_u64_e32 v[12:13], s[14:15], v[14:15]
	v_add_nc_u64_e32 v[14:15], s[12:13], v[14:15]
.LBB162_3:                              ; =>This Inner Loop Header: Depth=1
	global_load_b32 v1, v[14:15], off
	global_load_b32 v16, v[12:13], off
	v_add_nc_u64_e32 v[8:9], 0x100, v[8:9]
	s_wait_xcnt 0x0
	v_add_nc_u64_e32 v[12:13], 0x400, v[12:13]
	v_add_nc_u64_e32 v[14:15], 0x400, v[14:15]
	s_delay_alu instid0(VALU_DEP_3)
	v_cmp_le_i64_e64 s2, s[8:9], v[8:9]
	s_or_b32 s7, s2, s7
	s_wait_loadcnt 0x1
	v_subrev_nc_u32_e32 v1, s6, v1
	s_wait_loadcnt 0x0
	v_pk_fma_f32 v[16:17], v[6:7], v[16:17], v[10:11] op_sel_hi:[1,0,1]
	global_load_b64 v[18:19], v1, s[10:11] scale_offset
	s_wait_loadcnt 0x0
	v_pk_fma_f32 v[4:5], v[16:17], v[18:19], v[4:5] op_sel_hi:[1,0,1]
	s_delay_alu instid0(VALU_DEP_1)
	v_pk_fma_f32 v[4:5], v[16:17], v[18:19], v[4:5] op_sel:[1,1,0] op_sel_hi:[0,1,1] neg_lo:[1,0,0]
	s_and_not1_b32 exec_lo, exec_lo, s7
	s_cbranch_execnz .LBB162_3
; %bb.4:
	s_or_b32 exec_lo, exec_lo, s7
.LBB162_5:
	s_delay_alu instid0(SALU_CYCLE_1)
	s_or_b32 exec_lo, exec_lo, s3
	s_load_b64 s[2:3], s[0:1], 0x58
	v_lshlrev_b32_e32 v1, 3, v0
	s_wait_xcnt 0x0
	s_mov_b32 s1, exec_lo
	ds_store_b64 v1, v[4:5]
	s_wait_dscnt 0x0
	s_barrier_signal -1
	s_barrier_wait -1
	v_cmpx_gt_u32_e32 0x80, v0
	s_cbranch_execz .LBB162_7
; %bb.6:
	ds_load_2addr_stride64_b64 v[4:7], v1 offset1:2
	s_wait_dscnt 0x0
	v_pk_add_f32 v[4:5], v[6:7], v[4:5]
	ds_store_b64 v1, v[4:5]
.LBB162_7:
	s_or_b32 exec_lo, exec_lo, s1
	s_delay_alu instid0(SALU_CYCLE_1)
	s_mov_b32 s1, exec_lo
	s_wait_dscnt 0x0
	s_barrier_signal -1
	s_barrier_wait -1
	v_cmpx_gt_u32_e32 64, v0
	s_cbranch_execz .LBB162_9
; %bb.8:
	ds_load_2addr_stride64_b64 v[4:7], v1 offset1:1
	s_wait_dscnt 0x0
	v_pk_add_f32 v[4:5], v[6:7], v[4:5]
	ds_store_b64 v1, v[4:5]
.LBB162_9:
	s_or_b32 exec_lo, exec_lo, s1
	s_delay_alu instid0(SALU_CYCLE_1)
	s_mov_b32 s1, exec_lo
	s_wait_dscnt 0x0
	s_barrier_signal -1
	s_barrier_wait -1
	v_cmpx_gt_u32_e32 32, v0
	s_cbranch_execz .LBB162_11
; %bb.10:
	ds_load_2addr_b64 v[4:7], v1 offset1:32
	s_wait_dscnt 0x0
	v_pk_add_f32 v[4:5], v[6:7], v[4:5]
	ds_store_b64 v1, v[4:5]
.LBB162_11:
	s_or_b32 exec_lo, exec_lo, s1
	s_delay_alu instid0(SALU_CYCLE_1)
	s_mov_b32 s1, exec_lo
	s_wait_dscnt 0x0
	s_barrier_signal -1
	s_barrier_wait -1
	v_cmpx_gt_u32_e32 16, v0
	s_cbranch_execz .LBB162_13
; %bb.12:
	ds_load_2addr_b64 v[4:7], v1 offset1:16
	s_wait_dscnt 0x0
	v_pk_add_f32 v[4:5], v[6:7], v[4:5]
	ds_store_b64 v1, v[4:5]
.LBB162_13:
	;; [unrolled: 14-line block ×5, first 2 shown]
	s_or_b32 exec_lo, exec_lo, s1
	v_cmp_eq_u32_e64 s0, 0, v0
	s_wait_dscnt 0x0
	s_barrier_signal -1
	s_barrier_wait -1
	s_and_saveexec_b32 s1, s0
	s_cbranch_execz .LBB162_21
; %bb.20:
	v_mov_b32_e32 v8, 0
	ds_load_2addr_b64 v[4:7], v8 offset1:1
	s_wait_dscnt 0x0
	v_pk_add_f32 v[0:1], v[6:7], v[4:5]
	ds_store_b64 v8, v[0:1]
.LBB162_21:
	s_or_b32 exec_lo, exec_lo, s1
	s_wait_dscnt 0x0
	s_barrier_signal -1
	s_barrier_wait -1
	s_and_b32 exec_lo, exec_lo, s0
	s_cbranch_execz .LBB162_25
; %bb.22:
	v_mov_b32_e32 v4, 0
	v_cmp_neq_f32_e64 s0, 0, v2
	ds_load_b64 v[0:1], v4
	s_or_b32 s1, s0, vcc_lo
	s_delay_alu instid0(SALU_CYCLE_1)
	s_and_saveexec_b32 s0, s1
	s_cbranch_execz .LBB162_24
; %bb.23:
	s_wait_kmcnt 0x0
	s_add_nc_u64 s[6:7], s[2:3], s[4:5]
	v_xor_b32_e32 v6, 0x80000000, v3
	s_load_b64 s[8:9], s[6:7], 0x0
	v_mov_b32_e32 v7, v2
	s_wait_dscnt 0x0
	s_wait_kmcnt 0x0
	v_pk_fma_f32 v[0:1], v[2:3], s[8:9], v[0:1] op_sel_hi:[1,0,1]
	v_mov_b64_e32 v[2:3], s[8:9]
	s_delay_alu instid0(VALU_DEP_1)
	v_pk_fma_f32 v[0:1], v[6:7], v[2:3], v[0:1] op_sel:[0,1,0]
.LBB162_24:
	s_or_b32 exec_lo, exec_lo, s0
	s_wait_kmcnt 0x0
	s_add_nc_u64 s[0:1], s[2:3], s[4:5]
	s_wait_dscnt 0x0
	global_store_b64 v4, v[0:1], s[0:1]
.LBB162_25:
	s_endpgm
	.section	.rodata,"a",@progbits
	.p2align	6, 0x0
	.amdhsa_kernel _ZN9rocsparseL29csrmvn_lrb_medium_rows_kernelILj256Elif21rocsparse_complex_numIfES2_S2_EEvbT0_PT1_S5_jNS_24const_host_device_scalarIT5_EEPKS3_PKS4_PKT2_PKT3_S8_PT4_21rocsparse_index_base_b
		.amdhsa_group_segment_fixed_size 2048
		.amdhsa_private_segment_fixed_size 0
		.amdhsa_kernarg_size 104
		.amdhsa_user_sgpr_count 2
		.amdhsa_user_sgpr_dispatch_ptr 0
		.amdhsa_user_sgpr_queue_ptr 0
		.amdhsa_user_sgpr_kernarg_segment_ptr 1
		.amdhsa_user_sgpr_dispatch_id 0
		.amdhsa_user_sgpr_kernarg_preload_length 0
		.amdhsa_user_sgpr_kernarg_preload_offset 0
		.amdhsa_user_sgpr_private_segment_size 0
		.amdhsa_wavefront_size32 1
		.amdhsa_uses_dynamic_stack 0
		.amdhsa_enable_private_segment 0
		.amdhsa_system_sgpr_workgroup_id_x 1
		.amdhsa_system_sgpr_workgroup_id_y 0
		.amdhsa_system_sgpr_workgroup_id_z 0
		.amdhsa_system_sgpr_workgroup_info 0
		.amdhsa_system_vgpr_workitem_id 0
		.amdhsa_next_free_vgpr 20
		.amdhsa_next_free_sgpr 16
		.amdhsa_named_barrier_count 0
		.amdhsa_reserve_vcc 1
		.amdhsa_float_round_mode_32 0
		.amdhsa_float_round_mode_16_64 0
		.amdhsa_float_denorm_mode_32 3
		.amdhsa_float_denorm_mode_16_64 3
		.amdhsa_fp16_overflow 0
		.amdhsa_memory_ordered 1
		.amdhsa_forward_progress 1
		.amdhsa_inst_pref_size 10
		.amdhsa_round_robin_scheduling 0
		.amdhsa_exception_fp_ieee_invalid_op 0
		.amdhsa_exception_fp_denorm_src 0
		.amdhsa_exception_fp_ieee_div_zero 0
		.amdhsa_exception_fp_ieee_overflow 0
		.amdhsa_exception_fp_ieee_underflow 0
		.amdhsa_exception_fp_ieee_inexact 0
		.amdhsa_exception_int_div_zero 0
	.end_amdhsa_kernel
	.section	.text._ZN9rocsparseL29csrmvn_lrb_medium_rows_kernelILj256Elif21rocsparse_complex_numIfES2_S2_EEvbT0_PT1_S5_jNS_24const_host_device_scalarIT5_EEPKS3_PKS4_PKT2_PKT3_S8_PT4_21rocsparse_index_base_b,"axG",@progbits,_ZN9rocsparseL29csrmvn_lrb_medium_rows_kernelILj256Elif21rocsparse_complex_numIfES2_S2_EEvbT0_PT1_S5_jNS_24const_host_device_scalarIT5_EEPKS3_PKS4_PKT2_PKT3_S8_PT4_21rocsparse_index_base_b,comdat
.Lfunc_end162:
	.size	_ZN9rocsparseL29csrmvn_lrb_medium_rows_kernelILj256Elif21rocsparse_complex_numIfES2_S2_EEvbT0_PT1_S5_jNS_24const_host_device_scalarIT5_EEPKS3_PKS4_PKT2_PKT3_S8_PT4_21rocsparse_index_base_b, .Lfunc_end162-_ZN9rocsparseL29csrmvn_lrb_medium_rows_kernelILj256Elif21rocsparse_complex_numIfES2_S2_EEvbT0_PT1_S5_jNS_24const_host_device_scalarIT5_EEPKS3_PKS4_PKT2_PKT3_S8_PT4_21rocsparse_index_base_b
                                        ; -- End function
	.set _ZN9rocsparseL29csrmvn_lrb_medium_rows_kernelILj256Elif21rocsparse_complex_numIfES2_S2_EEvbT0_PT1_S5_jNS_24const_host_device_scalarIT5_EEPKS3_PKS4_PKT2_PKT3_S8_PT4_21rocsparse_index_base_b.num_vgpr, 20
	.set _ZN9rocsparseL29csrmvn_lrb_medium_rows_kernelILj256Elif21rocsparse_complex_numIfES2_S2_EEvbT0_PT1_S5_jNS_24const_host_device_scalarIT5_EEPKS3_PKS4_PKT2_PKT3_S8_PT4_21rocsparse_index_base_b.num_agpr, 0
	.set _ZN9rocsparseL29csrmvn_lrb_medium_rows_kernelILj256Elif21rocsparse_complex_numIfES2_S2_EEvbT0_PT1_S5_jNS_24const_host_device_scalarIT5_EEPKS3_PKS4_PKT2_PKT3_S8_PT4_21rocsparse_index_base_b.numbered_sgpr, 16
	.set _ZN9rocsparseL29csrmvn_lrb_medium_rows_kernelILj256Elif21rocsparse_complex_numIfES2_S2_EEvbT0_PT1_S5_jNS_24const_host_device_scalarIT5_EEPKS3_PKS4_PKT2_PKT3_S8_PT4_21rocsparse_index_base_b.num_named_barrier, 0
	.set _ZN9rocsparseL29csrmvn_lrb_medium_rows_kernelILj256Elif21rocsparse_complex_numIfES2_S2_EEvbT0_PT1_S5_jNS_24const_host_device_scalarIT5_EEPKS3_PKS4_PKT2_PKT3_S8_PT4_21rocsparse_index_base_b.private_seg_size, 0
	.set _ZN9rocsparseL29csrmvn_lrb_medium_rows_kernelILj256Elif21rocsparse_complex_numIfES2_S2_EEvbT0_PT1_S5_jNS_24const_host_device_scalarIT5_EEPKS3_PKS4_PKT2_PKT3_S8_PT4_21rocsparse_index_base_b.uses_vcc, 1
	.set _ZN9rocsparseL29csrmvn_lrb_medium_rows_kernelILj256Elif21rocsparse_complex_numIfES2_S2_EEvbT0_PT1_S5_jNS_24const_host_device_scalarIT5_EEPKS3_PKS4_PKT2_PKT3_S8_PT4_21rocsparse_index_base_b.uses_flat_scratch, 1
	.set _ZN9rocsparseL29csrmvn_lrb_medium_rows_kernelILj256Elif21rocsparse_complex_numIfES2_S2_EEvbT0_PT1_S5_jNS_24const_host_device_scalarIT5_EEPKS3_PKS4_PKT2_PKT3_S8_PT4_21rocsparse_index_base_b.has_dyn_sized_stack, 0
	.set _ZN9rocsparseL29csrmvn_lrb_medium_rows_kernelILj256Elif21rocsparse_complex_numIfES2_S2_EEvbT0_PT1_S5_jNS_24const_host_device_scalarIT5_EEPKS3_PKS4_PKT2_PKT3_S8_PT4_21rocsparse_index_base_b.has_recursion, 0
	.set _ZN9rocsparseL29csrmvn_lrb_medium_rows_kernelILj256Elif21rocsparse_complex_numIfES2_S2_EEvbT0_PT1_S5_jNS_24const_host_device_scalarIT5_EEPKS3_PKS4_PKT2_PKT3_S8_PT4_21rocsparse_index_base_b.has_indirect_call, 0
	.section	.AMDGPU.csdata,"",@progbits
; Kernel info:
; codeLenInByte = 1244
; TotalNumSgprs: 18
; NumVgprs: 20
; ScratchSize: 0
; MemoryBound: 0
; FloatMode: 240
; IeeeMode: 1
; LDSByteSize: 2048 bytes/workgroup (compile time only)
; SGPRBlocks: 0
; VGPRBlocks: 1
; NumSGPRsForWavesPerEU: 18
; NumVGPRsForWavesPerEU: 20
; NamedBarCnt: 0
; Occupancy: 16
; WaveLimiterHint : 1
; COMPUTE_PGM_RSRC2:SCRATCH_EN: 0
; COMPUTE_PGM_RSRC2:USER_SGPR: 2
; COMPUTE_PGM_RSRC2:TRAP_HANDLER: 0
; COMPUTE_PGM_RSRC2:TGID_X_EN: 1
; COMPUTE_PGM_RSRC2:TGID_Y_EN: 0
; COMPUTE_PGM_RSRC2:TGID_Z_EN: 0
; COMPUTE_PGM_RSRC2:TIDIG_COMP_CNT: 0
	.section	.text._ZN9rocsparseL27csrmvn_lrb_long_rows_kernelIlif21rocsparse_complex_numIfES2_S2_EEvbT_PjPT0_S6_jNS_24const_host_device_scalarIT4_EEPKS3_PKS5_PKT1_PKT2_S9_PT3_21rocsparse_index_base_b,"axG",@progbits,_ZN9rocsparseL27csrmvn_lrb_long_rows_kernelIlif21rocsparse_complex_numIfES2_S2_EEvbT_PjPT0_S6_jNS_24const_host_device_scalarIT4_EEPKS3_PKS5_PKT1_PKT2_S9_PT3_21rocsparse_index_base_b,comdat
	.globl	_ZN9rocsparseL27csrmvn_lrb_long_rows_kernelIlif21rocsparse_complex_numIfES2_S2_EEvbT_PjPT0_S6_jNS_24const_host_device_scalarIT4_EEPKS3_PKS5_PKT1_PKT2_S9_PT3_21rocsparse_index_base_b ; -- Begin function _ZN9rocsparseL27csrmvn_lrb_long_rows_kernelIlif21rocsparse_complex_numIfES2_S2_EEvbT_PjPT0_S6_jNS_24const_host_device_scalarIT4_EEPKS3_PKS5_PKT1_PKT2_S9_PT3_21rocsparse_index_base_b
	.p2align	8
	.type	_ZN9rocsparseL27csrmvn_lrb_long_rows_kernelIlif21rocsparse_complex_numIfES2_S2_EEvbT_PjPT0_S6_jNS_24const_host_device_scalarIT4_EEPKS3_PKS5_PKT1_PKT2_S9_PT3_21rocsparse_index_base_b,@function
_ZN9rocsparseL27csrmvn_lrb_long_rows_kernelIlif21rocsparse_complex_numIfES2_S2_EEvbT_PjPT0_S6_jNS_24const_host_device_scalarIT4_EEPKS3_PKS5_PKT1_PKT2_S9_PT3_21rocsparse_index_base_b: ; @_ZN9rocsparseL27csrmvn_lrb_long_rows_kernelIlif21rocsparse_complex_numIfES2_S2_EEvbT_PjPT0_S6_jNS_24const_host_device_scalarIT4_EEPKS3_PKS5_PKT1_PKT2_S9_PT3_21rocsparse_index_base_b
; %bb.0:
	s_clause 0x2
	s_load_b64 s[16:17], s[0:1], 0x68
	s_load_b64 s[2:3], s[0:1], 0x30
	;; [unrolled: 1-line block ×3, first 2 shown]
	v_mov_b32_e32 v1, 0
	s_add_nc_u64 s[6:7], s[0:1], 48
	s_wait_kmcnt 0x0
	s_bitcmp1_b32 s17, 0
	s_cselect_b32 s3, s7, s3
	s_cselect_b32 s2, s6, s2
	flat_load_b64 v[2:3], v1, s[2:3]
	s_wait_xcnt 0x0
	s_add_nc_u64 s[2:3], s[0:1], 0x58
	s_delay_alu instid0(SALU_CYCLE_1)
	s_cselect_b32 s3, s3, s5
	s_cselect_b32 s2, s2, s4
	flat_load_b64 v[4:5], v1, s[2:3]
	s_wait_loadcnt_dscnt 0x101
	v_cmp_eq_f32_e32 vcc_lo, 0, v2
	s_wait_xcnt 0x0
	v_cmp_eq_f32_e64 s2, 0, v3
	s_and_b32 s4, vcc_lo, s2
	s_mov_b32 s2, -1
	s_and_saveexec_b32 s3, s4
	s_cbranch_execz .LBB163_2
; %bb.1:
	s_wait_loadcnt_dscnt 0x0
	v_cmp_neq_f32_e32 vcc_lo, 1.0, v4
	v_cmp_neq_f32_e64 s2, 0, v5
	s_or_b32 s2, vcc_lo, s2
	s_delay_alu instid0(SALU_CYCLE_1)
	s_or_not1_b32 s2, s2, exec_lo
.LBB163_2:
	s_or_b32 exec_lo, exec_lo, s3
	s_and_saveexec_b32 s3, s2
	s_cbranch_execz .LBB163_38
; %bb.3:
	s_load_b96 s[4:6], s[0:1], 0x20
	s_bfe_u32 s8, ttmp6, 0x4000c
	s_and_b32 s7, ttmp6, 15
	s_add_co_i32 s8, s8, 1
	s_getreg_b32 s9, hwreg(HW_REG_IB_STS2, 6, 4)
	s_mul_i32 s8, ttmp9, s8
	v_mov_b64_e32 v[6:7], 0
	s_add_co_i32 s7, s7, s8
	s_wait_kmcnt 0x0
	s_lshl_b32 s2, -1, s6
	s_load_b32 s8, s[4:5], s6 offset:0x0 scale_offset
	s_not_b32 s2, s2
	s_delay_alu instid0(SALU_CYCLE_1) | instskip(NEXT) | instid1(SALU_CYCLE_1)
	s_mul_hi_u32 s2, s2, 0x2aaaaaab
	s_lshr_b32 s2, s2, 7
	s_delay_alu instid0(SALU_CYCLE_1) | instskip(SKIP_2) | instid1(SALU_CYCLE_3)
	s_add_co_i32 s17, s2, 1
	s_not_b32 s2, s2
	s_cvt_f32_u32 s3, s17
	v_rcp_iflag_f32_e32 v1, s3
	v_nop
	s_delay_alu instid0(TRANS32_DEP_1) | instskip(SKIP_1) | instid1(SALU_CYCLE_3)
	v_readfirstlane_b32 s3, v1
	s_mul_f32 s3, s3, 0x4f7ffffe
	s_cvt_u32_f32 s3, s3
	s_delay_alu instid0(SALU_CYCLE_3) | instskip(NEXT) | instid1(SALU_CYCLE_1)
	s_mul_i32 s2, s2, s3
	s_mul_hi_u32 s2, s3, s2
	s_delay_alu instid0(SALU_CYCLE_1)
	s_add_co_i32 s3, s3, s2
	s_cmp_eq_u32 s9, 0
	s_cselect_b32 s18, ttmp9, s7
	s_wait_xcnt 0x0
	s_load_b128 s[4:7], s[0:1], 0x10
	s_mul_hi_u32 s2, s18, s3
	s_delay_alu instid0(SALU_CYCLE_1) | instskip(SKIP_2) | instid1(SALU_CYCLE_1)
	s_mul_i32 s3, s2, s17
	s_add_co_i32 s9, s2, 1
	s_sub_co_i32 s3, s18, s3
	s_sub_co_i32 s10, s3, s17
	s_cmp_ge_u32 s3, s17
	s_cselect_b32 s2, s9, s2
	s_cselect_b32 s3, s10, s3
	s_add_co_i32 s9, s2, 1
	s_cmp_ge_u32 s3, s17
	s_cselect_b32 s20, s9, s2
	s_ashr_i32 s19, s18, 31
	s_wait_kmcnt 0x0
	s_add_co_i32 s2, s20, s8
	s_delay_alu instid0(SALU_CYCLE_1) | instskip(NEXT) | instid1(SALU_CYCLE_1)
	s_ashr_i32 s3, s2, 31
	s_lshl_b64 s[2:3], s[2:3], 2
	s_delay_alu instid0(SALU_CYCLE_1)
	s_add_nc_u64 s[6:7], s[6:7], s[2:3]
	s_load_b32 s8, s[6:7], 0x0
	s_clause 0x1
	s_load_b64 s[10:11], s[0:1], 0x38
	s_load_b64 s[2:3], s[0:1], 0x60
	s_wait_kmcnt 0x0
	s_ashr_i32 s9, s8, 31
	s_delay_alu instid0(SALU_CYCLE_1)
	s_lshl_b64 s[6:7], s[8:9], 3
	s_lshl_b64 s[8:9], s[18:19], 2
	s_add_nc_u64 s[14:15], s[10:11], s[6:7]
	s_add_nc_u64 s[12:13], s[4:5], s[8:9]
	s_load_b128 s[8:11], s[14:15], 0x0
	s_load_b32 s22, s[12:13], 0x0
	s_wait_xcnt 0x0
	s_mul_i32 s14, s20, s17
	s_mov_b32 s19, 0
	s_sub_co_i32 s15, s18, s14
	s_mov_b32 s17, exec_lo
	v_or_b32_e32 v1, s15, v0
	s_delay_alu instid0(VALU_DEP_1)
	v_cmpx_eq_u32_e32 0, v1
	s_cbranch_execz .LBB163_7
; %bb.4:
	s_add_nc_u64 s[24:25], s[2:3], s[6:7]
	s_wait_loadcnt_dscnt 0x0
	v_add_f32_e32 v7, -1.0, v4
	s_load_b64 s[20:21], s[24:25], 0x0
	v_xor_b32_e32 v6, 0x80000000, v5
	s_mov_b32 s18, exec_lo
	s_mov_b32 s23, exec_lo
	v_mbcnt_lo_u32_b32 v1, s18, 0
	v_mov_b32_e32 v4, v7
	global_wb scope:SCOPE_DEV
	s_wait_storecnt 0x0
	global_inv scope:SCOPE_DEV
	s_wait_kmcnt 0x0
	v_mov_b64_e32 v[8:9], s[20:21]
	s_delay_alu instid0(VALU_DEP_1)
	v_pk_mul_f32 v[6:7], v[8:9], v[6:7] op_sel:[1,0]
	v_cmpx_eq_u32_e32 0, v1
	s_cbranch_execz .LBB163_6
; %bb.5:
	s_bcnt1_i32_b32 s18, s18
	s_delay_alu instid0(SALU_CYCLE_1) | instskip(NEXT) | instid1(SALU_CYCLE_1)
	s_and_b32 s18, s18, 1
	v_dual_mov_b32 v1, s14 :: v_dual_mov_b32 v8, s18
	global_atomic_xor_b32 v1, v8, s[4:5] scale_offset scope:SCOPE_DEV
.LBB163_6:
	s_wait_xcnt 0x0
	s_or_b32 exec_lo, exec_lo, s23
	v_pk_fma_f32 v[6:7], v[4:5], s[20:21], v[6:7] op_sel_hi:[1,0,1]
.LBB163_7:
	s_or_b32 exec_lo, exec_lo, s17
	s_mul_i32 s18, s15, 3
	s_mov_b32 s17, s19
	s_lshl_b64 s[18:19], s[18:19], 8
	s_wait_kmcnt 0x0
	s_sub_nc_u64 s[8:9], s[8:9], s[16:17]
	s_sub_nc_u64 s[10:11], s[10:11], s[16:17]
	s_add_nc_u64 s[8:9], s[8:9], s[18:19]
	v_mov_b32_e32 v1, 0
	s_add_nc_u64 s[18:19], s[8:9], 0x300
	s_wait_loadcnt_dscnt 0x0
	v_min_i64 v[4:5], s[18:19], s[10:11]
	s_mov_b32 s10, exec_lo
	v_add_nc_u64_e32 v[8:9], s[8:9], v[0:1]
	s_delay_alu instid0(VALU_DEP_1)
	v_cmpx_lt_i64_e64 v[8:9], v[4:5]
	s_cbranch_execz .LBB163_11
; %bb.8:
	s_clause 0x1
	s_load_b128 s[24:27], s[0:1], 0x40
	s_load_b64 s[8:9], s[0:1], 0x50
	v_mov_b64_e32 v[10:11], 0x8000000000000000
	v_lshlrev_b64_e32 v[12:13], 2, v[8:9]
	s_wait_xcnt 0x0
	s_mov_b32 s0, 0
	s_delay_alu instid0(VALU_DEP_2) | instskip(NEXT) | instid1(VALU_DEP_1)
	v_pk_mul_f32 v[16:17], v[2:3], v[10:11]
	v_dual_mov_b32 v14, v17 :: v_dual_mov_b32 v15, v16
	s_wait_kmcnt 0x0
	s_delay_alu instid0(VALU_DEP_3)
	v_add_nc_u64_e32 v[10:11], s[26:27], v[12:13]
	v_add_nc_u64_e32 v[12:13], s[24:25], v[12:13]
.LBB163_9:                              ; =>This Inner Loop Header: Depth=1
	global_load_b32 v1, v[12:13], off
	global_load_b32 v16, v[10:11], off
	v_add_nc_u64_e32 v[8:9], 0x100, v[8:9]
	s_wait_xcnt 0x0
	v_add_nc_u64_e32 v[10:11], 0x400, v[10:11]
	v_add_nc_u64_e32 v[12:13], 0x400, v[12:13]
	s_delay_alu instid0(VALU_DEP_3)
	v_cmp_ge_i64_e32 vcc_lo, v[8:9], v[4:5]
	s_or_b32 s0, vcc_lo, s0
	s_wait_loadcnt 0x1
	v_subrev_nc_u32_e32 v1, s16, v1
	s_wait_loadcnt 0x0
	v_pk_fma_f32 v[16:17], v[2:3], v[16:17], v[14:15] op_sel_hi:[1,0,1]
	global_load_b64 v[18:19], v1, s[8:9] scale_offset
	s_wait_loadcnt 0x0
	v_pk_fma_f32 v[6:7], v[16:17], v[18:19], v[6:7] op_sel_hi:[1,0,1]
	s_delay_alu instid0(VALU_DEP_1)
	v_pk_fma_f32 v[6:7], v[16:17], v[18:19], v[6:7] op_sel:[1,1,0] op_sel_hi:[0,1,1] neg_lo:[1,0,0]
	s_wait_xcnt 0x0
	s_and_not1_b32 exec_lo, exec_lo, s0
	s_cbranch_execnz .LBB163_9
; %bb.10:
	s_or_b32 exec_lo, exec_lo, s0
.LBB163_11:
	s_delay_alu instid0(SALU_CYCLE_1)
	s_or_b32 exec_lo, exec_lo, s10
	v_lshlrev_b32_e32 v1, 3, v0
	s_mov_b32 s0, exec_lo
	ds_store_b64 v1, v[6:7]
	s_wait_storecnt_dscnt 0x0
	s_barrier_signal -1
	s_barrier_wait -1
	v_cmpx_gt_u32_e32 0x80, v0
	s_cbranch_execz .LBB163_13
; %bb.12:
	ds_load_2addr_stride64_b64 v[2:5], v1 offset1:2
	s_wait_dscnt 0x0
	v_pk_add_f32 v[2:3], v[4:5], v[2:3]
	ds_store_b64 v1, v[2:3]
.LBB163_13:
	s_or_b32 exec_lo, exec_lo, s0
	s_delay_alu instid0(SALU_CYCLE_1)
	s_mov_b32 s0, exec_lo
	s_wait_dscnt 0x0
	s_barrier_signal -1
	s_barrier_wait -1
	v_cmpx_gt_u32_e32 64, v0
	s_cbranch_execz .LBB163_15
; %bb.14:
	ds_load_2addr_stride64_b64 v[2:5], v1 offset1:1
	s_wait_dscnt 0x0
	v_pk_add_f32 v[2:3], v[4:5], v[2:3]
	ds_store_b64 v1, v[2:3]
.LBB163_15:
	s_or_b32 exec_lo, exec_lo, s0
	s_delay_alu instid0(SALU_CYCLE_1)
	s_mov_b32 s0, exec_lo
	s_wait_dscnt 0x0
	s_barrier_signal -1
	s_barrier_wait -1
	v_cmpx_gt_u32_e32 32, v0
	s_cbranch_execz .LBB163_17
; %bb.16:
	ds_load_2addr_b64 v[2:5], v1 offset1:32
	s_wait_dscnt 0x0
	v_pk_add_f32 v[2:3], v[4:5], v[2:3]
	ds_store_b64 v1, v[2:3]
.LBB163_17:
	s_or_b32 exec_lo, exec_lo, s0
	s_delay_alu instid0(SALU_CYCLE_1)
	s_mov_b32 s0, exec_lo
	s_wait_dscnt 0x0
	s_barrier_signal -1
	s_barrier_wait -1
	v_cmpx_gt_u32_e32 16, v0
	s_cbranch_execz .LBB163_19
; %bb.18:
	ds_load_2addr_b64 v[2:5], v1 offset1:16
	s_wait_dscnt 0x0
	v_pk_add_f32 v[2:3], v[4:5], v[2:3]
	ds_store_b64 v1, v[2:3]
.LBB163_19:
	;; [unrolled: 14-line block ×5, first 2 shown]
	s_or_b32 exec_lo, exec_lo, s0
	v_cmp_eq_u32_e32 vcc_lo, 0, v0
	s_wait_dscnt 0x0
	s_barrier_signal -1
	s_barrier_wait -1
	s_and_saveexec_b32 s0, vcc_lo
	s_cbranch_execz .LBB163_27
; %bb.26:
	v_mov_b32_e32 v4, 0
	ds_load_2addr_b64 v[0:3], v4 offset1:1
	s_wait_dscnt 0x0
	v_pk_add_f32 v[0:1], v[2:3], v[0:1]
	ds_store_b64 v4, v[0:1]
.LBB163_27:
	s_or_b32 exec_lo, exec_lo, s0
	s_wait_dscnt 0x0
	s_barrier_signal -1
	s_barrier_wait -1
	s_and_b32 exec_lo, exec_lo, vcc_lo
	s_cbranch_execz .LBB163_38
; %bb.28:
	s_cmp_eq_u32 s15, 0
	s_cbranch_scc1 .LBB163_34
; %bb.29:
	s_ashr_i32 s15, s14, 31
	v_mov_b32_e32 v0, 0
	s_lshl_b64 s[0:1], s[14:15], 2
	s_delay_alu instid0(SALU_CYCLE_1)
	s_add_nc_u64 s[0:1], s[4:5], s[0:1]
	s_branch .LBB163_31
.LBB163_30:                             ;   in Loop: Header=BB163_31 Depth=1
	s_wait_xcnt 0x0
	s_or_b32 exec_lo, exec_lo, s4
	s_wait_loadcnt 0x0
	v_readfirstlane_b32 s4, v1
	s_cmp_eq_u32 s4, s22
	s_cbranch_scc0 .LBB163_33
.LBB163_31:                             ; =>This Inner Loop Header: Depth=1
	v_mbcnt_lo_u32_b32 v1, exec_lo, 0
	s_delay_alu instid0(VALU_DEP_1)
	v_cmp_eq_u32_e32 vcc_lo, 0, v1
                                        ; implicit-def: $vgpr1
	s_and_saveexec_b32 s4, vcc_lo
	s_cbranch_execz .LBB163_30
; %bb.32:                               ;   in Loop: Header=BB163_31 Depth=1
	global_load_b32 v1, v0, s[0:1] scope:SCOPE_DEV
	s_branch .LBB163_30
.LBB163_33:
	v_mov_b32_e32 v0, 0
	global_load_u16 v1, v0, s[12:13]
	s_wait_loadcnt 0x0
	v_xor_b32_e32 v1, 1, v1
	global_store_b16 v0, v1, s[12:13]
.LBB163_34:
	v_mov_b32_e32 v2, 0
	s_mov_b32 s4, exec_lo
	s_add_nc_u64 s[0:1], s[2:3], s[6:7]
	v_mbcnt_lo_u32_b32 v3, s4, 0
	s_mov_b32 s2, exec_lo
	s_wait_xcnt 0x0
	ds_load_b64 v[0:1], v2
	v_cmpx_eq_u32_e32 0, v3
	s_cbranch_execz .LBB163_36
; %bb.35:
	s_bcnt1_i32_b32 s3, s4
	s_delay_alu instid0(SALU_CYCLE_1) | instskip(SKIP_1) | instid1(VALU_DEP_1)
	v_cvt_f32_ubyte0_e32 v3, s3
	s_wait_dscnt 0x0
	v_mul_f32_e32 v0, v0, v3
	global_atomic_add_f32 v2, v0, s[0:1] scope:SCOPE_DEV
.LBB163_36:
	s_wait_xcnt 0x0
	s_or_b32 exec_lo, exec_lo, s2
	s_delay_alu instid0(SALU_CYCLE_1) | instskip(SKIP_2) | instid1(VALU_DEP_1)
	s_mov_b32 s2, exec_lo
	s_wait_dscnt 0x0
	v_mbcnt_lo_u32_b32 v0, s2, 0
	v_cmp_eq_u32_e32 vcc_lo, 0, v0
	s_and_b32 s3, exec_lo, vcc_lo
	s_delay_alu instid0(SALU_CYCLE_1)
	s_mov_b32 exec_lo, s3
	s_cbranch_execz .LBB163_38
; %bb.37:
	s_bcnt1_i32_b32 s2, s2
	s_delay_alu instid0(SALU_CYCLE_1) | instskip(NEXT) | instid1(VALU_DEP_1)
	v_cvt_f32_ubyte0_e32 v0, s2
	v_dual_mul_f32 v0, v1, v0 :: v_dual_mov_b32 v1, 0
	global_atomic_add_f32 v1, v0, s[0:1] offset:4 scope:SCOPE_DEV
.LBB163_38:
	s_endpgm
	.section	.rodata,"a",@progbits
	.p2align	6, 0x0
	.amdhsa_kernel _ZN9rocsparseL27csrmvn_lrb_long_rows_kernelIlif21rocsparse_complex_numIfES2_S2_EEvbT_PjPT0_S6_jNS_24const_host_device_scalarIT4_EEPKS3_PKS5_PKT1_PKT2_S9_PT3_21rocsparse_index_base_b
		.amdhsa_group_segment_fixed_size 2048
		.amdhsa_private_segment_fixed_size 0
		.amdhsa_kernarg_size 112
		.amdhsa_user_sgpr_count 2
		.amdhsa_user_sgpr_dispatch_ptr 0
		.amdhsa_user_sgpr_queue_ptr 0
		.amdhsa_user_sgpr_kernarg_segment_ptr 1
		.amdhsa_user_sgpr_dispatch_id 0
		.amdhsa_user_sgpr_kernarg_preload_length 0
		.amdhsa_user_sgpr_kernarg_preload_offset 0
		.amdhsa_user_sgpr_private_segment_size 0
		.amdhsa_wavefront_size32 1
		.amdhsa_uses_dynamic_stack 0
		.amdhsa_enable_private_segment 0
		.amdhsa_system_sgpr_workgroup_id_x 1
		.amdhsa_system_sgpr_workgroup_id_y 0
		.amdhsa_system_sgpr_workgroup_id_z 0
		.amdhsa_system_sgpr_workgroup_info 0
		.amdhsa_system_vgpr_workitem_id 0
		.amdhsa_next_free_vgpr 20
		.amdhsa_next_free_sgpr 28
		.amdhsa_named_barrier_count 0
		.amdhsa_reserve_vcc 1
		.amdhsa_float_round_mode_32 0
		.amdhsa_float_round_mode_16_64 0
		.amdhsa_float_denorm_mode_32 3
		.amdhsa_float_denorm_mode_16_64 3
		.amdhsa_fp16_overflow 0
		.amdhsa_memory_ordered 1
		.amdhsa_forward_progress 1
		.amdhsa_inst_pref_size 14
		.amdhsa_round_robin_scheduling 0
		.amdhsa_exception_fp_ieee_invalid_op 0
		.amdhsa_exception_fp_denorm_src 0
		.amdhsa_exception_fp_ieee_div_zero 0
		.amdhsa_exception_fp_ieee_overflow 0
		.amdhsa_exception_fp_ieee_underflow 0
		.amdhsa_exception_fp_ieee_inexact 0
		.amdhsa_exception_int_div_zero 0
	.end_amdhsa_kernel
	.section	.text._ZN9rocsparseL27csrmvn_lrb_long_rows_kernelIlif21rocsparse_complex_numIfES2_S2_EEvbT_PjPT0_S6_jNS_24const_host_device_scalarIT4_EEPKS3_PKS5_PKT1_PKT2_S9_PT3_21rocsparse_index_base_b,"axG",@progbits,_ZN9rocsparseL27csrmvn_lrb_long_rows_kernelIlif21rocsparse_complex_numIfES2_S2_EEvbT_PjPT0_S6_jNS_24const_host_device_scalarIT4_EEPKS3_PKS5_PKT1_PKT2_S9_PT3_21rocsparse_index_base_b,comdat
.Lfunc_end163:
	.size	_ZN9rocsparseL27csrmvn_lrb_long_rows_kernelIlif21rocsparse_complex_numIfES2_S2_EEvbT_PjPT0_S6_jNS_24const_host_device_scalarIT4_EEPKS3_PKS5_PKT1_PKT2_S9_PT3_21rocsparse_index_base_b, .Lfunc_end163-_ZN9rocsparseL27csrmvn_lrb_long_rows_kernelIlif21rocsparse_complex_numIfES2_S2_EEvbT_PjPT0_S6_jNS_24const_host_device_scalarIT4_EEPKS3_PKS5_PKT1_PKT2_S9_PT3_21rocsparse_index_base_b
                                        ; -- End function
	.set _ZN9rocsparseL27csrmvn_lrb_long_rows_kernelIlif21rocsparse_complex_numIfES2_S2_EEvbT_PjPT0_S6_jNS_24const_host_device_scalarIT4_EEPKS3_PKS5_PKT1_PKT2_S9_PT3_21rocsparse_index_base_b.num_vgpr, 20
	.set _ZN9rocsparseL27csrmvn_lrb_long_rows_kernelIlif21rocsparse_complex_numIfES2_S2_EEvbT_PjPT0_S6_jNS_24const_host_device_scalarIT4_EEPKS3_PKS5_PKT1_PKT2_S9_PT3_21rocsparse_index_base_b.num_agpr, 0
	.set _ZN9rocsparseL27csrmvn_lrb_long_rows_kernelIlif21rocsparse_complex_numIfES2_S2_EEvbT_PjPT0_S6_jNS_24const_host_device_scalarIT4_EEPKS3_PKS5_PKT1_PKT2_S9_PT3_21rocsparse_index_base_b.numbered_sgpr, 28
	.set _ZN9rocsparseL27csrmvn_lrb_long_rows_kernelIlif21rocsparse_complex_numIfES2_S2_EEvbT_PjPT0_S6_jNS_24const_host_device_scalarIT4_EEPKS3_PKS5_PKT1_PKT2_S9_PT3_21rocsparse_index_base_b.num_named_barrier, 0
	.set _ZN9rocsparseL27csrmvn_lrb_long_rows_kernelIlif21rocsparse_complex_numIfES2_S2_EEvbT_PjPT0_S6_jNS_24const_host_device_scalarIT4_EEPKS3_PKS5_PKT1_PKT2_S9_PT3_21rocsparse_index_base_b.private_seg_size, 0
	.set _ZN9rocsparseL27csrmvn_lrb_long_rows_kernelIlif21rocsparse_complex_numIfES2_S2_EEvbT_PjPT0_S6_jNS_24const_host_device_scalarIT4_EEPKS3_PKS5_PKT1_PKT2_S9_PT3_21rocsparse_index_base_b.uses_vcc, 1
	.set _ZN9rocsparseL27csrmvn_lrb_long_rows_kernelIlif21rocsparse_complex_numIfES2_S2_EEvbT_PjPT0_S6_jNS_24const_host_device_scalarIT4_EEPKS3_PKS5_PKT1_PKT2_S9_PT3_21rocsparse_index_base_b.uses_flat_scratch, 0
	.set _ZN9rocsparseL27csrmvn_lrb_long_rows_kernelIlif21rocsparse_complex_numIfES2_S2_EEvbT_PjPT0_S6_jNS_24const_host_device_scalarIT4_EEPKS3_PKS5_PKT1_PKT2_S9_PT3_21rocsparse_index_base_b.has_dyn_sized_stack, 0
	.set _ZN9rocsparseL27csrmvn_lrb_long_rows_kernelIlif21rocsparse_complex_numIfES2_S2_EEvbT_PjPT0_S6_jNS_24const_host_device_scalarIT4_EEPKS3_PKS5_PKT1_PKT2_S9_PT3_21rocsparse_index_base_b.has_recursion, 0
	.set _ZN9rocsparseL27csrmvn_lrb_long_rows_kernelIlif21rocsparse_complex_numIfES2_S2_EEvbT_PjPT0_S6_jNS_24const_host_device_scalarIT4_EEPKS3_PKS5_PKT1_PKT2_S9_PT3_21rocsparse_index_base_b.has_indirect_call, 0
	.section	.AMDGPU.csdata,"",@progbits
; Kernel info:
; codeLenInByte = 1784
; TotalNumSgprs: 30
; NumVgprs: 20
; ScratchSize: 0
; MemoryBound: 0
; FloatMode: 240
; IeeeMode: 1
; LDSByteSize: 2048 bytes/workgroup (compile time only)
; SGPRBlocks: 0
; VGPRBlocks: 1
; NumSGPRsForWavesPerEU: 30
; NumVGPRsForWavesPerEU: 20
; NamedBarCnt: 0
; Occupancy: 16
; WaveLimiterHint : 1
; COMPUTE_PGM_RSRC2:SCRATCH_EN: 0
; COMPUTE_PGM_RSRC2:USER_SGPR: 2
; COMPUTE_PGM_RSRC2:TRAP_HANDLER: 0
; COMPUTE_PGM_RSRC2:TGID_X_EN: 1
; COMPUTE_PGM_RSRC2:TGID_Y_EN: 0
; COMPUTE_PGM_RSRC2:TGID_Z_EN: 0
; COMPUTE_PGM_RSRC2:TIDIG_COMP_CNT: 0
	.section	.text._ZN9rocsparseL28csrmvn_lrb_short_rows_kernelIllf21rocsparse_complex_numIfES2_S2_EEvbT_PT0_S5_jNS_24const_host_device_scalarIT4_EEPKS3_PKS4_PKT1_PKT2_S8_PT3_21rocsparse_index_base_b,"axG",@progbits,_ZN9rocsparseL28csrmvn_lrb_short_rows_kernelIllf21rocsparse_complex_numIfES2_S2_EEvbT_PT0_S5_jNS_24const_host_device_scalarIT4_EEPKS3_PKS4_PKT1_PKT2_S8_PT3_21rocsparse_index_base_b,comdat
	.globl	_ZN9rocsparseL28csrmvn_lrb_short_rows_kernelIllf21rocsparse_complex_numIfES2_S2_EEvbT_PT0_S5_jNS_24const_host_device_scalarIT4_EEPKS3_PKS4_PKT1_PKT2_S8_PT3_21rocsparse_index_base_b ; -- Begin function _ZN9rocsparseL28csrmvn_lrb_short_rows_kernelIllf21rocsparse_complex_numIfES2_S2_EEvbT_PT0_S5_jNS_24const_host_device_scalarIT4_EEPKS3_PKS4_PKT1_PKT2_S8_PT3_21rocsparse_index_base_b
	.p2align	8
	.type	_ZN9rocsparseL28csrmvn_lrb_short_rows_kernelIllf21rocsparse_complex_numIfES2_S2_EEvbT_PT0_S5_jNS_24const_host_device_scalarIT4_EEPKS3_PKS4_PKT1_PKT2_S8_PT3_21rocsparse_index_base_b,@function
_ZN9rocsparseL28csrmvn_lrb_short_rows_kernelIllf21rocsparse_complex_numIfES2_S2_EEvbT_PT0_S5_jNS_24const_host_device_scalarIT4_EEPKS3_PKS4_PKT1_PKT2_S8_PT3_21rocsparse_index_base_b: ; @_ZN9rocsparseL28csrmvn_lrb_short_rows_kernelIllf21rocsparse_complex_numIfES2_S2_EEvbT_PT0_S5_jNS_24const_host_device_scalarIT4_EEPKS3_PKS4_PKT1_PKT2_S8_PT3_21rocsparse_index_base_b
; %bb.0:
	s_clause 0x2
	s_load_b64 s[16:17], s[0:1], 0x60
	s_load_b64 s[2:3], s[0:1], 0x28
	;; [unrolled: 1-line block ×3, first 2 shown]
	v_mov_b32_e32 v1, 0
	s_add_nc_u64 s[6:7], s[0:1], 40
	s_add_nc_u64 s[8:9], s[0:1], 0x50
	s_wait_kmcnt 0x0
	s_bitcmp1_b32 s17, 0
	s_cselect_b32 s3, s7, s3
	s_cselect_b32 s2, s6, s2
	s_cselect_b32 s5, s9, s5
	s_cselect_b32 s4, s8, s4
	s_clause 0x1
	flat_load_b64 v[8:9], v1, s[2:3]
	flat_load_b64 v[6:7], v1, s[4:5]
	s_wait_loadcnt_dscnt 0x101
	s_wait_xcnt 0x1
	v_cmp_neq_f32_e64 s2, 0, v8
	v_cmp_neq_f32_e64 s3, 0, v9
	s_wait_loadcnt_dscnt 0x0
	v_cmp_neq_f32_e64 s4, 1.0, v6
	v_cmp_neq_f32_e32 vcc_lo, 0, v7
	s_or_b32 s2, s2, s3
	s_mov_b32 s3, 0
	s_or_b32 s4, s4, vcc_lo
	s_delay_alu instid0(SALU_CYCLE_1) | instskip(NEXT) | instid1(SALU_CYCLE_1)
	s_or_b32 s2, s2, s4
	s_and_saveexec_b32 s4, s2
	s_cbranch_execz .LBB164_15
; %bb.1:
	s_clause 0x1
	s_load_b32 s22, s[0:1], 0x20
	s_load_b128 s[12:15], s[0:1], 0x10
	s_getreg_b32 s5, hwreg(HW_REG_IB_STS2, 6, 4)
	s_wait_kmcnt 0x0
	s_add_co_i32 s2, s22, 1
	s_delay_alu instid0(SALU_CYCLE_1) | instskip(NEXT) | instid1(SALU_CYCLE_1)
	s_lshl_b64 s[2:3], s[2:3], 3
	s_add_nc_u64 s[2:3], s[14:15], s[2:3]
	s_clause 0x1
	s_load_b64 s[18:19], s[14:15], s22 offset:0x0 scale_offset
	s_load_b32 s4, s[2:3], 0x0
	s_wait_xcnt 0x0
	s_bfe_u32 s2, ttmp6, 0x4000c
	s_and_b32 s3, ttmp6, 15
	s_add_co_i32 s2, s2, 1
	s_delay_alu instid0(SALU_CYCLE_1) | instskip(NEXT) | instid1(SALU_CYCLE_1)
	s_mul_i32 s2, ttmp9, s2
	s_add_co_i32 s3, s3, s2
	s_wait_kmcnt 0x0
	s_sub_co_i32 s4, s4, s18
	s_cmp_eq_u32 s5, 0
	s_cselect_b32 s2, ttmp9, s3
	s_delay_alu instid0(SALU_CYCLE_1) | instskip(NEXT) | instid1(SALU_CYCLE_1)
	s_lshl_b32 s14, s2, 8
	s_add_co_i32 s2, s14, 0x100
	s_delay_alu instid0(SALU_CYCLE_1)
	s_min_u32 s3, s4, s2
	s_cmp_gt_u32 s22, 23
	s_cbranch_scc1 .LBB164_9
; %bb.2:
	s_load_b256 s[4:11], s[0:1], 0x30
	v_mov_b64_e32 v[2:3], 0x8000000000000000
	v_bfe_u32 v10, v0, 0, s22
	v_lshl_add_u32 v1, v0, 3, 0
	s_lshl_b64 s[20:21], s[18:19], 3
	s_mov_b32 s17, 0
	s_lshl_b32 s15, 0x100, s22
	s_add_nc_u64 s[20:21], s[12:13], s[20:21]
	v_pk_mul_f32 v[2:3], v[8:9], v[2:3]
	v_mov_b32_e32 v11, 0
	s_mov_b32 s23, s17
	s_delay_alu instid0(VALU_DEP_2)
	v_dual_mov_b32 v12, v3 :: v_dual_mov_b32 v13, v2
	s_branch .LBB164_4
.LBB164_3:                              ;   in Loop: Header=BB164_4 Depth=1
	s_or_b32 exec_lo, exec_lo, s24
	v_add_nc_u32_e32 v1, 0x800, v1
	s_addk_co_i32 s23, 0x100
	s_delay_alu instid0(SALU_CYCLE_1)
	s_cmp_ge_u32 s23, s15
	s_cbranch_scc1 .LBB164_9
.LBB164_4:                              ; =>This Inner Loop Header: Depth=1
	v_add_nc_u32_e32 v2, s23, v0
	s_mov_b32 s24, exec_lo
	s_delay_alu instid0(VALU_DEP_1) | instskip(NEXT) | instid1(VALU_DEP_1)
	v_lshrrev_b32_e32 v2, s22, v2
	v_add_nc_u32_e32 v2, s14, v2
	s_delay_alu instid0(VALU_DEP_1)
	v_cmpx_gt_u32_e64 s3, v2
	s_cbranch_execz .LBB164_3
; %bb.5:                                ;   in Loop: Header=BB164_4 Depth=1
	global_load_b64 v[2:3], v2, s[20:21] scale_offset
	s_wait_loadcnt 0x0
	s_wait_kmcnt 0x0
	s_wait_xcnt 0x0
	v_lshl_add_u64 v[2:3], v[2:3], 3, s[4:5]
	global_load_b128 v[2:5], v[2:3], off
	s_wait_loadcnt 0x0
	v_sub_nc_u64_e32 v[4:5], v[4:5], v[2:3]
	s_delay_alu instid0(VALU_DEP_1) | instskip(SKIP_2) | instid1(SALU_CYCLE_1)
	v_cmp_le_i64_e64 s2, v[4:5], v[10:11]
	s_wait_xcnt 0x0
	s_and_saveexec_b32 s25, s2
	s_xor_b32 s2, exec_lo, s25
; %bb.6:                                ;   in Loop: Header=BB164_4 Depth=1
	ds_store_2addr_b32 v1, v11, v11 offset1:1
                                        ; implicit-def: $vgpr2_vgpr3
; %bb.7:                                ;   in Loop: Header=BB164_4 Depth=1
	s_and_not1_saveexec_b32 s2, s2
	s_cbranch_execz .LBB164_3
; %bb.8:                                ;   in Loop: Header=BB164_4 Depth=1
	v_sub_nc_u64_e64 v[2:3], v[2:3], s[16:17]
	s_delay_alu instid0(VALU_DEP_1) | instskip(NEXT) | instid1(VALU_DEP_1)
	v_add_nc_u64_e32 v[2:3], v[2:3], v[10:11]
	v_lshl_add_u64 v[4:5], v[2:3], 3, s[6:7]
	v_lshl_add_u64 v[2:3], v[2:3], 2, s[8:9]
	global_load_b64 v[4:5], v[4:5], off
	global_load_b32 v2, v[2:3], off
	s_wait_loadcnt 0x1
	s_wait_xcnt 0x1
	v_sub_nc_u64_e64 v[4:5], v[4:5], s[16:17]
	s_wait_loadcnt 0x0
	v_pk_fma_f32 v[2:3], v[8:9], v[2:3], v[12:13] op_sel_hi:[1,0,1]
	s_delay_alu instid0(VALU_DEP_2) | instskip(SKIP_3) | instid1(VALU_DEP_1)
	v_lshl_add_u64 v[4:5], v[4:5], 3, s[10:11]
	global_load_b64 v[4:5], v[4:5], off
	s_wait_loadcnt 0x0
	v_pk_mul_f32 v[14:15], v[4:5], v[2:3] op_sel:[1,1] op_sel_hi:[1,0] neg_lo:[0,1]
	v_pk_fma_f32 v[2:3], v[2:3], v[4:5], v[14:15] op_sel_hi:[1,0,1]
	ds_store_2addr_b32 v1, v2, v3 offset1:1
	s_branch .LBB164_3
.LBB164_9:
	s_sub_co_i32 s2, s3, s14
	s_wait_dscnt 0x0
	v_cmp_gt_u32_e64 s2, s2, v0
	s_barrier_signal -1
	s_barrier_wait -1
	s_and_b32 exec_lo, exec_lo, s2
	s_cbranch_execz .LBB164_15
; %bb.10:
	s_lshl_b64 s[2:3], s[18:19], 3
	s_mov_b32 s15, 0
	s_add_nc_u64 s[2:3], s[12:13], s[2:3]
	s_wait_kmcnt 0x0
	s_lshl_b64 s[4:5], s[14:15], 3
	v_lshlrev_b32_e32 v1, s22, v0
	s_add_nc_u64 s[2:3], s[2:3], s[4:5]
	global_load_b64 v[2:3], v0, s[2:3] scale_offset
	s_wait_xcnt 0x0
	s_load_b64 s[2:3], s[0:1], 0x58
	v_mov_b32_e32 v0, 0
	v_lshl_add_u32 v4, v1, 3, 0
	s_wait_xcnt 0x0
	s_mov_b32 s0, 1
	s_delay_alu instid0(VALU_DEP_2)
	v_mov_b32_e32 v1, v0
.LBB164_11:                             ; =>This Inner Loop Header: Depth=1
	ds_load_2addr_b32 v[8:9], v4 offset1:1
	v_add_nc_u32_e32 v4, 8, v4
	s_lshr_b32 s1, s0, s22
	s_add_co_i32 s0, s0, 1
	s_cmp_lg_u32 s1, 0
	s_wait_dscnt 0x0
	v_pk_add_f32 v[0:1], v[0:1], v[8:9]
	s_cbranch_scc0 .LBB164_11
; %bb.12:
	v_cmp_neq_f32_e64 s0, 0, v6
	s_wait_loadcnt 0x0
	s_wait_kmcnt 0x0
	v_lshl_add_u64 v[2:3], v[2:3], 3, s[2:3]
	s_or_b32 s1, s0, vcc_lo
	s_delay_alu instid0(SALU_CYCLE_1)
	s_and_saveexec_b32 s0, s1
	s_cbranch_execz .LBB164_14
; %bb.13:
	global_load_b64 v[4:5], v[2:3], off
	v_xor_b32_e32 v8, 0x80000000, v7
	v_mov_b32_e32 v9, v6
	s_wait_loadcnt 0x0
	v_pk_fma_f32 v[0:1], v[6:7], v[4:5], v[0:1] op_sel_hi:[1,0,1]
	s_delay_alu instid0(VALU_DEP_1)
	v_pk_fma_f32 v[0:1], v[8:9], v[4:5], v[0:1] op_sel:[0,1,0]
.LBB164_14:
	s_or_b32 exec_lo, exec_lo, s0
	global_store_b64 v[2:3], v[0:1], off
.LBB164_15:
	s_endpgm
	.section	.rodata,"a",@progbits
	.p2align	6, 0x0
	.amdhsa_kernel _ZN9rocsparseL28csrmvn_lrb_short_rows_kernelIllf21rocsparse_complex_numIfES2_S2_EEvbT_PT0_S5_jNS_24const_host_device_scalarIT4_EEPKS3_PKS4_PKT1_PKT2_S8_PT3_21rocsparse_index_base_b
		.amdhsa_group_segment_fixed_size 0
		.amdhsa_private_segment_fixed_size 0
		.amdhsa_kernarg_size 104
		.amdhsa_user_sgpr_count 2
		.amdhsa_user_sgpr_dispatch_ptr 0
		.amdhsa_user_sgpr_queue_ptr 0
		.amdhsa_user_sgpr_kernarg_segment_ptr 1
		.amdhsa_user_sgpr_dispatch_id 0
		.amdhsa_user_sgpr_kernarg_preload_length 0
		.amdhsa_user_sgpr_kernarg_preload_offset 0
		.amdhsa_user_sgpr_private_segment_size 0
		.amdhsa_wavefront_size32 1
		.amdhsa_uses_dynamic_stack 0
		.amdhsa_enable_private_segment 0
		.amdhsa_system_sgpr_workgroup_id_x 1
		.amdhsa_system_sgpr_workgroup_id_y 0
		.amdhsa_system_sgpr_workgroup_id_z 0
		.amdhsa_system_sgpr_workgroup_info 0
		.amdhsa_system_vgpr_workitem_id 0
		.amdhsa_next_free_vgpr 16
		.amdhsa_next_free_sgpr 26
		.amdhsa_named_barrier_count 0
		.amdhsa_reserve_vcc 1
		.amdhsa_float_round_mode_32 0
		.amdhsa_float_round_mode_16_64 0
		.amdhsa_float_denorm_mode_32 3
		.amdhsa_float_denorm_mode_16_64 3
		.amdhsa_fp16_overflow 0
		.amdhsa_memory_ordered 1
		.amdhsa_forward_progress 1
		.amdhsa_inst_pref_size 8
		.amdhsa_round_robin_scheduling 0
		.amdhsa_exception_fp_ieee_invalid_op 0
		.amdhsa_exception_fp_denorm_src 0
		.amdhsa_exception_fp_ieee_div_zero 0
		.amdhsa_exception_fp_ieee_overflow 0
		.amdhsa_exception_fp_ieee_underflow 0
		.amdhsa_exception_fp_ieee_inexact 0
		.amdhsa_exception_int_div_zero 0
	.end_amdhsa_kernel
	.section	.text._ZN9rocsparseL28csrmvn_lrb_short_rows_kernelIllf21rocsparse_complex_numIfES2_S2_EEvbT_PT0_S5_jNS_24const_host_device_scalarIT4_EEPKS3_PKS4_PKT1_PKT2_S8_PT3_21rocsparse_index_base_b,"axG",@progbits,_ZN9rocsparseL28csrmvn_lrb_short_rows_kernelIllf21rocsparse_complex_numIfES2_S2_EEvbT_PT0_S5_jNS_24const_host_device_scalarIT4_EEPKS3_PKS4_PKT1_PKT2_S8_PT3_21rocsparse_index_base_b,comdat
.Lfunc_end164:
	.size	_ZN9rocsparseL28csrmvn_lrb_short_rows_kernelIllf21rocsparse_complex_numIfES2_S2_EEvbT_PT0_S5_jNS_24const_host_device_scalarIT4_EEPKS3_PKS4_PKT1_PKT2_S8_PT3_21rocsparse_index_base_b, .Lfunc_end164-_ZN9rocsparseL28csrmvn_lrb_short_rows_kernelIllf21rocsparse_complex_numIfES2_S2_EEvbT_PT0_S5_jNS_24const_host_device_scalarIT4_EEPKS3_PKS4_PKT1_PKT2_S8_PT3_21rocsparse_index_base_b
                                        ; -- End function
	.set _ZN9rocsparseL28csrmvn_lrb_short_rows_kernelIllf21rocsparse_complex_numIfES2_S2_EEvbT_PT0_S5_jNS_24const_host_device_scalarIT4_EEPKS3_PKS4_PKT1_PKT2_S8_PT3_21rocsparse_index_base_b.num_vgpr, 16
	.set _ZN9rocsparseL28csrmvn_lrb_short_rows_kernelIllf21rocsparse_complex_numIfES2_S2_EEvbT_PT0_S5_jNS_24const_host_device_scalarIT4_EEPKS3_PKS4_PKT1_PKT2_S8_PT3_21rocsparse_index_base_b.num_agpr, 0
	.set _ZN9rocsparseL28csrmvn_lrb_short_rows_kernelIllf21rocsparse_complex_numIfES2_S2_EEvbT_PT0_S5_jNS_24const_host_device_scalarIT4_EEPKS3_PKS4_PKT1_PKT2_S8_PT3_21rocsparse_index_base_b.numbered_sgpr, 26
	.set _ZN9rocsparseL28csrmvn_lrb_short_rows_kernelIllf21rocsparse_complex_numIfES2_S2_EEvbT_PT0_S5_jNS_24const_host_device_scalarIT4_EEPKS3_PKS4_PKT1_PKT2_S8_PT3_21rocsparse_index_base_b.num_named_barrier, 0
	.set _ZN9rocsparseL28csrmvn_lrb_short_rows_kernelIllf21rocsparse_complex_numIfES2_S2_EEvbT_PT0_S5_jNS_24const_host_device_scalarIT4_EEPKS3_PKS4_PKT1_PKT2_S8_PT3_21rocsparse_index_base_b.private_seg_size, 0
	.set _ZN9rocsparseL28csrmvn_lrb_short_rows_kernelIllf21rocsparse_complex_numIfES2_S2_EEvbT_PT0_S5_jNS_24const_host_device_scalarIT4_EEPKS3_PKS4_PKT1_PKT2_S8_PT3_21rocsparse_index_base_b.uses_vcc, 1
	.set _ZN9rocsparseL28csrmvn_lrb_short_rows_kernelIllf21rocsparse_complex_numIfES2_S2_EEvbT_PT0_S5_jNS_24const_host_device_scalarIT4_EEPKS3_PKS4_PKT1_PKT2_S8_PT3_21rocsparse_index_base_b.uses_flat_scratch, 1
	.set _ZN9rocsparseL28csrmvn_lrb_short_rows_kernelIllf21rocsparse_complex_numIfES2_S2_EEvbT_PT0_S5_jNS_24const_host_device_scalarIT4_EEPKS3_PKS4_PKT1_PKT2_S8_PT3_21rocsparse_index_base_b.has_dyn_sized_stack, 0
	.set _ZN9rocsparseL28csrmvn_lrb_short_rows_kernelIllf21rocsparse_complex_numIfES2_S2_EEvbT_PT0_S5_jNS_24const_host_device_scalarIT4_EEPKS3_PKS4_PKT1_PKT2_S8_PT3_21rocsparse_index_base_b.has_recursion, 0
	.set _ZN9rocsparseL28csrmvn_lrb_short_rows_kernelIllf21rocsparse_complex_numIfES2_S2_EEvbT_PT0_S5_jNS_24const_host_device_scalarIT4_EEPKS3_PKS4_PKT1_PKT2_S8_PT3_21rocsparse_index_base_b.has_indirect_call, 0
	.section	.AMDGPU.csdata,"",@progbits
; Kernel info:
; codeLenInByte = 952
; TotalNumSgprs: 28
; NumVgprs: 16
; ScratchSize: 0
; MemoryBound: 0
; FloatMode: 240
; IeeeMode: 1
; LDSByteSize: 0 bytes/workgroup (compile time only)
; SGPRBlocks: 0
; VGPRBlocks: 0
; NumSGPRsForWavesPerEU: 28
; NumVGPRsForWavesPerEU: 16
; NamedBarCnt: 0
; Occupancy: 16
; WaveLimiterHint : 1
; COMPUTE_PGM_RSRC2:SCRATCH_EN: 0
; COMPUTE_PGM_RSRC2:USER_SGPR: 2
; COMPUTE_PGM_RSRC2:TRAP_HANDLER: 0
; COMPUTE_PGM_RSRC2:TGID_X_EN: 1
; COMPUTE_PGM_RSRC2:TGID_Y_EN: 0
; COMPUTE_PGM_RSRC2:TGID_Z_EN: 0
; COMPUTE_PGM_RSRC2:TIDIG_COMP_CNT: 0
	.section	.text._ZN9rocsparseL30csrmvn_lrb_short_rows_2_kernelIllf21rocsparse_complex_numIfES2_S2_EEvbT_PT0_S5_jNS_24const_host_device_scalarIT4_EEPKS3_PKS4_PKT1_PKT2_S8_PT3_21rocsparse_index_base_b,"axG",@progbits,_ZN9rocsparseL30csrmvn_lrb_short_rows_2_kernelIllf21rocsparse_complex_numIfES2_S2_EEvbT_PT0_S5_jNS_24const_host_device_scalarIT4_EEPKS3_PKS4_PKT1_PKT2_S8_PT3_21rocsparse_index_base_b,comdat
	.globl	_ZN9rocsparseL30csrmvn_lrb_short_rows_2_kernelIllf21rocsparse_complex_numIfES2_S2_EEvbT_PT0_S5_jNS_24const_host_device_scalarIT4_EEPKS3_PKS4_PKT1_PKT2_S8_PT3_21rocsparse_index_base_b ; -- Begin function _ZN9rocsparseL30csrmvn_lrb_short_rows_2_kernelIllf21rocsparse_complex_numIfES2_S2_EEvbT_PT0_S5_jNS_24const_host_device_scalarIT4_EEPKS3_PKS4_PKT1_PKT2_S8_PT3_21rocsparse_index_base_b
	.p2align	8
	.type	_ZN9rocsparseL30csrmvn_lrb_short_rows_2_kernelIllf21rocsparse_complex_numIfES2_S2_EEvbT_PT0_S5_jNS_24const_host_device_scalarIT4_EEPKS3_PKS4_PKT1_PKT2_S8_PT3_21rocsparse_index_base_b,@function
_ZN9rocsparseL30csrmvn_lrb_short_rows_2_kernelIllf21rocsparse_complex_numIfES2_S2_EEvbT_PT0_S5_jNS_24const_host_device_scalarIT4_EEPKS3_PKS4_PKT1_PKT2_S8_PT3_21rocsparse_index_base_b: ; @_ZN9rocsparseL30csrmvn_lrb_short_rows_2_kernelIllf21rocsparse_complex_numIfES2_S2_EEvbT_PT0_S5_jNS_24const_host_device_scalarIT4_EEPKS3_PKS4_PKT1_PKT2_S8_PT3_21rocsparse_index_base_b
; %bb.0:
	s_clause 0x2
	s_load_b64 s[16:17], s[0:1], 0x60
	s_load_b64 s[2:3], s[0:1], 0x28
	;; [unrolled: 1-line block ×3, first 2 shown]
	v_mov_b32_e32 v11, 0
	s_add_nc_u64 s[6:7], s[0:1], 40
	s_add_nc_u64 s[8:9], s[0:1], 0x50
	s_wait_kmcnt 0x0
	s_bitcmp1_b32 s17, 0
	s_mov_b32 s17, 0
	s_cselect_b32 s3, s7, s3
	s_cselect_b32 s2, s6, s2
	;; [unrolled: 1-line block ×4, first 2 shown]
	s_clause 0x1
	flat_load_b64 v[8:9], v11, s[2:3]
	flat_load_b64 v[6:7], v11, s[4:5]
	s_wait_loadcnt_dscnt 0x101
	s_wait_xcnt 0x1
	v_cmp_neq_f32_e64 s2, 0, v8
	v_cmp_neq_f32_e64 s3, 0, v9
	s_wait_loadcnt_dscnt 0x0
	v_cmp_neq_f32_e64 s4, 1.0, v6
	v_cmp_neq_f32_e32 vcc_lo, 0, v7
	s_or_b32 s2, s2, s3
	s_or_b32 s3, s4, vcc_lo
	s_delay_alu instid0(SALU_CYCLE_1) | instskip(NEXT) | instid1(SALU_CYCLE_1)
	s_or_b32 s2, s2, s3
	s_and_saveexec_b32 s3, s2
	s_cbranch_execz .LBB165_30
; %bb.1:
	s_clause 0x1
	s_load_b32 s18, s[0:1], 0x20
	s_load_b128 s[12:15], s[0:1], 0x10
	s_mov_b32 s3, s17
	v_mov_b64_e32 v[2:3], 0x8000000000000000
	s_delay_alu instid0(VALU_DEP_1) | instskip(NEXT) | instid1(VALU_DEP_1)
	v_pk_mul_f32 v[2:3], v[8:9], v[2:3]
	v_dual_mov_b32 v12, v3 :: v_dual_mov_b32 v13, v2
	s_wait_kmcnt 0x0
	s_add_co_i32 s2, s18, 1
	s_lshr_b32 s19, 0x400, s18
	s_lshl_b64 s[2:3], s[2:3], 3
	v_lshrrev_b32_e32 v1, s18, v0
	s_add_nc_u64 s[2:3], s[14:15], s[2:3]
	s_clause 0x1
	s_load_b64 s[22:23], s[14:15], s18 offset:0x0 scale_offset
	s_load_b32 s20, s[2:3], 0x0
	s_load_b256 s[4:11], s[0:1], 0x30
	s_wait_xcnt 0x0
	s_bfe_u32 s2, ttmp6, 0x4000c
	s_and_b32 s3, ttmp6, 15
	s_add_co_i32 s2, s2, 1
	s_getreg_b32 s14, hwreg(HW_REG_IB_STS2, 6, 4)
	s_mul_i32 s2, ttmp9, s2
	v_bfe_u32 v10, v0, 0, s18
	s_add_co_i32 s3, s3, s2
	s_wait_kmcnt 0x0
	s_sub_co_i32 s2, s20, s22
	s_cmp_eq_u32 s14, 0
	s_cselect_b32 s3, ttmp9, s3
	s_lshl_b64 s[22:23], s[22:23], 3
	s_mul_i32 s14, s19, s3
	s_add_nc_u64 s[12:13], s[12:13], s[22:23]
	v_add_nc_u32_e32 v1, s14, v1
	s_add_co_i32 s3, s14, s19
	s_delay_alu instid0(SALU_CYCLE_1) | instskip(SKIP_1) | instid1(VALU_DEP_1)
	s_min_u32 s20, s2, s3
	s_mov_b32 s3, exec_lo
	v_cmpx_gt_u32_e64 s20, v1
	s_cbranch_execz .LBB165_6
; %bb.2:
	global_load_b64 v[2:3], v1, s[12:13] scale_offset
	s_wait_loadcnt 0x0
	v_lshl_add_u64 v[2:3], v[2:3], 3, s[4:5]
	global_load_b128 v[2:5], v[2:3], off
	s_wait_loadcnt 0x0
	v_sub_nc_u64_e32 v[4:5], v[4:5], v[2:3]
	s_delay_alu instid0(VALU_DEP_1) | instskip(SKIP_1) | instid1(SALU_CYCLE_1)
	v_cmp_le_i64_e64 s2, v[4:5], v[10:11]
	s_and_saveexec_b32 s15, s2
	s_xor_b32 s2, exec_lo, s15
; %bb.3:
	v_mov_b64_e32 v[2:3], 0
	v_lshlrev_b32_e32 v1, 3, v0
	ds_store_b64 v1, v[2:3]
                                        ; implicit-def: $vgpr2_vgpr3
; %bb.4:
	s_and_not1_saveexec_b32 s2, s2
	s_cbranch_execz .LBB165_6
; %bb.5:
	v_sub_nc_u64_e64 v[2:3], v[2:3], s[16:17]
	v_lshlrev_b32_e32 v1, 3, v0
	s_delay_alu instid0(VALU_DEP_2) | instskip(NEXT) | instid1(VALU_DEP_1)
	v_add_nc_u64_e32 v[2:3], v[2:3], v[10:11]
	v_lshl_add_u64 v[4:5], v[2:3], 3, s[6:7]
	v_lshl_add_u64 v[2:3], v[2:3], 2, s[8:9]
	global_load_b64 v[4:5], v[4:5], off
	global_load_b32 v2, v[2:3], off
	s_wait_loadcnt 0x1
	s_wait_xcnt 0x1
	v_sub_nc_u64_e64 v[4:5], v[4:5], s[16:17]
	s_wait_loadcnt 0x0
	v_pk_fma_f32 v[2:3], v[8:9], v[2:3], v[12:13] op_sel_hi:[1,0,1]
	s_delay_alu instid0(VALU_DEP_2) | instskip(SKIP_3) | instid1(VALU_DEP_1)
	v_lshl_add_u64 v[4:5], v[4:5], 3, s[10:11]
	global_load_b64 v[4:5], v[4:5], off
	s_wait_loadcnt 0x0
	v_pk_mul_f32 v[14:15], v[4:5], v[2:3] op_sel:[1,1] op_sel_hi:[1,0] neg_lo:[0,1]
	v_pk_fma_f32 v[2:3], v[2:3], v[4:5], v[14:15] op_sel_hi:[1,0,1]
	ds_store_b64 v1, v[2:3]
.LBB165_6:
	s_or_b32 exec_lo, exec_lo, s3
	v_or_b32_e32 v1, 0x100, v0
	s_mov_b32 s3, exec_lo
	s_delay_alu instid0(VALU_DEP_1) | instskip(NEXT) | instid1(VALU_DEP_1)
	v_lshrrev_b32_e32 v1, s18, v1
	v_add_nc_u32_e32 v1, s14, v1
	s_delay_alu instid0(VALU_DEP_1)
	v_cmpx_gt_u32_e64 s20, v1
	s_cbranch_execz .LBB165_11
; %bb.7:
	global_load_b64 v[2:3], v1, s[12:13] scale_offset
	s_wait_loadcnt 0x0
	v_lshl_add_u64 v[2:3], v[2:3], 3, s[4:5]
	global_load_b128 v[2:5], v[2:3], off
	s_wait_loadcnt 0x0
	v_sub_nc_u64_e32 v[4:5], v[4:5], v[2:3]
	s_delay_alu instid0(VALU_DEP_1) | instskip(SKIP_1) | instid1(SALU_CYCLE_1)
	v_cmp_le_i64_e64 s2, v[4:5], v[10:11]
	s_and_saveexec_b32 s15, s2
	s_xor_b32 s2, exec_lo, s15
; %bb.8:
	v_mov_b64_e32 v[2:3], 0
	v_lshlrev_b32_e32 v1, 3, v0
	ds_store_b64 v1, v[2:3] offset:2048
                                        ; implicit-def: $vgpr2_vgpr3
; %bb.9:
	s_and_not1_saveexec_b32 s2, s2
	s_cbranch_execz .LBB165_11
; %bb.10:
	v_sub_nc_u64_e64 v[2:3], v[2:3], s[16:17]
	v_lshlrev_b32_e32 v1, 3, v0
	s_delay_alu instid0(VALU_DEP_2) | instskip(NEXT) | instid1(VALU_DEP_1)
	v_add_nc_u64_e32 v[2:3], v[2:3], v[10:11]
	v_lshl_add_u64 v[4:5], v[2:3], 3, s[6:7]
	v_lshl_add_u64 v[2:3], v[2:3], 2, s[8:9]
	global_load_b64 v[4:5], v[4:5], off
	global_load_b32 v2, v[2:3], off
	s_wait_loadcnt 0x1
	s_wait_xcnt 0x1
	v_sub_nc_u64_e64 v[4:5], v[4:5], s[16:17]
	s_wait_loadcnt 0x0
	v_pk_fma_f32 v[2:3], v[8:9], v[2:3], v[12:13] op_sel_hi:[1,0,1]
	s_delay_alu instid0(VALU_DEP_2) | instskip(SKIP_3) | instid1(VALU_DEP_1)
	v_lshl_add_u64 v[4:5], v[4:5], 3, s[10:11]
	global_load_b64 v[4:5], v[4:5], off
	s_wait_loadcnt 0x0
	v_pk_mul_f32 v[14:15], v[4:5], v[2:3] op_sel:[1,1] op_sel_hi:[1,0] neg_lo:[0,1]
	v_pk_fma_f32 v[2:3], v[2:3], v[4:5], v[14:15] op_sel_hi:[1,0,1]
	ds_store_b64 v1, v[2:3] offset:2048
.LBB165_11:
	s_or_b32 exec_lo, exec_lo, s3
	v_or_b32_e32 v1, 0x200, v0
	s_mov_b32 s3, exec_lo
	s_delay_alu instid0(VALU_DEP_1) | instskip(NEXT) | instid1(VALU_DEP_1)
	v_lshrrev_b32_e32 v1, s18, v1
	v_add_nc_u32_e32 v1, s14, v1
	s_delay_alu instid0(VALU_DEP_1)
	v_cmpx_gt_u32_e64 s20, v1
	s_cbranch_execz .LBB165_16
; %bb.12:
	global_load_b64 v[2:3], v1, s[12:13] scale_offset
	s_wait_loadcnt 0x0
	v_lshl_add_u64 v[2:3], v[2:3], 3, s[4:5]
	global_load_b128 v[2:5], v[2:3], off
	s_wait_loadcnt 0x0
	v_sub_nc_u64_e32 v[4:5], v[4:5], v[2:3]
	s_delay_alu instid0(VALU_DEP_1) | instskip(SKIP_1) | instid1(SALU_CYCLE_1)
	v_cmp_le_i64_e64 s2, v[4:5], v[10:11]
	s_and_saveexec_b32 s15, s2
	s_xor_b32 s2, exec_lo, s15
; %bb.13:
	v_mov_b64_e32 v[2:3], 0
	v_lshlrev_b32_e32 v1, 3, v0
	ds_store_b64 v1, v[2:3] offset:4096
                                        ; implicit-def: $vgpr2_vgpr3
; %bb.14:
	s_and_not1_saveexec_b32 s2, s2
	s_cbranch_execz .LBB165_16
; %bb.15:
	v_sub_nc_u64_e64 v[2:3], v[2:3], s[16:17]
	v_lshlrev_b32_e32 v1, 3, v0
	s_delay_alu instid0(VALU_DEP_2) | instskip(NEXT) | instid1(VALU_DEP_1)
	v_add_nc_u64_e32 v[2:3], v[2:3], v[10:11]
	v_lshl_add_u64 v[4:5], v[2:3], 3, s[6:7]
	v_lshl_add_u64 v[2:3], v[2:3], 2, s[8:9]
	global_load_b64 v[4:5], v[4:5], off
	global_load_b32 v2, v[2:3], off
	s_wait_loadcnt 0x1
	s_wait_xcnt 0x1
	v_sub_nc_u64_e64 v[4:5], v[4:5], s[16:17]
	s_wait_loadcnt 0x0
	v_pk_fma_f32 v[2:3], v[8:9], v[2:3], v[12:13] op_sel_hi:[1,0,1]
	s_delay_alu instid0(VALU_DEP_2) | instskip(SKIP_3) | instid1(VALU_DEP_1)
	v_lshl_add_u64 v[4:5], v[4:5], 3, s[10:11]
	global_load_b64 v[4:5], v[4:5], off
	s_wait_loadcnt 0x0
	v_pk_mul_f32 v[14:15], v[4:5], v[2:3] op_sel:[1,1] op_sel_hi:[1,0] neg_lo:[0,1]
	v_pk_fma_f32 v[2:3], v[2:3], v[4:5], v[14:15] op_sel_hi:[1,0,1]
	ds_store_b64 v1, v[2:3] offset:4096
.LBB165_16:
	s_or_b32 exec_lo, exec_lo, s3
	v_or_b32_e32 v1, 0x300, v0
	s_mov_b32 s3, exec_lo
	s_delay_alu instid0(VALU_DEP_1) | instskip(NEXT) | instid1(VALU_DEP_1)
	v_lshrrev_b32_e32 v1, s18, v1
	v_add_nc_u32_e32 v1, s14, v1
	s_delay_alu instid0(VALU_DEP_1)
	v_cmpx_gt_u32_e64 s20, v1
	s_cbranch_execz .LBB165_21
; %bb.17:
	global_load_b64 v[2:3], v1, s[12:13] scale_offset
	s_wait_xcnt 0x0
	v_lshlrev_b32_e32 v1, 3, v0
	s_wait_loadcnt 0x0
	v_lshl_add_u64 v[2:3], v[2:3], 3, s[4:5]
	global_load_b128 v[2:5], v[2:3], off
	s_wait_loadcnt 0x0
	v_sub_nc_u64_e32 v[4:5], v[4:5], v[2:3]
	s_delay_alu instid0(VALU_DEP_1) | instskip(SKIP_1) | instid1(SALU_CYCLE_1)
	v_cmp_le_i64_e64 s2, v[4:5], v[10:11]
	s_and_saveexec_b32 s4, s2
	s_xor_b32 s2, exec_lo, s4
; %bb.18:
	v_mov_b64_e32 v[2:3], 0
                                        ; implicit-def: $vgpr10_vgpr11
                                        ; implicit-def: $vgpr8_vgpr9
                                        ; implicit-def: $vgpr12_vgpr13
	ds_store_b64 v1, v[2:3] offset:6144
                                        ; implicit-def: $vgpr2_vgpr3
                                        ; implicit-def: $vgpr1
; %bb.19:
	s_and_not1_saveexec_b32 s2, s2
	s_cbranch_execz .LBB165_21
; %bb.20:
	v_sub_nc_u64_e64 v[2:3], v[2:3], s[16:17]
	s_delay_alu instid0(VALU_DEP_1) | instskip(NEXT) | instid1(VALU_DEP_1)
	v_add_nc_u64_e32 v[2:3], v[2:3], v[10:11]
	v_lshl_add_u64 v[4:5], v[2:3], 3, s[6:7]
	v_lshl_add_u64 v[2:3], v[2:3], 2, s[8:9]
	global_load_b64 v[4:5], v[4:5], off
	global_load_b32 v2, v[2:3], off
	s_wait_loadcnt 0x1
	s_wait_xcnt 0x1
	v_sub_nc_u64_e64 v[4:5], v[4:5], s[16:17]
	s_wait_loadcnt 0x0
	v_pk_fma_f32 v[2:3], v[8:9], v[2:3], v[12:13] op_sel_hi:[1,0,1]
	s_delay_alu instid0(VALU_DEP_2) | instskip(SKIP_3) | instid1(VALU_DEP_1)
	v_lshl_add_u64 v[4:5], v[4:5], 3, s[10:11]
	global_load_b64 v[4:5], v[4:5], off
	s_wait_loadcnt 0x0
	v_pk_mul_f32 v[8:9], v[4:5], v[2:3] op_sel:[1,1] op_sel_hi:[1,0] neg_lo:[0,1]
	v_pk_fma_f32 v[2:3], v[2:3], v[4:5], v[8:9] op_sel_hi:[1,0,1]
	ds_store_b64 v1, v[2:3] offset:6144
.LBB165_21:
	s_or_b32 exec_lo, exec_lo, s3
	s_cmp_lt_u32 s18, 11
	s_wait_dscnt 0x0
	s_barrier_signal -1
	s_barrier_wait -1
	s_cbranch_scc0 .LBB165_30
; %bb.22:
	s_load_b64 s[2:3], s[0:1], 0x58
	s_wait_xcnt 0x0
	v_cmp_neq_f32_e64 s0, 0, v6
	s_mov_b32 s15, 0
	v_xor_b32_e32 v2, 0x80000000, v7
	v_mov_b32_e32 v3, v6
	s_lshl_b64 s[4:5], s[14:15], 3
	s_sub_co_i32 s1, s20, s14
	s_add_nc_u64 s[4:5], s[12:13], s[4:5]
	s_or_b32 s0, s0, vcc_lo
	s_branch .LBB165_25
.LBB165_23:                             ;   in Loop: Header=BB165_25 Depth=1
	s_wait_xcnt 0x0
	s_or_b32 exec_lo, exec_lo, s7
	global_store_b64 v[8:9], v[4:5], off
.LBB165_24:                             ;   in Loop: Header=BB165_25 Depth=1
	s_wait_xcnt 0x0
	s_or_b32 exec_lo, exec_lo, s6
	s_addk_co_i32 s15, 0x100
	s_delay_alu instid0(SALU_CYCLE_1)
	s_cmp_lt_u32 s15, s19
	s_cbranch_scc0 .LBB165_30
.LBB165_25:                             ; =>This Loop Header: Depth=1
                                        ;     Child Loop BB165_27 Depth 2
	v_add_nc_u32_e32 v1, s15, v0
	s_mov_b32 s6, exec_lo
	s_delay_alu instid0(VALU_DEP_1)
	v_cmpx_gt_u32_e64 s1, v1
	s_cbranch_execz .LBB165_24
; %bb.26:                               ;   in Loop: Header=BB165_25 Depth=1
	global_load_b64 v[8:9], v1, s[4:5] scale_offset
	s_wait_xcnt 0x0
	v_dual_mov_b32 v4, 0 :: v_dual_lshlrev_b32 v1, s18, v1
	s_mov_b32 s7, 1
	s_delay_alu instid0(VALU_DEP_1)
	v_dual_lshlrev_b32 v1, 3, v1 :: v_dual_mov_b32 v5, v4
.LBB165_27:                             ;   Parent Loop BB165_25 Depth=1
                                        ; =>  This Inner Loop Header: Depth=2
	ds_load_b64 v[10:11], v1
	v_add_nc_u32_e32 v1, 8, v1
	s_lshr_b32 s8, s7, s18
	s_add_co_i32 s7, s7, 1
	s_cmp_lg_u32 s8, 0
	s_wait_dscnt 0x0
	v_pk_add_f32 v[4:5], v[4:5], v[10:11]
	s_cbranch_scc0 .LBB165_27
; %bb.28:                               ;   in Loop: Header=BB165_25 Depth=1
	s_wait_loadcnt 0x0
	s_wait_kmcnt 0x0
	v_lshl_add_u64 v[8:9], v[8:9], 3, s[2:3]
	s_and_saveexec_b32 s7, s0
	s_cbranch_execz .LBB165_23
; %bb.29:                               ;   in Loop: Header=BB165_25 Depth=1
	global_load_b64 v[10:11], v[8:9], off
	s_wait_loadcnt 0x0
	v_pk_fma_f32 v[4:5], v[6:7], v[10:11], v[4:5] op_sel_hi:[1,0,1]
	s_delay_alu instid0(VALU_DEP_1)
	v_pk_fma_f32 v[4:5], v[2:3], v[10:11], v[4:5] op_sel:[0,1,0]
	s_branch .LBB165_23
.LBB165_30:
	s_endpgm
	.section	.rodata,"a",@progbits
	.p2align	6, 0x0
	.amdhsa_kernel _ZN9rocsparseL30csrmvn_lrb_short_rows_2_kernelIllf21rocsparse_complex_numIfES2_S2_EEvbT_PT0_S5_jNS_24const_host_device_scalarIT4_EEPKS3_PKS4_PKT1_PKT2_S8_PT3_21rocsparse_index_base_b
		.amdhsa_group_segment_fixed_size 8192
		.amdhsa_private_segment_fixed_size 0
		.amdhsa_kernarg_size 104
		.amdhsa_user_sgpr_count 2
		.amdhsa_user_sgpr_dispatch_ptr 0
		.amdhsa_user_sgpr_queue_ptr 0
		.amdhsa_user_sgpr_kernarg_segment_ptr 1
		.amdhsa_user_sgpr_dispatch_id 0
		.amdhsa_user_sgpr_kernarg_preload_length 0
		.amdhsa_user_sgpr_kernarg_preload_offset 0
		.amdhsa_user_sgpr_private_segment_size 0
		.amdhsa_wavefront_size32 1
		.amdhsa_uses_dynamic_stack 0
		.amdhsa_enable_private_segment 0
		.amdhsa_system_sgpr_workgroup_id_x 1
		.amdhsa_system_sgpr_workgroup_id_y 0
		.amdhsa_system_sgpr_workgroup_id_z 0
		.amdhsa_system_sgpr_workgroup_info 0
		.amdhsa_system_vgpr_workitem_id 0
		.amdhsa_next_free_vgpr 16
		.amdhsa_next_free_sgpr 24
		.amdhsa_named_barrier_count 0
		.amdhsa_reserve_vcc 1
		.amdhsa_float_round_mode_32 0
		.amdhsa_float_round_mode_16_64 0
		.amdhsa_float_denorm_mode_32 3
		.amdhsa_float_denorm_mode_16_64 3
		.amdhsa_fp16_overflow 0
		.amdhsa_memory_ordered 1
		.amdhsa_forward_progress 1
		.amdhsa_inst_pref_size 14
		.amdhsa_round_robin_scheduling 0
		.amdhsa_exception_fp_ieee_invalid_op 0
		.amdhsa_exception_fp_denorm_src 0
		.amdhsa_exception_fp_ieee_div_zero 0
		.amdhsa_exception_fp_ieee_overflow 0
		.amdhsa_exception_fp_ieee_underflow 0
		.amdhsa_exception_fp_ieee_inexact 0
		.amdhsa_exception_int_div_zero 0
	.end_amdhsa_kernel
	.section	.text._ZN9rocsparseL30csrmvn_lrb_short_rows_2_kernelIllf21rocsparse_complex_numIfES2_S2_EEvbT_PT0_S5_jNS_24const_host_device_scalarIT4_EEPKS3_PKS4_PKT1_PKT2_S8_PT3_21rocsparse_index_base_b,"axG",@progbits,_ZN9rocsparseL30csrmvn_lrb_short_rows_2_kernelIllf21rocsparse_complex_numIfES2_S2_EEvbT_PT0_S5_jNS_24const_host_device_scalarIT4_EEPKS3_PKS4_PKT1_PKT2_S8_PT3_21rocsparse_index_base_b,comdat
.Lfunc_end165:
	.size	_ZN9rocsparseL30csrmvn_lrb_short_rows_2_kernelIllf21rocsparse_complex_numIfES2_S2_EEvbT_PT0_S5_jNS_24const_host_device_scalarIT4_EEPKS3_PKS4_PKT1_PKT2_S8_PT3_21rocsparse_index_base_b, .Lfunc_end165-_ZN9rocsparseL30csrmvn_lrb_short_rows_2_kernelIllf21rocsparse_complex_numIfES2_S2_EEvbT_PT0_S5_jNS_24const_host_device_scalarIT4_EEPKS3_PKS4_PKT1_PKT2_S8_PT3_21rocsparse_index_base_b
                                        ; -- End function
	.set _ZN9rocsparseL30csrmvn_lrb_short_rows_2_kernelIllf21rocsparse_complex_numIfES2_S2_EEvbT_PT0_S5_jNS_24const_host_device_scalarIT4_EEPKS3_PKS4_PKT1_PKT2_S8_PT3_21rocsparse_index_base_b.num_vgpr, 16
	.set _ZN9rocsparseL30csrmvn_lrb_short_rows_2_kernelIllf21rocsparse_complex_numIfES2_S2_EEvbT_PT0_S5_jNS_24const_host_device_scalarIT4_EEPKS3_PKS4_PKT1_PKT2_S8_PT3_21rocsparse_index_base_b.num_agpr, 0
	.set _ZN9rocsparseL30csrmvn_lrb_short_rows_2_kernelIllf21rocsparse_complex_numIfES2_S2_EEvbT_PT0_S5_jNS_24const_host_device_scalarIT4_EEPKS3_PKS4_PKT1_PKT2_S8_PT3_21rocsparse_index_base_b.numbered_sgpr, 24
	.set _ZN9rocsparseL30csrmvn_lrb_short_rows_2_kernelIllf21rocsparse_complex_numIfES2_S2_EEvbT_PT0_S5_jNS_24const_host_device_scalarIT4_EEPKS3_PKS4_PKT1_PKT2_S8_PT3_21rocsparse_index_base_b.num_named_barrier, 0
	.set _ZN9rocsparseL30csrmvn_lrb_short_rows_2_kernelIllf21rocsparse_complex_numIfES2_S2_EEvbT_PT0_S5_jNS_24const_host_device_scalarIT4_EEPKS3_PKS4_PKT1_PKT2_S8_PT3_21rocsparse_index_base_b.private_seg_size, 0
	.set _ZN9rocsparseL30csrmvn_lrb_short_rows_2_kernelIllf21rocsparse_complex_numIfES2_S2_EEvbT_PT0_S5_jNS_24const_host_device_scalarIT4_EEPKS3_PKS4_PKT1_PKT2_S8_PT3_21rocsparse_index_base_b.uses_vcc, 1
	.set _ZN9rocsparseL30csrmvn_lrb_short_rows_2_kernelIllf21rocsparse_complex_numIfES2_S2_EEvbT_PT0_S5_jNS_24const_host_device_scalarIT4_EEPKS3_PKS4_PKT1_PKT2_S8_PT3_21rocsparse_index_base_b.uses_flat_scratch, 1
	.set _ZN9rocsparseL30csrmvn_lrb_short_rows_2_kernelIllf21rocsparse_complex_numIfES2_S2_EEvbT_PT0_S5_jNS_24const_host_device_scalarIT4_EEPKS3_PKS4_PKT1_PKT2_S8_PT3_21rocsparse_index_base_b.has_dyn_sized_stack, 0
	.set _ZN9rocsparseL30csrmvn_lrb_short_rows_2_kernelIllf21rocsparse_complex_numIfES2_S2_EEvbT_PT0_S5_jNS_24const_host_device_scalarIT4_EEPKS3_PKS4_PKT1_PKT2_S8_PT3_21rocsparse_index_base_b.has_recursion, 0
	.set _ZN9rocsparseL30csrmvn_lrb_short_rows_2_kernelIllf21rocsparse_complex_numIfES2_S2_EEvbT_PT0_S5_jNS_24const_host_device_scalarIT4_EEPKS3_PKS4_PKT1_PKT2_S8_PT3_21rocsparse_index_base_b.has_indirect_call, 0
	.section	.AMDGPU.csdata,"",@progbits
; Kernel info:
; codeLenInByte = 1720
; TotalNumSgprs: 26
; NumVgprs: 16
; ScratchSize: 0
; MemoryBound: 0
; FloatMode: 240
; IeeeMode: 1
; LDSByteSize: 8192 bytes/workgroup (compile time only)
; SGPRBlocks: 0
; VGPRBlocks: 0
; NumSGPRsForWavesPerEU: 26
; NumVGPRsForWavesPerEU: 16
; NamedBarCnt: 0
; Occupancy: 16
; WaveLimiterHint : 1
; COMPUTE_PGM_RSRC2:SCRATCH_EN: 0
; COMPUTE_PGM_RSRC2:USER_SGPR: 2
; COMPUTE_PGM_RSRC2:TRAP_HANDLER: 0
; COMPUTE_PGM_RSRC2:TGID_X_EN: 1
; COMPUTE_PGM_RSRC2:TGID_Y_EN: 0
; COMPUTE_PGM_RSRC2:TGID_Z_EN: 0
; COMPUTE_PGM_RSRC2:TIDIG_COMP_CNT: 0
	.section	.text._ZN9rocsparseL41csrmvn_lrb_medium_rows_warp_reduce_kernelILj256ELj32Ellf21rocsparse_complex_numIfES2_S2_EEvbT1_lPT2_S5_jNS_24const_host_device_scalarIT6_EEPKS3_PKS4_PKT3_PKT4_S8_PT5_21rocsparse_index_base_b,"axG",@progbits,_ZN9rocsparseL41csrmvn_lrb_medium_rows_warp_reduce_kernelILj256ELj32Ellf21rocsparse_complex_numIfES2_S2_EEvbT1_lPT2_S5_jNS_24const_host_device_scalarIT6_EEPKS3_PKS4_PKT3_PKT4_S8_PT5_21rocsparse_index_base_b,comdat
	.globl	_ZN9rocsparseL41csrmvn_lrb_medium_rows_warp_reduce_kernelILj256ELj32Ellf21rocsparse_complex_numIfES2_S2_EEvbT1_lPT2_S5_jNS_24const_host_device_scalarIT6_EEPKS3_PKS4_PKT3_PKT4_S8_PT5_21rocsparse_index_base_b ; -- Begin function _ZN9rocsparseL41csrmvn_lrb_medium_rows_warp_reduce_kernelILj256ELj32Ellf21rocsparse_complex_numIfES2_S2_EEvbT1_lPT2_S5_jNS_24const_host_device_scalarIT6_EEPKS3_PKS4_PKT3_PKT4_S8_PT5_21rocsparse_index_base_b
	.p2align	8
	.type	_ZN9rocsparseL41csrmvn_lrb_medium_rows_warp_reduce_kernelILj256ELj32Ellf21rocsparse_complex_numIfES2_S2_EEvbT1_lPT2_S5_jNS_24const_host_device_scalarIT6_EEPKS3_PKS4_PKT3_PKT4_S8_PT5_21rocsparse_index_base_b,@function
_ZN9rocsparseL41csrmvn_lrb_medium_rows_warp_reduce_kernelILj256ELj32Ellf21rocsparse_complex_numIfES2_S2_EEvbT1_lPT2_S5_jNS_24const_host_device_scalarIT6_EEPKS3_PKS4_PKT3_PKT4_S8_PT5_21rocsparse_index_base_b: ; @_ZN9rocsparseL41csrmvn_lrb_medium_rows_warp_reduce_kernelILj256ELj32Ellf21rocsparse_complex_numIfES2_S2_EEvbT1_lPT2_S5_jNS_24const_host_device_scalarIT6_EEPKS3_PKS4_PKT3_PKT4_S8_PT5_21rocsparse_index_base_b
; %bb.0:
	s_clause 0x2
	s_load_b64 s[6:7], s[0:1], 0x68
	s_load_b64 s[2:3], s[0:1], 0x30
	;; [unrolled: 1-line block ×3, first 2 shown]
	v_mov_b32_e32 v1, 0
	s_add_nc_u64 s[8:9], s[0:1], 48
	s_add_nc_u64 s[10:11], s[0:1], 0x58
	s_wait_kmcnt 0x0
	s_bitcmp1_b32 s7, 0
	s_cselect_b32 s3, s9, s3
	s_cselect_b32 s2, s8, s2
	;; [unrolled: 1-line block ×4, first 2 shown]
	s_clause 0x1
	flat_load_b64 v[6:7], v1, s[2:3]
	flat_load_b64 v[2:3], v1, s[4:5]
	s_wait_loadcnt_dscnt 0x101
	s_wait_xcnt 0x1
	v_cmp_neq_f32_e64 s2, 0, v6
	v_cmp_neq_f32_e64 s3, 0, v7
	s_wait_loadcnt_dscnt 0x0
	v_cmp_neq_f32_e64 s4, 1.0, v2
	v_cmp_neq_f32_e32 vcc_lo, 0, v3
	s_or_b32 s2, s2, s3
	s_or_b32 s3, s4, vcc_lo
	s_delay_alu instid0(SALU_CYCLE_1) | instskip(NEXT) | instid1(SALU_CYCLE_1)
	s_or_b32 s2, s2, s3
	s_and_saveexec_b32 s3, s2
	s_cbranch_execz .LBB166_10
; %bb.1:
	s_bfe_u32 s4, ttmp6, 0x4000c
	s_load_b64 s[2:3], s[0:1], 0x10
	s_add_co_i32 s4, s4, 1
	s_and_b32 s5, ttmp6, 15
	s_mul_i32 s4, ttmp9, s4
	s_getreg_b32 s7, hwreg(HW_REG_IB_STS2, 6, 4)
	v_lshrrev_b32_e32 v1, 5, v0
	s_add_co_i32 s5, s5, s4
	s_cmp_eq_u32 s7, 0
	s_cselect_b32 s4, ttmp9, s5
	s_delay_alu instid0(VALU_DEP_1) | instid1(SALU_CYCLE_1)
	v_lshl_or_b32 v4, s4, 3, v1
	s_delay_alu instid0(VALU_DEP_1) | instskip(SKIP_1) | instid1(VALU_DEP_1)
	v_ashrrev_i32_e32 v5, 31, v4
	s_wait_kmcnt 0x0
	v_cmp_gt_i64_e64 s2, s[2:3], v[4:5]
	s_and_b32 exec_lo, exec_lo, s2
	s_cbranch_execz .LBB166_10
; %bb.2:
	s_clause 0x1
	s_load_b128 s[8:11], s[0:1], 0x18
	s_load_b32 s2, s[0:1], 0x28
	v_dual_mov_b32 v1, 0 :: v_dual_bitop2_b32 v0, 31, v0 bitop3:0x40
	s_mov_b32 s7, 0
	s_delay_alu instid0(VALU_DEP_1) | instid1(SALU_CYCLE_1)
	v_sub_nc_u64_e64 v[12:13], v[0:1], s[6:7]
	s_wait_kmcnt 0x0
	s_load_b64 s[2:3], s[10:11], s2 offset:0x0 scale_offset
	s_wait_kmcnt 0x0
	s_lshl_b64 s[2:3], s[2:3], 3
	s_delay_alu instid0(SALU_CYCLE_1) | instskip(NEXT) | instid1(SALU_CYCLE_1)
	s_add_nc_u64 s[2:3], s[8:9], s[2:3]
	v_lshl_add_u64 v[4:5], v[4:5], 3, s[2:3]
	s_load_b64 s[2:3], s[0:1], 0x38
	global_load_b64 v[4:5], v[4:5], off
	s_wait_loadcnt 0x0
	s_wait_kmcnt 0x0
	v_lshl_add_u64 v[8:9], v[4:5], 3, s[2:3]
	s_mov_b32 s3, exec_lo
	global_load_b128 v[8:11], v[8:9], off
	s_wait_loadcnt 0x0
	v_sub_nc_u64_e64 v[10:11], v[10:11], s[6:7]
	v_add_nc_u64_e32 v[12:13], v[8:9], v[12:13]
	v_dual_mov_b32 v9, v1 :: v_dual_mov_b32 v8, v1
	s_delay_alu instid0(VALU_DEP_2)
	v_cmpx_lt_i64_e64 v[12:13], v[10:11]
	s_cbranch_execz .LBB166_6
; %bb.3:
	s_clause 0x1
	s_load_b128 s[8:11], s[0:1], 0x40
	s_load_b64 s[4:5], s[0:1], 0x50
	v_mov_b64_e32 v[8:9], 0x8000000000000000
	s_delay_alu instid0(VALU_DEP_1) | instskip(NEXT) | instid1(VALU_DEP_1)
	v_pk_mul_f32 v[16:17], v[6:7], v[8:9]
	v_dual_mov_b32 v9, 0 :: v_dual_mov_b32 v14, v17
	s_delay_alu instid0(VALU_DEP_1)
	v_dual_mov_b32 v15, v16 :: v_dual_mov_b32 v8, v9
	s_wait_kmcnt 0x0
	v_lshl_add_u64 v[16:17], v[12:13], 2, s[10:11]
	v_lshl_add_u64 v[18:19], v[12:13], 3, s[8:9]
	s_mov_b32 s8, s7
.LBB166_4:                              ; =>This Inner Loop Header: Depth=1
	global_load_b64 v[20:21], v[18:19], off
	global_load_b32 v22, v[16:17], off
	v_add_nc_u64_e32 v[12:13], 32, v[12:13]
	s_wait_xcnt 0x0
	v_add_nc_u64_e32 v[16:17], 0x80, v[16:17]
	v_add_nc_u64_e32 v[18:19], 0x100, v[18:19]
	s_delay_alu instid0(VALU_DEP_3)
	v_cmp_ge_i64_e64 s2, v[12:13], v[10:11]
	s_or_b32 s8, s2, s8
	s_wait_loadcnt 0x1
	v_sub_nc_u64_e64 v[20:21], v[20:21], s[6:7]
	s_wait_loadcnt 0x0
	v_pk_fma_f32 v[22:23], v[6:7], v[22:23], v[14:15] op_sel_hi:[1,0,1]
	s_delay_alu instid0(VALU_DEP_2) | instskip(SKIP_3) | instid1(VALU_DEP_1)
	v_lshl_add_u64 v[20:21], v[20:21], 3, s[4:5]
	global_load_b64 v[20:21], v[20:21], off
	s_wait_loadcnt 0x0
	v_pk_fma_f32 v[8:9], v[22:23], v[20:21], v[8:9] op_sel_hi:[1,0,1]
	v_pk_fma_f32 v[8:9], v[22:23], v[20:21], v[8:9] op_sel:[1,1,0] op_sel_hi:[0,1,1] neg_lo:[1,0,0]
	s_and_not1_b32 exec_lo, exec_lo, s8
	s_cbranch_execnz .LBB166_4
; %bb.5:
	s_or_b32 exec_lo, exec_lo, s8
.LBB166_6:
	s_delay_alu instid0(SALU_CYCLE_1) | instskip(SKIP_2) | instid1(VALU_DEP_1)
	s_or_b32 exec_lo, exec_lo, s3
	v_mbcnt_lo_u32_b32 v1, -1, 0
	s_load_b64 s[2:3], s[0:1], 0x60
	v_xor_b32_e32 v10, 8, v1
	v_xor_b32_e32 v6, 16, v1
	s_wait_xcnt 0x0
	s_delay_alu instid0(VALU_DEP_1) | instskip(NEXT) | instid1(VALU_DEP_1)
	v_cmp_gt_i32_e64 s0, 32, v6
	v_cndmask_b32_e64 v6, v1, v6, s0
	v_cmp_gt_i32_e64 s0, 32, v10
	s_delay_alu instid0(VALU_DEP_2) | instskip(NEXT) | instid1(VALU_DEP_2)
	v_lshlrev_b32_e32 v7, 2, v6
	v_cndmask_b32_e64 v10, v1, v10, s0
	ds_bpermute_b32 v6, v7, v8
	ds_bpermute_b32 v7, v7, v9
	v_lshlrev_b32_e32 v10, 2, v10
	s_wait_dscnt 0x0
	v_pk_add_f32 v[6:7], v[8:9], v[6:7]
	ds_bpermute_b32 v8, v10, v6
	ds_bpermute_b32 v9, v10, v7
	v_xor_b32_e32 v10, 4, v1
	s_delay_alu instid0(VALU_DEP_1) | instskip(NEXT) | instid1(VALU_DEP_1)
	v_cmp_gt_i32_e64 s0, 32, v10
	v_cndmask_b32_e64 v10, v1, v10, s0
	s_delay_alu instid0(VALU_DEP_1)
	v_lshlrev_b32_e32 v10, 2, v10
	s_wait_dscnt 0x0
	v_pk_add_f32 v[6:7], v[6:7], v[8:9]
	ds_bpermute_b32 v8, v10, v6
	ds_bpermute_b32 v9, v10, v7
	v_xor_b32_e32 v10, 2, v1
	s_delay_alu instid0(VALU_DEP_1) | instskip(NEXT) | instid1(VALU_DEP_1)
	v_cmp_gt_i32_e64 s0, 32, v10
	v_cndmask_b32_e64 v10, v1, v10, s0
	s_delay_alu instid0(VALU_DEP_1)
	v_lshlrev_b32_e32 v10, 2, v10
	s_wait_dscnt 0x0
	v_pk_add_f32 v[6:7], v[6:7], v[8:9]
	ds_bpermute_b32 v8, v10, v6
	ds_bpermute_b32 v9, v10, v7
	v_xor_b32_e32 v10, 1, v1
	s_delay_alu instid0(VALU_DEP_1) | instskip(NEXT) | instid1(VALU_DEP_1)
	v_cmp_gt_i32_e64 s0, 32, v10
	v_cndmask_b32_e64 v1, v1, v10, s0
	v_cmp_eq_u32_e64 s0, 31, v0
	s_delay_alu instid0(VALU_DEP_2)
	v_lshlrev_b32_e32 v1, 2, v1
	s_wait_dscnt 0x0
	v_pk_add_f32 v[6:7], v[6:7], v[8:9]
	ds_bpermute_b32 v8, v1, v6
	ds_bpermute_b32 v9, v1, v7
	s_and_b32 exec_lo, exec_lo, s0
	s_cbranch_execz .LBB166_10
; %bb.7:
	v_cmp_neq_f32_e64 s0, 0, v2
	s_wait_dscnt 0x0
	v_pk_add_f32 v[6:7], v[6:7], v[8:9]
	s_wait_kmcnt 0x0
	v_lshl_add_u64 v[0:1], v[4:5], 3, s[2:3]
	s_or_b32 s1, s0, vcc_lo
	s_delay_alu instid0(SALU_CYCLE_1)
	s_and_saveexec_b32 s0, s1
	s_cbranch_execz .LBB166_9
; %bb.8:
	global_load_b64 v[4:5], v[0:1], off
	v_xor_b32_e32 v8, 0x80000000, v3
	v_mov_b32_e32 v9, v2
	s_wait_loadcnt 0x0
	v_pk_fma_f32 v[6:7], v[2:3], v[4:5], v[6:7] op_sel_hi:[1,0,1]
	s_delay_alu instid0(VALU_DEP_1)
	v_pk_fma_f32 v[6:7], v[8:9], v[4:5], v[6:7] op_sel:[0,1,0]
.LBB166_9:
	s_or_b32 exec_lo, exec_lo, s0
	global_store_b64 v[0:1], v[6:7], off
.LBB166_10:
	s_endpgm
	.section	.rodata,"a",@progbits
	.p2align	6, 0x0
	.amdhsa_kernel _ZN9rocsparseL41csrmvn_lrb_medium_rows_warp_reduce_kernelILj256ELj32Ellf21rocsparse_complex_numIfES2_S2_EEvbT1_lPT2_S5_jNS_24const_host_device_scalarIT6_EEPKS3_PKS4_PKT3_PKT4_S8_PT5_21rocsparse_index_base_b
		.amdhsa_group_segment_fixed_size 0
		.amdhsa_private_segment_fixed_size 0
		.amdhsa_kernarg_size 112
		.amdhsa_user_sgpr_count 2
		.amdhsa_user_sgpr_dispatch_ptr 0
		.amdhsa_user_sgpr_queue_ptr 0
		.amdhsa_user_sgpr_kernarg_segment_ptr 1
		.amdhsa_user_sgpr_dispatch_id 0
		.amdhsa_user_sgpr_kernarg_preload_length 0
		.amdhsa_user_sgpr_kernarg_preload_offset 0
		.amdhsa_user_sgpr_private_segment_size 0
		.amdhsa_wavefront_size32 1
		.amdhsa_uses_dynamic_stack 0
		.amdhsa_enable_private_segment 0
		.amdhsa_system_sgpr_workgroup_id_x 1
		.amdhsa_system_sgpr_workgroup_id_y 0
		.amdhsa_system_sgpr_workgroup_id_z 0
		.amdhsa_system_sgpr_workgroup_info 0
		.amdhsa_system_vgpr_workitem_id 0
		.amdhsa_next_free_vgpr 24
		.amdhsa_next_free_sgpr 12
		.amdhsa_named_barrier_count 0
		.amdhsa_reserve_vcc 1
		.amdhsa_float_round_mode_32 0
		.amdhsa_float_round_mode_16_64 0
		.amdhsa_float_denorm_mode_32 3
		.amdhsa_float_denorm_mode_16_64 3
		.amdhsa_fp16_overflow 0
		.amdhsa_memory_ordered 1
		.amdhsa_forward_progress 1
		.amdhsa_inst_pref_size 9
		.amdhsa_round_robin_scheduling 0
		.amdhsa_exception_fp_ieee_invalid_op 0
		.amdhsa_exception_fp_denorm_src 0
		.amdhsa_exception_fp_ieee_div_zero 0
		.amdhsa_exception_fp_ieee_overflow 0
		.amdhsa_exception_fp_ieee_underflow 0
		.amdhsa_exception_fp_ieee_inexact 0
		.amdhsa_exception_int_div_zero 0
	.end_amdhsa_kernel
	.section	.text._ZN9rocsparseL41csrmvn_lrb_medium_rows_warp_reduce_kernelILj256ELj32Ellf21rocsparse_complex_numIfES2_S2_EEvbT1_lPT2_S5_jNS_24const_host_device_scalarIT6_EEPKS3_PKS4_PKT3_PKT4_S8_PT5_21rocsparse_index_base_b,"axG",@progbits,_ZN9rocsparseL41csrmvn_lrb_medium_rows_warp_reduce_kernelILj256ELj32Ellf21rocsparse_complex_numIfES2_S2_EEvbT1_lPT2_S5_jNS_24const_host_device_scalarIT6_EEPKS3_PKS4_PKT3_PKT4_S8_PT5_21rocsparse_index_base_b,comdat
.Lfunc_end166:
	.size	_ZN9rocsparseL41csrmvn_lrb_medium_rows_warp_reduce_kernelILj256ELj32Ellf21rocsparse_complex_numIfES2_S2_EEvbT1_lPT2_S5_jNS_24const_host_device_scalarIT6_EEPKS3_PKS4_PKT3_PKT4_S8_PT5_21rocsparse_index_base_b, .Lfunc_end166-_ZN9rocsparseL41csrmvn_lrb_medium_rows_warp_reduce_kernelILj256ELj32Ellf21rocsparse_complex_numIfES2_S2_EEvbT1_lPT2_S5_jNS_24const_host_device_scalarIT6_EEPKS3_PKS4_PKT3_PKT4_S8_PT5_21rocsparse_index_base_b
                                        ; -- End function
	.set _ZN9rocsparseL41csrmvn_lrb_medium_rows_warp_reduce_kernelILj256ELj32Ellf21rocsparse_complex_numIfES2_S2_EEvbT1_lPT2_S5_jNS_24const_host_device_scalarIT6_EEPKS3_PKS4_PKT3_PKT4_S8_PT5_21rocsparse_index_base_b.num_vgpr, 24
	.set _ZN9rocsparseL41csrmvn_lrb_medium_rows_warp_reduce_kernelILj256ELj32Ellf21rocsparse_complex_numIfES2_S2_EEvbT1_lPT2_S5_jNS_24const_host_device_scalarIT6_EEPKS3_PKS4_PKT3_PKT4_S8_PT5_21rocsparse_index_base_b.num_agpr, 0
	.set _ZN9rocsparseL41csrmvn_lrb_medium_rows_warp_reduce_kernelILj256ELj32Ellf21rocsparse_complex_numIfES2_S2_EEvbT1_lPT2_S5_jNS_24const_host_device_scalarIT6_EEPKS3_PKS4_PKT3_PKT4_S8_PT5_21rocsparse_index_base_b.numbered_sgpr, 12
	.set _ZN9rocsparseL41csrmvn_lrb_medium_rows_warp_reduce_kernelILj256ELj32Ellf21rocsparse_complex_numIfES2_S2_EEvbT1_lPT2_S5_jNS_24const_host_device_scalarIT6_EEPKS3_PKS4_PKT3_PKT4_S8_PT5_21rocsparse_index_base_b.num_named_barrier, 0
	.set _ZN9rocsparseL41csrmvn_lrb_medium_rows_warp_reduce_kernelILj256ELj32Ellf21rocsparse_complex_numIfES2_S2_EEvbT1_lPT2_S5_jNS_24const_host_device_scalarIT6_EEPKS3_PKS4_PKT3_PKT4_S8_PT5_21rocsparse_index_base_b.private_seg_size, 0
	.set _ZN9rocsparseL41csrmvn_lrb_medium_rows_warp_reduce_kernelILj256ELj32Ellf21rocsparse_complex_numIfES2_S2_EEvbT1_lPT2_S5_jNS_24const_host_device_scalarIT6_EEPKS3_PKS4_PKT3_PKT4_S8_PT5_21rocsparse_index_base_b.uses_vcc, 1
	.set _ZN9rocsparseL41csrmvn_lrb_medium_rows_warp_reduce_kernelILj256ELj32Ellf21rocsparse_complex_numIfES2_S2_EEvbT1_lPT2_S5_jNS_24const_host_device_scalarIT6_EEPKS3_PKS4_PKT3_PKT4_S8_PT5_21rocsparse_index_base_b.uses_flat_scratch, 1
	.set _ZN9rocsparseL41csrmvn_lrb_medium_rows_warp_reduce_kernelILj256ELj32Ellf21rocsparse_complex_numIfES2_S2_EEvbT1_lPT2_S5_jNS_24const_host_device_scalarIT6_EEPKS3_PKS4_PKT3_PKT4_S8_PT5_21rocsparse_index_base_b.has_dyn_sized_stack, 0
	.set _ZN9rocsparseL41csrmvn_lrb_medium_rows_warp_reduce_kernelILj256ELj32Ellf21rocsparse_complex_numIfES2_S2_EEvbT1_lPT2_S5_jNS_24const_host_device_scalarIT6_EEPKS3_PKS4_PKT3_PKT4_S8_PT5_21rocsparse_index_base_b.has_recursion, 0
	.set _ZN9rocsparseL41csrmvn_lrb_medium_rows_warp_reduce_kernelILj256ELj32Ellf21rocsparse_complex_numIfES2_S2_EEvbT1_lPT2_S5_jNS_24const_host_device_scalarIT6_EEPKS3_PKS4_PKT3_PKT4_S8_PT5_21rocsparse_index_base_b.has_indirect_call, 0
	.section	.AMDGPU.csdata,"",@progbits
; Kernel info:
; codeLenInByte = 1096
; TotalNumSgprs: 14
; NumVgprs: 24
; ScratchSize: 0
; MemoryBound: 0
; FloatMode: 240
; IeeeMode: 1
; LDSByteSize: 0 bytes/workgroup (compile time only)
; SGPRBlocks: 0
; VGPRBlocks: 1
; NumSGPRsForWavesPerEU: 14
; NumVGPRsForWavesPerEU: 24
; NamedBarCnt: 0
; Occupancy: 16
; WaveLimiterHint : 1
; COMPUTE_PGM_RSRC2:SCRATCH_EN: 0
; COMPUTE_PGM_RSRC2:USER_SGPR: 2
; COMPUTE_PGM_RSRC2:TRAP_HANDLER: 0
; COMPUTE_PGM_RSRC2:TGID_X_EN: 1
; COMPUTE_PGM_RSRC2:TGID_Y_EN: 0
; COMPUTE_PGM_RSRC2:TGID_Z_EN: 0
; COMPUTE_PGM_RSRC2:TIDIG_COMP_CNT: 0
	.section	.text._ZN9rocsparseL41csrmvn_lrb_medium_rows_warp_reduce_kernelILj256ELj64Ellf21rocsparse_complex_numIfES2_S2_EEvbT1_lPT2_S5_jNS_24const_host_device_scalarIT6_EEPKS3_PKS4_PKT3_PKT4_S8_PT5_21rocsparse_index_base_b,"axG",@progbits,_ZN9rocsparseL41csrmvn_lrb_medium_rows_warp_reduce_kernelILj256ELj64Ellf21rocsparse_complex_numIfES2_S2_EEvbT1_lPT2_S5_jNS_24const_host_device_scalarIT6_EEPKS3_PKS4_PKT3_PKT4_S8_PT5_21rocsparse_index_base_b,comdat
	.globl	_ZN9rocsparseL41csrmvn_lrb_medium_rows_warp_reduce_kernelILj256ELj64Ellf21rocsparse_complex_numIfES2_S2_EEvbT1_lPT2_S5_jNS_24const_host_device_scalarIT6_EEPKS3_PKS4_PKT3_PKT4_S8_PT5_21rocsparse_index_base_b ; -- Begin function _ZN9rocsparseL41csrmvn_lrb_medium_rows_warp_reduce_kernelILj256ELj64Ellf21rocsparse_complex_numIfES2_S2_EEvbT1_lPT2_S5_jNS_24const_host_device_scalarIT6_EEPKS3_PKS4_PKT3_PKT4_S8_PT5_21rocsparse_index_base_b
	.p2align	8
	.type	_ZN9rocsparseL41csrmvn_lrb_medium_rows_warp_reduce_kernelILj256ELj64Ellf21rocsparse_complex_numIfES2_S2_EEvbT1_lPT2_S5_jNS_24const_host_device_scalarIT6_EEPKS3_PKS4_PKT3_PKT4_S8_PT5_21rocsparse_index_base_b,@function
_ZN9rocsparseL41csrmvn_lrb_medium_rows_warp_reduce_kernelILj256ELj64Ellf21rocsparse_complex_numIfES2_S2_EEvbT1_lPT2_S5_jNS_24const_host_device_scalarIT6_EEPKS3_PKS4_PKT3_PKT4_S8_PT5_21rocsparse_index_base_b: ; @_ZN9rocsparseL41csrmvn_lrb_medium_rows_warp_reduce_kernelILj256ELj64Ellf21rocsparse_complex_numIfES2_S2_EEvbT1_lPT2_S5_jNS_24const_host_device_scalarIT6_EEPKS3_PKS4_PKT3_PKT4_S8_PT5_21rocsparse_index_base_b
; %bb.0:
	s_clause 0x2
	s_load_b64 s[6:7], s[0:1], 0x68
	s_load_b64 s[2:3], s[0:1], 0x30
	;; [unrolled: 1-line block ×3, first 2 shown]
	v_mov_b32_e32 v1, 0
	s_add_nc_u64 s[8:9], s[0:1], 48
	s_add_nc_u64 s[10:11], s[0:1], 0x58
	s_wait_kmcnt 0x0
	s_bitcmp1_b32 s7, 0
	s_cselect_b32 s3, s9, s3
	s_cselect_b32 s2, s8, s2
	;; [unrolled: 1-line block ×4, first 2 shown]
	s_clause 0x1
	flat_load_b64 v[6:7], v1, s[2:3]
	flat_load_b64 v[2:3], v1, s[4:5]
	s_wait_loadcnt_dscnt 0x101
	s_wait_xcnt 0x1
	v_cmp_neq_f32_e64 s2, 0, v6
	v_cmp_neq_f32_e64 s3, 0, v7
	s_wait_loadcnt_dscnt 0x0
	v_cmp_neq_f32_e64 s4, 1.0, v2
	v_cmp_neq_f32_e32 vcc_lo, 0, v3
	s_or_b32 s2, s2, s3
	s_or_b32 s3, s4, vcc_lo
	s_delay_alu instid0(SALU_CYCLE_1) | instskip(NEXT) | instid1(SALU_CYCLE_1)
	s_or_b32 s2, s2, s3
	s_and_saveexec_b32 s3, s2
	s_cbranch_execz .LBB167_10
; %bb.1:
	s_bfe_u32 s4, ttmp6, 0x4000c
	s_load_b64 s[2:3], s[0:1], 0x10
	s_add_co_i32 s4, s4, 1
	s_and_b32 s5, ttmp6, 15
	s_mul_i32 s4, ttmp9, s4
	s_getreg_b32 s7, hwreg(HW_REG_IB_STS2, 6, 4)
	v_lshrrev_b32_e32 v1, 6, v0
	s_add_co_i32 s5, s5, s4
	s_cmp_eq_u32 s7, 0
	s_cselect_b32 s4, ttmp9, s5
	s_delay_alu instid0(VALU_DEP_1) | instid1(SALU_CYCLE_1)
	v_lshl_or_b32 v4, s4, 2, v1
	s_delay_alu instid0(VALU_DEP_1) | instskip(SKIP_1) | instid1(VALU_DEP_1)
	v_ashrrev_i32_e32 v5, 31, v4
	s_wait_kmcnt 0x0
	v_cmp_gt_i64_e64 s2, s[2:3], v[4:5]
	s_and_b32 exec_lo, exec_lo, s2
	s_cbranch_execz .LBB167_10
; %bb.2:
	s_clause 0x1
	s_load_b128 s[8:11], s[0:1], 0x18
	s_load_b32 s2, s[0:1], 0x28
	v_dual_mov_b32 v1, 0 :: v_dual_bitop2_b32 v0, 63, v0 bitop3:0x40
	s_mov_b32 s7, 0
	s_delay_alu instid0(VALU_DEP_1) | instid1(SALU_CYCLE_1)
	v_sub_nc_u64_e64 v[12:13], v[0:1], s[6:7]
	s_wait_kmcnt 0x0
	s_load_b64 s[2:3], s[10:11], s2 offset:0x0 scale_offset
	s_wait_kmcnt 0x0
	s_lshl_b64 s[2:3], s[2:3], 3
	s_delay_alu instid0(SALU_CYCLE_1) | instskip(NEXT) | instid1(SALU_CYCLE_1)
	s_add_nc_u64 s[2:3], s[8:9], s[2:3]
	v_lshl_add_u64 v[4:5], v[4:5], 3, s[2:3]
	s_load_b64 s[2:3], s[0:1], 0x38
	global_load_b64 v[4:5], v[4:5], off
	s_wait_loadcnt 0x0
	s_wait_kmcnt 0x0
	v_lshl_add_u64 v[8:9], v[4:5], 3, s[2:3]
	s_mov_b32 s3, exec_lo
	global_load_b128 v[8:11], v[8:9], off
	s_wait_loadcnt 0x0
	v_sub_nc_u64_e64 v[10:11], v[10:11], s[6:7]
	v_add_nc_u64_e32 v[12:13], v[8:9], v[12:13]
	v_dual_mov_b32 v9, v1 :: v_dual_mov_b32 v8, v1
	s_delay_alu instid0(VALU_DEP_2)
	v_cmpx_lt_i64_e64 v[12:13], v[10:11]
	s_cbranch_execz .LBB167_6
; %bb.3:
	s_clause 0x1
	s_load_b128 s[8:11], s[0:1], 0x40
	s_load_b64 s[4:5], s[0:1], 0x50
	v_mov_b64_e32 v[8:9], 0x8000000000000000
	s_delay_alu instid0(VALU_DEP_1) | instskip(NEXT) | instid1(VALU_DEP_1)
	v_pk_mul_f32 v[16:17], v[6:7], v[8:9]
	v_dual_mov_b32 v8, 0 :: v_dual_mov_b32 v14, v17
	s_delay_alu instid0(VALU_DEP_1)
	v_dual_mov_b32 v15, v16 :: v_dual_mov_b32 v9, v8
	s_wait_kmcnt 0x0
	v_lshl_add_u64 v[16:17], v[12:13], 2, s[10:11]
	v_lshl_add_u64 v[18:19], v[12:13], 3, s[8:9]
	s_mov_b32 s8, s7
.LBB167_4:                              ; =>This Inner Loop Header: Depth=1
	global_load_b64 v[20:21], v[18:19], off
	global_load_b32 v22, v[16:17], off
	v_add_nc_u64_e32 v[12:13], 64, v[12:13]
	s_wait_xcnt 0x0
	v_add_nc_u64_e32 v[16:17], 0x100, v[16:17]
	v_add_nc_u64_e32 v[18:19], 0x200, v[18:19]
	s_delay_alu instid0(VALU_DEP_3)
	v_cmp_ge_i64_e64 s2, v[12:13], v[10:11]
	s_or_b32 s8, s2, s8
	s_wait_loadcnt 0x1
	v_sub_nc_u64_e64 v[20:21], v[20:21], s[6:7]
	s_wait_loadcnt 0x0
	v_pk_fma_f32 v[22:23], v[6:7], v[22:23], v[14:15] op_sel_hi:[1,0,1]
	s_delay_alu instid0(VALU_DEP_2) | instskip(SKIP_3) | instid1(VALU_DEP_1)
	v_lshl_add_u64 v[20:21], v[20:21], 3, s[4:5]
	global_load_b64 v[20:21], v[20:21], off
	s_wait_loadcnt 0x0
	v_pk_fma_f32 v[8:9], v[22:23], v[20:21], v[8:9] op_sel_hi:[1,0,1]
	v_pk_fma_f32 v[8:9], v[22:23], v[20:21], v[8:9] op_sel:[1,1,0] op_sel_hi:[0,1,1] neg_lo:[1,0,0]
	s_and_not1_b32 exec_lo, exec_lo, s8
	s_cbranch_execnz .LBB167_4
; %bb.5:
	s_or_b32 exec_lo, exec_lo, s8
.LBB167_6:
	s_delay_alu instid0(SALU_CYCLE_1) | instskip(SKIP_2) | instid1(VALU_DEP_1)
	s_or_b32 exec_lo, exec_lo, s3
	v_mbcnt_lo_u32_b32 v1, -1, 0
	s_load_b64 s[2:3], s[0:1], 0x60
	v_xor_b32_e32 v10, 16, v1
	v_or_b32_e32 v6, 32, v1
	s_wait_xcnt 0x0
	s_delay_alu instid0(VALU_DEP_1) | instskip(NEXT) | instid1(VALU_DEP_1)
	v_cmp_gt_i32_e64 s0, 32, v6
	v_cndmask_b32_e64 v6, v1, v6, s0
	v_cmp_gt_i32_e64 s0, 32, v10
	s_delay_alu instid0(VALU_DEP_2) | instskip(NEXT) | instid1(VALU_DEP_2)
	v_lshlrev_b32_e32 v7, 2, v6
	v_cndmask_b32_e64 v10, v1, v10, s0
	ds_bpermute_b32 v6, v7, v8
	ds_bpermute_b32 v7, v7, v9
	v_lshlrev_b32_e32 v10, 2, v10
	s_wait_dscnt 0x0
	v_pk_add_f32 v[6:7], v[8:9], v[6:7]
	ds_bpermute_b32 v8, v10, v6
	ds_bpermute_b32 v9, v10, v7
	v_xor_b32_e32 v10, 8, v1
	s_delay_alu instid0(VALU_DEP_1) | instskip(NEXT) | instid1(VALU_DEP_1)
	v_cmp_gt_i32_e64 s0, 32, v10
	v_cndmask_b32_e64 v10, v1, v10, s0
	s_delay_alu instid0(VALU_DEP_1)
	v_lshlrev_b32_e32 v10, 2, v10
	s_wait_dscnt 0x0
	v_pk_add_f32 v[6:7], v[6:7], v[8:9]
	ds_bpermute_b32 v8, v10, v6
	ds_bpermute_b32 v9, v10, v7
	v_xor_b32_e32 v10, 4, v1
	s_delay_alu instid0(VALU_DEP_1) | instskip(NEXT) | instid1(VALU_DEP_1)
	v_cmp_gt_i32_e64 s0, 32, v10
	v_cndmask_b32_e64 v10, v1, v10, s0
	s_delay_alu instid0(VALU_DEP_1)
	;; [unrolled: 10-line block ×3, first 2 shown]
	v_lshlrev_b32_e32 v10, 2, v10
	s_wait_dscnt 0x0
	v_pk_add_f32 v[6:7], v[6:7], v[8:9]
	ds_bpermute_b32 v8, v10, v6
	ds_bpermute_b32 v9, v10, v7
	v_xor_b32_e32 v10, 1, v1
	s_delay_alu instid0(VALU_DEP_1) | instskip(NEXT) | instid1(VALU_DEP_1)
	v_cmp_gt_i32_e64 s0, 32, v10
	v_cndmask_b32_e64 v1, v1, v10, s0
	v_cmp_eq_u32_e64 s0, 63, v0
	s_delay_alu instid0(VALU_DEP_2)
	v_lshlrev_b32_e32 v1, 2, v1
	s_wait_dscnt 0x0
	v_pk_add_f32 v[6:7], v[6:7], v[8:9]
	ds_bpermute_b32 v8, v1, v6
	ds_bpermute_b32 v9, v1, v7
	s_and_b32 exec_lo, exec_lo, s0
	s_cbranch_execz .LBB167_10
; %bb.7:
	v_cmp_neq_f32_e64 s0, 0, v2
	s_wait_dscnt 0x0
	v_pk_add_f32 v[6:7], v[6:7], v[8:9]
	s_wait_kmcnt 0x0
	v_lshl_add_u64 v[0:1], v[4:5], 3, s[2:3]
	s_or_b32 s1, s0, vcc_lo
	s_delay_alu instid0(SALU_CYCLE_1)
	s_and_saveexec_b32 s0, s1
	s_cbranch_execz .LBB167_9
; %bb.8:
	global_load_b64 v[4:5], v[0:1], off
	v_xor_b32_e32 v8, 0x80000000, v3
	v_mov_b32_e32 v9, v2
	s_wait_loadcnt 0x0
	v_pk_fma_f32 v[6:7], v[2:3], v[4:5], v[6:7] op_sel_hi:[1,0,1]
	s_delay_alu instid0(VALU_DEP_1)
	v_pk_fma_f32 v[6:7], v[8:9], v[4:5], v[6:7] op_sel:[0,1,0]
.LBB167_9:
	s_or_b32 exec_lo, exec_lo, s0
	global_store_b64 v[0:1], v[6:7], off
.LBB167_10:
	s_endpgm
	.section	.rodata,"a",@progbits
	.p2align	6, 0x0
	.amdhsa_kernel _ZN9rocsparseL41csrmvn_lrb_medium_rows_warp_reduce_kernelILj256ELj64Ellf21rocsparse_complex_numIfES2_S2_EEvbT1_lPT2_S5_jNS_24const_host_device_scalarIT6_EEPKS3_PKS4_PKT3_PKT4_S8_PT5_21rocsparse_index_base_b
		.amdhsa_group_segment_fixed_size 0
		.amdhsa_private_segment_fixed_size 0
		.amdhsa_kernarg_size 112
		.amdhsa_user_sgpr_count 2
		.amdhsa_user_sgpr_dispatch_ptr 0
		.amdhsa_user_sgpr_queue_ptr 0
		.amdhsa_user_sgpr_kernarg_segment_ptr 1
		.amdhsa_user_sgpr_dispatch_id 0
		.amdhsa_user_sgpr_kernarg_preload_length 0
		.amdhsa_user_sgpr_kernarg_preload_offset 0
		.amdhsa_user_sgpr_private_segment_size 0
		.amdhsa_wavefront_size32 1
		.amdhsa_uses_dynamic_stack 0
		.amdhsa_enable_private_segment 0
		.amdhsa_system_sgpr_workgroup_id_x 1
		.amdhsa_system_sgpr_workgroup_id_y 0
		.amdhsa_system_sgpr_workgroup_id_z 0
		.amdhsa_system_sgpr_workgroup_info 0
		.amdhsa_system_vgpr_workitem_id 0
		.amdhsa_next_free_vgpr 24
		.amdhsa_next_free_sgpr 12
		.amdhsa_named_barrier_count 0
		.amdhsa_reserve_vcc 1
		.amdhsa_float_round_mode_32 0
		.amdhsa_float_round_mode_16_64 0
		.amdhsa_float_denorm_mode_32 3
		.amdhsa_float_denorm_mode_16_64 3
		.amdhsa_fp16_overflow 0
		.amdhsa_memory_ordered 1
		.amdhsa_forward_progress 1
		.amdhsa_inst_pref_size 10
		.amdhsa_round_robin_scheduling 0
		.amdhsa_exception_fp_ieee_invalid_op 0
		.amdhsa_exception_fp_denorm_src 0
		.amdhsa_exception_fp_ieee_div_zero 0
		.amdhsa_exception_fp_ieee_overflow 0
		.amdhsa_exception_fp_ieee_underflow 0
		.amdhsa_exception_fp_ieee_inexact 0
		.amdhsa_exception_int_div_zero 0
	.end_amdhsa_kernel
	.section	.text._ZN9rocsparseL41csrmvn_lrb_medium_rows_warp_reduce_kernelILj256ELj64Ellf21rocsparse_complex_numIfES2_S2_EEvbT1_lPT2_S5_jNS_24const_host_device_scalarIT6_EEPKS3_PKS4_PKT3_PKT4_S8_PT5_21rocsparse_index_base_b,"axG",@progbits,_ZN9rocsparseL41csrmvn_lrb_medium_rows_warp_reduce_kernelILj256ELj64Ellf21rocsparse_complex_numIfES2_S2_EEvbT1_lPT2_S5_jNS_24const_host_device_scalarIT6_EEPKS3_PKS4_PKT3_PKT4_S8_PT5_21rocsparse_index_base_b,comdat
.Lfunc_end167:
	.size	_ZN9rocsparseL41csrmvn_lrb_medium_rows_warp_reduce_kernelILj256ELj64Ellf21rocsparse_complex_numIfES2_S2_EEvbT1_lPT2_S5_jNS_24const_host_device_scalarIT6_EEPKS3_PKS4_PKT3_PKT4_S8_PT5_21rocsparse_index_base_b, .Lfunc_end167-_ZN9rocsparseL41csrmvn_lrb_medium_rows_warp_reduce_kernelILj256ELj64Ellf21rocsparse_complex_numIfES2_S2_EEvbT1_lPT2_S5_jNS_24const_host_device_scalarIT6_EEPKS3_PKS4_PKT3_PKT4_S8_PT5_21rocsparse_index_base_b
                                        ; -- End function
	.set _ZN9rocsparseL41csrmvn_lrb_medium_rows_warp_reduce_kernelILj256ELj64Ellf21rocsparse_complex_numIfES2_S2_EEvbT1_lPT2_S5_jNS_24const_host_device_scalarIT6_EEPKS3_PKS4_PKT3_PKT4_S8_PT5_21rocsparse_index_base_b.num_vgpr, 24
	.set _ZN9rocsparseL41csrmvn_lrb_medium_rows_warp_reduce_kernelILj256ELj64Ellf21rocsparse_complex_numIfES2_S2_EEvbT1_lPT2_S5_jNS_24const_host_device_scalarIT6_EEPKS3_PKS4_PKT3_PKT4_S8_PT5_21rocsparse_index_base_b.num_agpr, 0
	.set _ZN9rocsparseL41csrmvn_lrb_medium_rows_warp_reduce_kernelILj256ELj64Ellf21rocsparse_complex_numIfES2_S2_EEvbT1_lPT2_S5_jNS_24const_host_device_scalarIT6_EEPKS3_PKS4_PKT3_PKT4_S8_PT5_21rocsparse_index_base_b.numbered_sgpr, 12
	.set _ZN9rocsparseL41csrmvn_lrb_medium_rows_warp_reduce_kernelILj256ELj64Ellf21rocsparse_complex_numIfES2_S2_EEvbT1_lPT2_S5_jNS_24const_host_device_scalarIT6_EEPKS3_PKS4_PKT3_PKT4_S8_PT5_21rocsparse_index_base_b.num_named_barrier, 0
	.set _ZN9rocsparseL41csrmvn_lrb_medium_rows_warp_reduce_kernelILj256ELj64Ellf21rocsparse_complex_numIfES2_S2_EEvbT1_lPT2_S5_jNS_24const_host_device_scalarIT6_EEPKS3_PKS4_PKT3_PKT4_S8_PT5_21rocsparse_index_base_b.private_seg_size, 0
	.set _ZN9rocsparseL41csrmvn_lrb_medium_rows_warp_reduce_kernelILj256ELj64Ellf21rocsparse_complex_numIfES2_S2_EEvbT1_lPT2_S5_jNS_24const_host_device_scalarIT6_EEPKS3_PKS4_PKT3_PKT4_S8_PT5_21rocsparse_index_base_b.uses_vcc, 1
	.set _ZN9rocsparseL41csrmvn_lrb_medium_rows_warp_reduce_kernelILj256ELj64Ellf21rocsparse_complex_numIfES2_S2_EEvbT1_lPT2_S5_jNS_24const_host_device_scalarIT6_EEPKS3_PKS4_PKT3_PKT4_S8_PT5_21rocsparse_index_base_b.uses_flat_scratch, 1
	.set _ZN9rocsparseL41csrmvn_lrb_medium_rows_warp_reduce_kernelILj256ELj64Ellf21rocsparse_complex_numIfES2_S2_EEvbT1_lPT2_S5_jNS_24const_host_device_scalarIT6_EEPKS3_PKS4_PKT3_PKT4_S8_PT5_21rocsparse_index_base_b.has_dyn_sized_stack, 0
	.set _ZN9rocsparseL41csrmvn_lrb_medium_rows_warp_reduce_kernelILj256ELj64Ellf21rocsparse_complex_numIfES2_S2_EEvbT1_lPT2_S5_jNS_24const_host_device_scalarIT6_EEPKS3_PKS4_PKT3_PKT4_S8_PT5_21rocsparse_index_base_b.has_recursion, 0
	.set _ZN9rocsparseL41csrmvn_lrb_medium_rows_warp_reduce_kernelILj256ELj64Ellf21rocsparse_complex_numIfES2_S2_EEvbT1_lPT2_S5_jNS_24const_host_device_scalarIT6_EEPKS3_PKS4_PKT3_PKT4_S8_PT5_21rocsparse_index_base_b.has_indirect_call, 0
	.section	.AMDGPU.csdata,"",@progbits
; Kernel info:
; codeLenInByte = 1164
; TotalNumSgprs: 14
; NumVgprs: 24
; ScratchSize: 0
; MemoryBound: 0
; FloatMode: 240
; IeeeMode: 1
; LDSByteSize: 0 bytes/workgroup (compile time only)
; SGPRBlocks: 0
; VGPRBlocks: 1
; NumSGPRsForWavesPerEU: 14
; NumVGPRsForWavesPerEU: 24
; NamedBarCnt: 0
; Occupancy: 16
; WaveLimiterHint : 1
; COMPUTE_PGM_RSRC2:SCRATCH_EN: 0
; COMPUTE_PGM_RSRC2:USER_SGPR: 2
; COMPUTE_PGM_RSRC2:TRAP_HANDLER: 0
; COMPUTE_PGM_RSRC2:TGID_X_EN: 1
; COMPUTE_PGM_RSRC2:TGID_Y_EN: 0
; COMPUTE_PGM_RSRC2:TGID_Z_EN: 0
; COMPUTE_PGM_RSRC2:TIDIG_COMP_CNT: 0
	.section	.text._ZN9rocsparseL29csrmvn_lrb_medium_rows_kernelILj256Ellf21rocsparse_complex_numIfES2_S2_EEvbT0_PT1_S5_jNS_24const_host_device_scalarIT5_EEPKS3_PKS4_PKT2_PKT3_S8_PT4_21rocsparse_index_base_b,"axG",@progbits,_ZN9rocsparseL29csrmvn_lrb_medium_rows_kernelILj256Ellf21rocsparse_complex_numIfES2_S2_EEvbT0_PT1_S5_jNS_24const_host_device_scalarIT5_EEPKS3_PKS4_PKT2_PKT3_S8_PT4_21rocsparse_index_base_b,comdat
	.globl	_ZN9rocsparseL29csrmvn_lrb_medium_rows_kernelILj256Ellf21rocsparse_complex_numIfES2_S2_EEvbT0_PT1_S5_jNS_24const_host_device_scalarIT5_EEPKS3_PKS4_PKT2_PKT3_S8_PT4_21rocsparse_index_base_b ; -- Begin function _ZN9rocsparseL29csrmvn_lrb_medium_rows_kernelILj256Ellf21rocsparse_complex_numIfES2_S2_EEvbT0_PT1_S5_jNS_24const_host_device_scalarIT5_EEPKS3_PKS4_PKT2_PKT3_S8_PT4_21rocsparse_index_base_b
	.p2align	8
	.type	_ZN9rocsparseL29csrmvn_lrb_medium_rows_kernelILj256Ellf21rocsparse_complex_numIfES2_S2_EEvbT0_PT1_S5_jNS_24const_host_device_scalarIT5_EEPKS3_PKS4_PKT2_PKT3_S8_PT4_21rocsparse_index_base_b,@function
_ZN9rocsparseL29csrmvn_lrb_medium_rows_kernelILj256Ellf21rocsparse_complex_numIfES2_S2_EEvbT0_PT1_S5_jNS_24const_host_device_scalarIT5_EEPKS3_PKS4_PKT2_PKT3_S8_PT4_21rocsparse_index_base_b: ; @_ZN9rocsparseL29csrmvn_lrb_medium_rows_kernelILj256Ellf21rocsparse_complex_numIfES2_S2_EEvbT0_PT1_S5_jNS_24const_host_device_scalarIT5_EEPKS3_PKS4_PKT2_PKT3_S8_PT4_21rocsparse_index_base_b
; %bb.0:
	s_clause 0x2
	s_load_b64 s[6:7], s[0:1], 0x60
	s_load_b64 s[2:3], s[0:1], 0x28
	;; [unrolled: 1-line block ×3, first 2 shown]
	v_mov_b32_e32 v5, 0
	s_add_nc_u64 s[8:9], s[0:1], 40
	s_add_nc_u64 s[10:11], s[0:1], 0x50
	s_wait_kmcnt 0x0
	s_bitcmp1_b32 s7, 0
	s_mov_b32 s7, 0
	s_cselect_b32 s3, s9, s3
	s_cselect_b32 s2, s8, s2
	;; [unrolled: 1-line block ×4, first 2 shown]
	s_clause 0x1
	flat_load_b64 v[6:7], v5, s[2:3]
	flat_load_b64 v[2:3], v5, s[4:5]
	s_wait_loadcnt_dscnt 0x101
	s_wait_xcnt 0x1
	v_cmp_neq_f32_e64 s2, 0, v6
	v_cmp_neq_f32_e64 s3, 0, v7
	s_wait_loadcnt_dscnt 0x0
	v_cmp_neq_f32_e64 s4, 1.0, v2
	v_cmp_neq_f32_e32 vcc_lo, 0, v3
	s_or_b32 s2, s2, s3
	s_or_b32 s3, s4, vcc_lo
	s_delay_alu instid0(SALU_CYCLE_1) | instskip(NEXT) | instid1(SALU_CYCLE_1)
	s_or_b32 s2, s2, s3
	s_and_saveexec_b32 s3, s2
	s_cbranch_execz .LBB168_25
; %bb.1:
	s_clause 0x1
	s_load_b128 s[8:11], s[0:1], 0x10
	s_load_b32 s2, s[0:1], 0x20
	s_bfe_u32 s4, ttmp6, 0x4000c
	s_and_b32 s5, ttmp6, 15
	s_add_co_i32 s4, s4, 1
	v_dual_mov_b32 v1, v5 :: v_dual_mov_b32 v4, 0
	s_mul_i32 s4, ttmp9, s4
	s_delay_alu instid0(SALU_CYCLE_1) | instskip(NEXT) | instid1(VALU_DEP_1)
	s_add_co_i32 s5, s5, s4
	v_sub_nc_u64_e64 v[8:9], v[0:1], s[6:7]
	s_wait_kmcnt 0x0
	s_load_b64 s[2:3], s[10:11], s2 offset:0x0 scale_offset
	s_wait_xcnt 0x0
	s_getreg_b32 s10, hwreg(HW_REG_IB_STS2, 6, 4)
	s_delay_alu instid0(SALU_CYCLE_1) | instskip(SKIP_1) | instid1(SALU_CYCLE_1)
	s_cmp_eq_u32 s10, 0
	s_cselect_b32 s4, ttmp9, s5
	s_ashr_i32 s5, s4, 31
	s_delay_alu instid0(SALU_CYCLE_1) | instskip(SKIP_2) | instid1(SALU_CYCLE_1)
	s_lshl_b64 s[4:5], s[4:5], 3
	s_wait_kmcnt 0x0
	s_lshl_b64 s[2:3], s[2:3], 3
	s_add_nc_u64 s[2:3], s[8:9], s[2:3]
	s_delay_alu instid0(SALU_CYCLE_1) | instskip(SKIP_4) | instid1(SALU_CYCLE_1)
	s_add_nc_u64 s[2:3], s[2:3], s[4:5]
	s_load_b64 s[4:5], s[2:3], 0x0
	s_load_b64 s[8:9], s[0:1], 0x30
	s_wait_kmcnt 0x0
	s_lshl_b64 s[4:5], s[4:5], 3
	s_add_nc_u64 s[2:3], s[8:9], s[4:5]
	s_load_b128 s[8:11], s[2:3], 0x0
	s_wait_xcnt 0x0
	s_mov_b32 s3, exec_lo
	s_wait_kmcnt 0x0
	v_add_nc_u64_e32 v[8:9], s[8:9], v[8:9]
	s_sub_nc_u64 s[8:9], s[10:11], s[6:7]
	s_delay_alu instid0(VALU_DEP_1) | instid1(SALU_CYCLE_1)
	v_cmpx_gt_i64_e64 s[8:9], v[8:9]
	s_cbranch_execz .LBB168_5
; %bb.2:
	s_clause 0x1
	s_load_b128 s[12:15], s[0:1], 0x38
	s_load_b64 s[10:11], s[0:1], 0x48
	v_mov_b64_e32 v[4:5], 0x8000000000000000
	s_delay_alu instid0(VALU_DEP_1) | instskip(NEXT) | instid1(VALU_DEP_1)
	v_pk_mul_f32 v[12:13], v[6:7], v[4:5]
	v_dual_mov_b32 v4, 0 :: v_dual_mov_b32 v10, v13
	s_delay_alu instid0(VALU_DEP_1)
	v_dual_mov_b32 v11, v12 :: v_dual_mov_b32 v5, v4
	s_wait_kmcnt 0x0
	v_lshl_add_u64 v[12:13], v[8:9], 2, s[14:15]
	v_lshl_add_u64 v[14:15], v[8:9], 3, s[12:13]
	s_mov_b32 s12, 0
.LBB168_3:                              ; =>This Inner Loop Header: Depth=1
	global_load_b64 v[16:17], v[14:15], off
	global_load_b32 v18, v[12:13], off
	v_add_nc_u64_e32 v[8:9], 0x100, v[8:9]
	s_wait_xcnt 0x0
	v_add_nc_u64_e32 v[12:13], 0x400, v[12:13]
	v_add_nc_u64_e32 v[14:15], 0x800, v[14:15]
	s_delay_alu instid0(VALU_DEP_3)
	v_cmp_le_i64_e64 s2, s[8:9], v[8:9]
	s_or_b32 s12, s2, s12
	s_wait_loadcnt 0x1
	v_sub_nc_u64_e64 v[16:17], v[16:17], s[6:7]
	s_wait_loadcnt 0x0
	v_pk_fma_f32 v[18:19], v[6:7], v[18:19], v[10:11] op_sel_hi:[1,0,1]
	s_delay_alu instid0(VALU_DEP_2) | instskip(SKIP_3) | instid1(VALU_DEP_1)
	v_lshl_add_u64 v[16:17], v[16:17], 3, s[10:11]
	global_load_b64 v[16:17], v[16:17], off
	s_wait_loadcnt 0x0
	v_pk_fma_f32 v[4:5], v[18:19], v[16:17], v[4:5] op_sel_hi:[1,0,1]
	v_pk_fma_f32 v[4:5], v[18:19], v[16:17], v[4:5] op_sel:[1,1,0] op_sel_hi:[0,1,1] neg_lo:[1,0,0]
	s_and_not1_b32 exec_lo, exec_lo, s12
	s_cbranch_execnz .LBB168_3
; %bb.4:
	s_or_b32 exec_lo, exec_lo, s12
.LBB168_5:
	s_delay_alu instid0(SALU_CYCLE_1)
	s_or_b32 exec_lo, exec_lo, s3
	s_load_b64 s[2:3], s[0:1], 0x58
	v_lshlrev_b32_e32 v1, 3, v0
	s_wait_xcnt 0x0
	s_mov_b32 s1, exec_lo
	ds_store_b64 v1, v[4:5]
	s_wait_dscnt 0x0
	s_barrier_signal -1
	s_barrier_wait -1
	v_cmpx_gt_u32_e32 0x80, v0
	s_cbranch_execz .LBB168_7
; %bb.6:
	ds_load_2addr_stride64_b64 v[4:7], v1 offset1:2
	s_wait_dscnt 0x0
	v_pk_add_f32 v[4:5], v[6:7], v[4:5]
	ds_store_b64 v1, v[4:5]
.LBB168_7:
	s_or_b32 exec_lo, exec_lo, s1
	s_delay_alu instid0(SALU_CYCLE_1)
	s_mov_b32 s1, exec_lo
	s_wait_dscnt 0x0
	s_barrier_signal -1
	s_barrier_wait -1
	v_cmpx_gt_u32_e32 64, v0
	s_cbranch_execz .LBB168_9
; %bb.8:
	ds_load_2addr_stride64_b64 v[4:7], v1 offset1:1
	s_wait_dscnt 0x0
	v_pk_add_f32 v[4:5], v[6:7], v[4:5]
	ds_store_b64 v1, v[4:5]
.LBB168_9:
	s_or_b32 exec_lo, exec_lo, s1
	s_delay_alu instid0(SALU_CYCLE_1)
	s_mov_b32 s1, exec_lo
	s_wait_dscnt 0x0
	s_barrier_signal -1
	s_barrier_wait -1
	v_cmpx_gt_u32_e32 32, v0
	s_cbranch_execz .LBB168_11
; %bb.10:
	ds_load_2addr_b64 v[4:7], v1 offset1:32
	s_wait_dscnt 0x0
	v_pk_add_f32 v[4:5], v[6:7], v[4:5]
	ds_store_b64 v1, v[4:5]
.LBB168_11:
	s_or_b32 exec_lo, exec_lo, s1
	s_delay_alu instid0(SALU_CYCLE_1)
	s_mov_b32 s1, exec_lo
	s_wait_dscnt 0x0
	s_barrier_signal -1
	s_barrier_wait -1
	v_cmpx_gt_u32_e32 16, v0
	s_cbranch_execz .LBB168_13
; %bb.12:
	ds_load_2addr_b64 v[4:7], v1 offset1:16
	s_wait_dscnt 0x0
	v_pk_add_f32 v[4:5], v[6:7], v[4:5]
	ds_store_b64 v1, v[4:5]
.LBB168_13:
	;; [unrolled: 14-line block ×5, first 2 shown]
	s_or_b32 exec_lo, exec_lo, s1
	v_cmp_eq_u32_e64 s0, 0, v0
	s_wait_dscnt 0x0
	s_barrier_signal -1
	s_barrier_wait -1
	s_and_saveexec_b32 s1, s0
	s_cbranch_execz .LBB168_21
; %bb.20:
	v_mov_b32_e32 v8, 0
	ds_load_2addr_b64 v[4:7], v8 offset1:1
	s_wait_dscnt 0x0
	v_pk_add_f32 v[0:1], v[6:7], v[4:5]
	ds_store_b64 v8, v[0:1]
.LBB168_21:
	s_or_b32 exec_lo, exec_lo, s1
	s_wait_dscnt 0x0
	s_barrier_signal -1
	s_barrier_wait -1
	s_and_b32 exec_lo, exec_lo, s0
	s_cbranch_execz .LBB168_25
; %bb.22:
	v_mov_b32_e32 v4, 0
	v_cmp_neq_f32_e64 s0, 0, v2
	ds_load_b64 v[0:1], v4
	s_or_b32 s1, s0, vcc_lo
	s_delay_alu instid0(SALU_CYCLE_1)
	s_and_saveexec_b32 s0, s1
	s_cbranch_execz .LBB168_24
; %bb.23:
	s_wait_kmcnt 0x0
	s_add_nc_u64 s[6:7], s[2:3], s[4:5]
	v_xor_b32_e32 v6, 0x80000000, v3
	s_load_b64 s[8:9], s[6:7], 0x0
	v_mov_b32_e32 v7, v2
	s_wait_dscnt 0x0
	s_wait_kmcnt 0x0
	v_pk_fma_f32 v[0:1], v[2:3], s[8:9], v[0:1] op_sel_hi:[1,0,1]
	v_mov_b64_e32 v[2:3], s[8:9]
	s_delay_alu instid0(VALU_DEP_1)
	v_pk_fma_f32 v[0:1], v[6:7], v[2:3], v[0:1] op_sel:[0,1,0]
.LBB168_24:
	s_or_b32 exec_lo, exec_lo, s0
	s_wait_kmcnt 0x0
	s_add_nc_u64 s[0:1], s[2:3], s[4:5]
	s_wait_dscnt 0x0
	global_store_b64 v4, v[0:1], s[0:1]
.LBB168_25:
	s_endpgm
	.section	.rodata,"a",@progbits
	.p2align	6, 0x0
	.amdhsa_kernel _ZN9rocsparseL29csrmvn_lrb_medium_rows_kernelILj256Ellf21rocsparse_complex_numIfES2_S2_EEvbT0_PT1_S5_jNS_24const_host_device_scalarIT5_EEPKS3_PKS4_PKT2_PKT3_S8_PT4_21rocsparse_index_base_b
		.amdhsa_group_segment_fixed_size 2048
		.amdhsa_private_segment_fixed_size 0
		.amdhsa_kernarg_size 104
		.amdhsa_user_sgpr_count 2
		.amdhsa_user_sgpr_dispatch_ptr 0
		.amdhsa_user_sgpr_queue_ptr 0
		.amdhsa_user_sgpr_kernarg_segment_ptr 1
		.amdhsa_user_sgpr_dispatch_id 0
		.amdhsa_user_sgpr_kernarg_preload_length 0
		.amdhsa_user_sgpr_kernarg_preload_offset 0
		.amdhsa_user_sgpr_private_segment_size 0
		.amdhsa_wavefront_size32 1
		.amdhsa_uses_dynamic_stack 0
		.amdhsa_enable_private_segment 0
		.amdhsa_system_sgpr_workgroup_id_x 1
		.amdhsa_system_sgpr_workgroup_id_y 0
		.amdhsa_system_sgpr_workgroup_id_z 0
		.amdhsa_system_sgpr_workgroup_info 0
		.amdhsa_system_vgpr_workitem_id 0
		.amdhsa_next_free_vgpr 20
		.amdhsa_next_free_sgpr 16
		.amdhsa_named_barrier_count 0
		.amdhsa_reserve_vcc 1
		.amdhsa_float_round_mode_32 0
		.amdhsa_float_round_mode_16_64 0
		.amdhsa_float_denorm_mode_32 3
		.amdhsa_float_denorm_mode_16_64 3
		.amdhsa_fp16_overflow 0
		.amdhsa_memory_ordered 1
		.amdhsa_forward_progress 1
		.amdhsa_inst_pref_size 10
		.amdhsa_round_robin_scheduling 0
		.amdhsa_exception_fp_ieee_invalid_op 0
		.amdhsa_exception_fp_denorm_src 0
		.amdhsa_exception_fp_ieee_div_zero 0
		.amdhsa_exception_fp_ieee_overflow 0
		.amdhsa_exception_fp_ieee_underflow 0
		.amdhsa_exception_fp_ieee_inexact 0
		.amdhsa_exception_int_div_zero 0
	.end_amdhsa_kernel
	.section	.text._ZN9rocsparseL29csrmvn_lrb_medium_rows_kernelILj256Ellf21rocsparse_complex_numIfES2_S2_EEvbT0_PT1_S5_jNS_24const_host_device_scalarIT5_EEPKS3_PKS4_PKT2_PKT3_S8_PT4_21rocsparse_index_base_b,"axG",@progbits,_ZN9rocsparseL29csrmvn_lrb_medium_rows_kernelILj256Ellf21rocsparse_complex_numIfES2_S2_EEvbT0_PT1_S5_jNS_24const_host_device_scalarIT5_EEPKS3_PKS4_PKT2_PKT3_S8_PT4_21rocsparse_index_base_b,comdat
.Lfunc_end168:
	.size	_ZN9rocsparseL29csrmvn_lrb_medium_rows_kernelILj256Ellf21rocsparse_complex_numIfES2_S2_EEvbT0_PT1_S5_jNS_24const_host_device_scalarIT5_EEPKS3_PKS4_PKT2_PKT3_S8_PT4_21rocsparse_index_base_b, .Lfunc_end168-_ZN9rocsparseL29csrmvn_lrb_medium_rows_kernelILj256Ellf21rocsparse_complex_numIfES2_S2_EEvbT0_PT1_S5_jNS_24const_host_device_scalarIT5_EEPKS3_PKS4_PKT2_PKT3_S8_PT4_21rocsparse_index_base_b
                                        ; -- End function
	.set _ZN9rocsparseL29csrmvn_lrb_medium_rows_kernelILj256Ellf21rocsparse_complex_numIfES2_S2_EEvbT0_PT1_S5_jNS_24const_host_device_scalarIT5_EEPKS3_PKS4_PKT2_PKT3_S8_PT4_21rocsparse_index_base_b.num_vgpr, 20
	.set _ZN9rocsparseL29csrmvn_lrb_medium_rows_kernelILj256Ellf21rocsparse_complex_numIfES2_S2_EEvbT0_PT1_S5_jNS_24const_host_device_scalarIT5_EEPKS3_PKS4_PKT2_PKT3_S8_PT4_21rocsparse_index_base_b.num_agpr, 0
	.set _ZN9rocsparseL29csrmvn_lrb_medium_rows_kernelILj256Ellf21rocsparse_complex_numIfES2_S2_EEvbT0_PT1_S5_jNS_24const_host_device_scalarIT5_EEPKS3_PKS4_PKT2_PKT3_S8_PT4_21rocsparse_index_base_b.numbered_sgpr, 16
	.set _ZN9rocsparseL29csrmvn_lrb_medium_rows_kernelILj256Ellf21rocsparse_complex_numIfES2_S2_EEvbT0_PT1_S5_jNS_24const_host_device_scalarIT5_EEPKS3_PKS4_PKT2_PKT3_S8_PT4_21rocsparse_index_base_b.num_named_barrier, 0
	.set _ZN9rocsparseL29csrmvn_lrb_medium_rows_kernelILj256Ellf21rocsparse_complex_numIfES2_S2_EEvbT0_PT1_S5_jNS_24const_host_device_scalarIT5_EEPKS3_PKS4_PKT2_PKT3_S8_PT4_21rocsparse_index_base_b.private_seg_size, 0
	.set _ZN9rocsparseL29csrmvn_lrb_medium_rows_kernelILj256Ellf21rocsparse_complex_numIfES2_S2_EEvbT0_PT1_S5_jNS_24const_host_device_scalarIT5_EEPKS3_PKS4_PKT2_PKT3_S8_PT4_21rocsparse_index_base_b.uses_vcc, 1
	.set _ZN9rocsparseL29csrmvn_lrb_medium_rows_kernelILj256Ellf21rocsparse_complex_numIfES2_S2_EEvbT0_PT1_S5_jNS_24const_host_device_scalarIT5_EEPKS3_PKS4_PKT2_PKT3_S8_PT4_21rocsparse_index_base_b.uses_flat_scratch, 1
	.set _ZN9rocsparseL29csrmvn_lrb_medium_rows_kernelILj256Ellf21rocsparse_complex_numIfES2_S2_EEvbT0_PT1_S5_jNS_24const_host_device_scalarIT5_EEPKS3_PKS4_PKT2_PKT3_S8_PT4_21rocsparse_index_base_b.has_dyn_sized_stack, 0
	.set _ZN9rocsparseL29csrmvn_lrb_medium_rows_kernelILj256Ellf21rocsparse_complex_numIfES2_S2_EEvbT0_PT1_S5_jNS_24const_host_device_scalarIT5_EEPKS3_PKS4_PKT2_PKT3_S8_PT4_21rocsparse_index_base_b.has_recursion, 0
	.set _ZN9rocsparseL29csrmvn_lrb_medium_rows_kernelILj256Ellf21rocsparse_complex_numIfES2_S2_EEvbT0_PT1_S5_jNS_24const_host_device_scalarIT5_EEPKS3_PKS4_PKT2_PKT3_S8_PT4_21rocsparse_index_base_b.has_indirect_call, 0
	.section	.AMDGPU.csdata,"",@progbits
; Kernel info:
; codeLenInByte = 1272
; TotalNumSgprs: 18
; NumVgprs: 20
; ScratchSize: 0
; MemoryBound: 0
; FloatMode: 240
; IeeeMode: 1
; LDSByteSize: 2048 bytes/workgroup (compile time only)
; SGPRBlocks: 0
; VGPRBlocks: 1
; NumSGPRsForWavesPerEU: 18
; NumVGPRsForWavesPerEU: 20
; NamedBarCnt: 0
; Occupancy: 16
; WaveLimiterHint : 1
; COMPUTE_PGM_RSRC2:SCRATCH_EN: 0
; COMPUTE_PGM_RSRC2:USER_SGPR: 2
; COMPUTE_PGM_RSRC2:TRAP_HANDLER: 0
; COMPUTE_PGM_RSRC2:TGID_X_EN: 1
; COMPUTE_PGM_RSRC2:TGID_Y_EN: 0
; COMPUTE_PGM_RSRC2:TGID_Z_EN: 0
; COMPUTE_PGM_RSRC2:TIDIG_COMP_CNT: 0
	.section	.text._ZN9rocsparseL27csrmvn_lrb_long_rows_kernelIllf21rocsparse_complex_numIfES2_S2_EEvbT_PjPT0_S6_jNS_24const_host_device_scalarIT4_EEPKS3_PKS5_PKT1_PKT2_S9_PT3_21rocsparse_index_base_b,"axG",@progbits,_ZN9rocsparseL27csrmvn_lrb_long_rows_kernelIllf21rocsparse_complex_numIfES2_S2_EEvbT_PjPT0_S6_jNS_24const_host_device_scalarIT4_EEPKS3_PKS5_PKT1_PKT2_S9_PT3_21rocsparse_index_base_b,comdat
	.globl	_ZN9rocsparseL27csrmvn_lrb_long_rows_kernelIllf21rocsparse_complex_numIfES2_S2_EEvbT_PjPT0_S6_jNS_24const_host_device_scalarIT4_EEPKS3_PKS5_PKT1_PKT2_S9_PT3_21rocsparse_index_base_b ; -- Begin function _ZN9rocsparseL27csrmvn_lrb_long_rows_kernelIllf21rocsparse_complex_numIfES2_S2_EEvbT_PjPT0_S6_jNS_24const_host_device_scalarIT4_EEPKS3_PKS5_PKT1_PKT2_S9_PT3_21rocsparse_index_base_b
	.p2align	8
	.type	_ZN9rocsparseL27csrmvn_lrb_long_rows_kernelIllf21rocsparse_complex_numIfES2_S2_EEvbT_PjPT0_S6_jNS_24const_host_device_scalarIT4_EEPKS3_PKS5_PKT1_PKT2_S9_PT3_21rocsparse_index_base_b,@function
_ZN9rocsparseL27csrmvn_lrb_long_rows_kernelIllf21rocsparse_complex_numIfES2_S2_EEvbT_PjPT0_S6_jNS_24const_host_device_scalarIT4_EEPKS3_PKS5_PKT1_PKT2_S9_PT3_21rocsparse_index_base_b: ; @_ZN9rocsparseL27csrmvn_lrb_long_rows_kernelIllf21rocsparse_complex_numIfES2_S2_EEvbT_PjPT0_S6_jNS_24const_host_device_scalarIT4_EEPKS3_PKS5_PKT1_PKT2_S9_PT3_21rocsparse_index_base_b
; %bb.0:
	s_clause 0x2
	s_load_b64 s[18:19], s[0:1], 0x68
	s_load_b64 s[2:3], s[0:1], 0x30
	;; [unrolled: 1-line block ×3, first 2 shown]
	v_mov_b32_e32 v1, 0
	s_add_nc_u64 s[6:7], s[0:1], 48
	s_wait_kmcnt 0x0
	s_bitcmp1_b32 s19, 0
	s_cselect_b32 s3, s7, s3
	s_cselect_b32 s2, s6, s2
	flat_load_b64 v[2:3], v1, s[2:3]
	s_wait_xcnt 0x0
	s_add_nc_u64 s[2:3], s[0:1], 0x58
	s_delay_alu instid0(SALU_CYCLE_1)
	s_cselect_b32 s3, s3, s5
	s_cselect_b32 s2, s2, s4
	flat_load_b64 v[4:5], v1, s[2:3]
	s_wait_loadcnt_dscnt 0x101
	v_cmp_eq_f32_e32 vcc_lo, 0, v2
	s_wait_xcnt 0x0
	v_cmp_eq_f32_e64 s2, 0, v3
	s_and_b32 s4, vcc_lo, s2
	s_mov_b32 s2, -1
	s_and_saveexec_b32 s3, s4
	s_cbranch_execz .LBB169_2
; %bb.1:
	s_wait_loadcnt_dscnt 0x0
	v_cmp_neq_f32_e32 vcc_lo, 1.0, v4
	v_cmp_neq_f32_e64 s2, 0, v5
	s_or_b32 s2, vcc_lo, s2
	s_delay_alu instid0(SALU_CYCLE_1)
	s_or_not1_b32 s2, s2, exec_lo
.LBB169_2:
	s_or_b32 exec_lo, exec_lo, s3
	s_and_saveexec_b32 s3, s2
	s_cbranch_execz .LBB169_38
; %bb.3:
	s_clause 0x1
	s_load_b96 s[8:10], s[0:1], 0x20
	s_load_b128 s[4:7], s[0:1], 0x10
	s_bfe_u32 s12, ttmp6, 0x4000c
	s_and_b32 s11, ttmp6, 15
	s_add_co_i32 s12, s12, 1
	s_getreg_b32 s13, hwreg(HW_REG_IB_STS2, 6, 4)
	v_mov_b64_e32 v[6:7], 0
	s_mov_b32 s23, exec_lo
	s_wait_kmcnt 0x0
	s_lshl_b32 s2, -1, s10
	s_delay_alu instid0(SALU_CYCLE_1) | instskip(NEXT) | instid1(SALU_CYCLE_1)
	s_not_b32 s2, s2
	s_mul_hi_u32 s2, s2, 0x2aaaaaab
	s_delay_alu instid0(SALU_CYCLE_1) | instskip(NEXT) | instid1(SALU_CYCLE_1)
	s_lshr_b32 s2, s2, 7
	s_add_co_i32 s19, s2, 1
	s_not_b32 s2, s2
	s_cvt_f32_u32 s3, s19
	s_delay_alu instid0(SALU_CYCLE_3) | instskip(SKIP_1) | instid1(TRANS32_DEP_1)
	v_rcp_iflag_f32_e32 v1, s3
	v_nop
	v_readfirstlane_b32 s3, v1
	s_mul_f32 s3, s3, 0x4f7ffffe
	s_delay_alu instid0(SALU_CYCLE_3) | instskip(SKIP_1) | instid1(SALU_CYCLE_1)
	s_cvt_u32_f32 s14, s3
	s_mul_i32 s3, ttmp9, s12
	s_add_co_i32 s11, s11, s3
	s_delay_alu instid0(SALU_CYCLE_1) | instskip(NEXT) | instid1(SALU_CYCLE_1)
	s_mul_i32 s2, s2, s14
	s_mul_hi_u32 s12, s14, s2
	s_load_b64 s[2:3], s[8:9], s10 offset:0x0 scale_offset
	s_add_co_i32 s14, s14, s12
	s_cmp_eq_u32 s13, 0
	s_cselect_b32 s16, ttmp9, s11
	s_wait_xcnt 0x0
	s_mul_hi_u32 s8, s16, s14
	s_delay_alu instid0(SALU_CYCLE_1) | instskip(SKIP_2) | instid1(SALU_CYCLE_1)
	s_mul_i32 s9, s8, s19
	s_add_co_i32 s10, s8, 1
	s_sub_co_i32 s9, s16, s9
	s_sub_co_i32 s11, s9, s19
	s_cmp_ge_u32 s9, s19
	s_cselect_b32 s8, s10, s8
	s_cselect_b32 s9, s11, s9
	s_add_co_i32 s10, s8, 1
	s_cmp_ge_u32 s9, s19
	s_cselect_b32 s20, s10, s8
	s_wait_kmcnt 0x0
	s_lshl_b64 s[2:3], s[2:3], 3
	s_ashr_i32 s17, s16, 31
	s_add_nc_u64 s[6:7], s[6:7], s[2:3]
	s_load_b64 s[8:9], s[6:7], s20 offset:0x0 scale_offset
	s_clause 0x1
	s_load_b64 s[10:11], s[0:1], 0x38
	s_load_b64 s[2:3], s[0:1], 0x60
	s_wait_xcnt 0x0
	s_mul_i32 s20, s20, s19
	s_mov_b32 s19, 0
	s_wait_kmcnt 0x0
	s_lshl_b64 s[6:7], s[8:9], 3
	s_lshl_b64 s[8:9], s[16:17], 2
	s_add_nc_u64 s[14:15], s[10:11], s[6:7]
	s_add_nc_u64 s[12:13], s[4:5], s[8:9]
	s_load_b128 s[8:11], s[14:15], 0x0
	s_load_b32 s22, s[12:13], 0x0
	s_wait_xcnt 0x0
	s_sub_co_i32 s14, s16, s20
	s_mov_b32 s15, s19
	v_or_b32_e32 v1, s14, v0
	s_sub_nc_u64 s[16:17], s[16:17], s[14:15]
	s_delay_alu instid0(VALU_DEP_1)
	v_cmpx_eq_u32_e32 0, v1
	s_cbranch_execz .LBB169_7
; %bb.4:
	s_add_nc_u64 s[26:27], s[2:3], s[6:7]
	s_wait_loadcnt_dscnt 0x0
	v_add_f32_e32 v7, -1.0, v4
	s_load_b64 s[20:21], s[26:27], 0x0
	v_xor_b32_e32 v6, 0x80000000, v5
	s_mov_b32 s24, exec_lo
	s_mov_b32 s25, exec_lo
	v_mbcnt_lo_u32_b32 v1, s24, 0
	v_mov_b32_e32 v4, v7
	global_wb scope:SCOPE_DEV
	s_wait_storecnt 0x0
	global_inv scope:SCOPE_DEV
	s_wait_kmcnt 0x0
	v_mov_b64_e32 v[8:9], s[20:21]
	s_delay_alu instid0(VALU_DEP_1)
	v_pk_mul_f32 v[6:7], v[8:9], v[6:7] op_sel:[1,0]
	v_cmpx_eq_u32_e32 0, v1
	s_cbranch_execz .LBB169_6
; %bb.5:
	s_bcnt1_i32_b32 s24, s24
	s_lshl_b64 s[26:27], s[16:17], 2
	s_and_b32 s24, s24, 1
	s_delay_alu instid0(SALU_CYCLE_1)
	v_dual_mov_b32 v1, 0 :: v_dual_mov_b32 v8, s24
	s_add_nc_u64 s[26:27], s[4:5], s[26:27]
	global_atomic_xor_b32 v1, v8, s[26:27] scope:SCOPE_DEV
.LBB169_6:
	s_wait_xcnt 0x0
	s_or_b32 exec_lo, exec_lo, s25
	v_pk_fma_f32 v[6:7], v[4:5], s[20:21], v[6:7] op_sel_hi:[1,0,1]
.LBB169_7:
	s_or_b32 exec_lo, exec_lo, s23
	s_mul_u64 s[20:21], s[14:15], 0x300
	s_wait_kmcnt 0x0
	s_sub_nc_u64 s[8:9], s[8:9], s[18:19]
	s_sub_nc_u64 s[10:11], s[10:11], s[18:19]
	s_add_nc_u64 s[8:9], s[8:9], s[20:21]
	v_mov_b32_e32 v1, 0
	s_add_nc_u64 s[20:21], s[8:9], 0x300
	s_wait_loadcnt_dscnt 0x0
	v_min_i64 v[4:5], s[20:21], s[10:11]
	s_mov_b32 s10, exec_lo
	v_add_nc_u64_e32 v[8:9], s[8:9], v[0:1]
	s_delay_alu instid0(VALU_DEP_1)
	v_cmpx_lt_i64_e64 v[8:9], v[4:5]
	s_cbranch_execz .LBB169_11
; %bb.8:
	s_clause 0x1
	s_load_b128 s[24:27], s[0:1], 0x40
	s_load_b64 s[8:9], s[0:1], 0x50
	v_mov_b64_e32 v[10:11], 0x8000000000000000
	s_wait_xcnt 0x0
	s_mov_b32 s0, 0
	s_delay_alu instid0(VALU_DEP_1) | instskip(NEXT) | instid1(VALU_DEP_1)
	v_pk_mul_f32 v[12:13], v[2:3], v[10:11]
	v_dual_mov_b32 v10, v13 :: v_dual_mov_b32 v11, v12
	s_wait_kmcnt 0x0
	v_lshl_add_u64 v[12:13], v[8:9], 2, s[26:27]
	v_lshl_add_u64 v[14:15], v[8:9], 3, s[24:25]
.LBB169_9:                              ; =>This Inner Loop Header: Depth=1
	global_load_b64 v[16:17], v[14:15], off
	global_load_b32 v18, v[12:13], off
	v_add_nc_u64_e32 v[8:9], 0x100, v[8:9]
	s_wait_xcnt 0x0
	v_add_nc_u64_e32 v[12:13], 0x400, v[12:13]
	v_add_nc_u64_e32 v[14:15], 0x800, v[14:15]
	s_delay_alu instid0(VALU_DEP_3)
	v_cmp_ge_i64_e32 vcc_lo, v[8:9], v[4:5]
	s_or_b32 s0, vcc_lo, s0
	s_wait_loadcnt 0x1
	v_sub_nc_u64_e64 v[16:17], v[16:17], s[18:19]
	s_wait_loadcnt 0x0
	v_pk_fma_f32 v[18:19], v[2:3], v[18:19], v[10:11] op_sel_hi:[1,0,1]
	s_delay_alu instid0(VALU_DEP_2) | instskip(SKIP_3) | instid1(VALU_DEP_1)
	v_lshl_add_u64 v[16:17], v[16:17], 3, s[8:9]
	global_load_b64 v[16:17], v[16:17], off
	s_wait_loadcnt 0x0
	v_pk_fma_f32 v[6:7], v[18:19], v[16:17], v[6:7] op_sel_hi:[1,0,1]
	v_pk_fma_f32 v[6:7], v[18:19], v[16:17], v[6:7] op_sel:[1,1,0] op_sel_hi:[0,1,1] neg_lo:[1,0,0]
	s_wait_xcnt 0x0
	s_and_not1_b32 exec_lo, exec_lo, s0
	s_cbranch_execnz .LBB169_9
; %bb.10:
	s_or_b32 exec_lo, exec_lo, s0
.LBB169_11:
	s_delay_alu instid0(SALU_CYCLE_1)
	s_or_b32 exec_lo, exec_lo, s10
	v_lshlrev_b32_e32 v1, 3, v0
	s_mov_b32 s0, exec_lo
	ds_store_b64 v1, v[6:7]
	s_wait_storecnt_dscnt 0x0
	s_barrier_signal -1
	s_barrier_wait -1
	v_cmpx_gt_u32_e32 0x80, v0
	s_cbranch_execz .LBB169_13
; %bb.12:
	ds_load_2addr_stride64_b64 v[2:5], v1 offset1:2
	s_wait_dscnt 0x0
	v_pk_add_f32 v[2:3], v[4:5], v[2:3]
	ds_store_b64 v1, v[2:3]
.LBB169_13:
	s_or_b32 exec_lo, exec_lo, s0
	s_delay_alu instid0(SALU_CYCLE_1)
	s_mov_b32 s0, exec_lo
	s_wait_dscnt 0x0
	s_barrier_signal -1
	s_barrier_wait -1
	v_cmpx_gt_u32_e32 64, v0
	s_cbranch_execz .LBB169_15
; %bb.14:
	ds_load_2addr_stride64_b64 v[2:5], v1 offset1:1
	s_wait_dscnt 0x0
	v_pk_add_f32 v[2:3], v[4:5], v[2:3]
	ds_store_b64 v1, v[2:3]
.LBB169_15:
	s_or_b32 exec_lo, exec_lo, s0
	s_delay_alu instid0(SALU_CYCLE_1)
	s_mov_b32 s0, exec_lo
	s_wait_dscnt 0x0
	s_barrier_signal -1
	s_barrier_wait -1
	v_cmpx_gt_u32_e32 32, v0
	s_cbranch_execz .LBB169_17
; %bb.16:
	ds_load_2addr_b64 v[2:5], v1 offset1:32
	s_wait_dscnt 0x0
	v_pk_add_f32 v[2:3], v[4:5], v[2:3]
	ds_store_b64 v1, v[2:3]
.LBB169_17:
	s_or_b32 exec_lo, exec_lo, s0
	s_delay_alu instid0(SALU_CYCLE_1)
	s_mov_b32 s0, exec_lo
	s_wait_dscnt 0x0
	s_barrier_signal -1
	s_barrier_wait -1
	v_cmpx_gt_u32_e32 16, v0
	s_cbranch_execz .LBB169_19
; %bb.18:
	ds_load_2addr_b64 v[2:5], v1 offset1:16
	s_wait_dscnt 0x0
	v_pk_add_f32 v[2:3], v[4:5], v[2:3]
	ds_store_b64 v1, v[2:3]
.LBB169_19:
	;; [unrolled: 14-line block ×5, first 2 shown]
	s_or_b32 exec_lo, exec_lo, s0
	v_cmp_eq_u32_e32 vcc_lo, 0, v0
	s_wait_dscnt 0x0
	s_barrier_signal -1
	s_barrier_wait -1
	s_and_saveexec_b32 s0, vcc_lo
	s_cbranch_execz .LBB169_27
; %bb.26:
	v_mov_b32_e32 v4, 0
	ds_load_2addr_b64 v[0:3], v4 offset1:1
	s_wait_dscnt 0x0
	v_pk_add_f32 v[0:1], v[2:3], v[0:1]
	ds_store_b64 v4, v[0:1]
.LBB169_27:
	s_or_b32 exec_lo, exec_lo, s0
	s_wait_dscnt 0x0
	s_barrier_signal -1
	s_barrier_wait -1
	s_and_b32 exec_lo, exec_lo, vcc_lo
	s_cbranch_execz .LBB169_38
; %bb.28:
	s_cmp_eq_u32 s14, 0
	s_cbranch_scc1 .LBB169_34
; %bb.29:
	v_mov_b32_e32 v0, 0
	s_lshl_b64 s[0:1], s[16:17], 2
	s_delay_alu instid0(SALU_CYCLE_1)
	s_add_nc_u64 s[0:1], s[4:5], s[0:1]
	s_branch .LBB169_31
.LBB169_30:                             ;   in Loop: Header=BB169_31 Depth=1
	s_wait_xcnt 0x0
	s_or_b32 exec_lo, exec_lo, s4
	s_wait_loadcnt 0x0
	v_readfirstlane_b32 s4, v1
	s_cmp_eq_u32 s4, s22
	s_cbranch_scc0 .LBB169_33
.LBB169_31:                             ; =>This Inner Loop Header: Depth=1
	v_mbcnt_lo_u32_b32 v1, exec_lo, 0
	s_delay_alu instid0(VALU_DEP_1)
	v_cmp_eq_u32_e32 vcc_lo, 0, v1
                                        ; implicit-def: $vgpr1
	s_and_saveexec_b32 s4, vcc_lo
	s_cbranch_execz .LBB169_30
; %bb.32:                               ;   in Loop: Header=BB169_31 Depth=1
	global_load_b32 v1, v0, s[0:1] scope:SCOPE_DEV
	s_branch .LBB169_30
.LBB169_33:
	v_mov_b32_e32 v0, 0
	global_load_u16 v1, v0, s[12:13]
	s_wait_loadcnt 0x0
	v_xor_b32_e32 v1, 1, v1
	global_store_b16 v0, v1, s[12:13]
.LBB169_34:
	v_mov_b32_e32 v2, 0
	s_mov_b32 s4, exec_lo
	s_add_nc_u64 s[0:1], s[2:3], s[6:7]
	v_mbcnt_lo_u32_b32 v3, s4, 0
	s_mov_b32 s2, exec_lo
	s_wait_xcnt 0x0
	ds_load_b64 v[0:1], v2
	v_cmpx_eq_u32_e32 0, v3
	s_cbranch_execz .LBB169_36
; %bb.35:
	s_bcnt1_i32_b32 s3, s4
	s_delay_alu instid0(SALU_CYCLE_1) | instskip(SKIP_1) | instid1(VALU_DEP_1)
	v_cvt_f32_ubyte0_e32 v3, s3
	s_wait_dscnt 0x0
	v_mul_f32_e32 v0, v0, v3
	global_atomic_add_f32 v2, v0, s[0:1] scope:SCOPE_DEV
.LBB169_36:
	s_wait_xcnt 0x0
	s_or_b32 exec_lo, exec_lo, s2
	s_delay_alu instid0(SALU_CYCLE_1) | instskip(SKIP_2) | instid1(VALU_DEP_1)
	s_mov_b32 s2, exec_lo
	s_wait_dscnt 0x0
	v_mbcnt_lo_u32_b32 v0, s2, 0
	v_cmp_eq_u32_e32 vcc_lo, 0, v0
	s_and_b32 s3, exec_lo, vcc_lo
	s_delay_alu instid0(SALU_CYCLE_1)
	s_mov_b32 exec_lo, s3
	s_cbranch_execz .LBB169_38
; %bb.37:
	s_bcnt1_i32_b32 s2, s2
	s_delay_alu instid0(SALU_CYCLE_1) | instskip(NEXT) | instid1(VALU_DEP_1)
	v_cvt_f32_ubyte0_e32 v0, s2
	v_dual_mul_f32 v0, v1, v0 :: v_dual_mov_b32 v1, 0
	global_atomic_add_f32 v1, v0, s[0:1] offset:4 scope:SCOPE_DEV
.LBB169_38:
	s_endpgm
	.section	.rodata,"a",@progbits
	.p2align	6, 0x0
	.amdhsa_kernel _ZN9rocsparseL27csrmvn_lrb_long_rows_kernelIllf21rocsparse_complex_numIfES2_S2_EEvbT_PjPT0_S6_jNS_24const_host_device_scalarIT4_EEPKS3_PKS5_PKT1_PKT2_S9_PT3_21rocsparse_index_base_b
		.amdhsa_group_segment_fixed_size 2048
		.amdhsa_private_segment_fixed_size 0
		.amdhsa_kernarg_size 112
		.amdhsa_user_sgpr_count 2
		.amdhsa_user_sgpr_dispatch_ptr 0
		.amdhsa_user_sgpr_queue_ptr 0
		.amdhsa_user_sgpr_kernarg_segment_ptr 1
		.amdhsa_user_sgpr_dispatch_id 0
		.amdhsa_user_sgpr_kernarg_preload_length 0
		.amdhsa_user_sgpr_kernarg_preload_offset 0
		.amdhsa_user_sgpr_private_segment_size 0
		.amdhsa_wavefront_size32 1
		.amdhsa_uses_dynamic_stack 0
		.amdhsa_enable_private_segment 0
		.amdhsa_system_sgpr_workgroup_id_x 1
		.amdhsa_system_sgpr_workgroup_id_y 0
		.amdhsa_system_sgpr_workgroup_id_z 0
		.amdhsa_system_sgpr_workgroup_info 0
		.amdhsa_system_vgpr_workitem_id 0
		.amdhsa_next_free_vgpr 20
		.amdhsa_next_free_sgpr 28
		.amdhsa_named_barrier_count 0
		.amdhsa_reserve_vcc 1
		.amdhsa_float_round_mode_32 0
		.amdhsa_float_round_mode_16_64 0
		.amdhsa_float_denorm_mode_32 3
		.amdhsa_float_denorm_mode_16_64 3
		.amdhsa_fp16_overflow 0
		.amdhsa_memory_ordered 1
		.amdhsa_forward_progress 1
		.amdhsa_inst_pref_size 14
		.amdhsa_round_robin_scheduling 0
		.amdhsa_exception_fp_ieee_invalid_op 0
		.amdhsa_exception_fp_denorm_src 0
		.amdhsa_exception_fp_ieee_div_zero 0
		.amdhsa_exception_fp_ieee_overflow 0
		.amdhsa_exception_fp_ieee_underflow 0
		.amdhsa_exception_fp_ieee_inexact 0
		.amdhsa_exception_int_div_zero 0
	.end_amdhsa_kernel
	.section	.text._ZN9rocsparseL27csrmvn_lrb_long_rows_kernelIllf21rocsparse_complex_numIfES2_S2_EEvbT_PjPT0_S6_jNS_24const_host_device_scalarIT4_EEPKS3_PKS5_PKT1_PKT2_S9_PT3_21rocsparse_index_base_b,"axG",@progbits,_ZN9rocsparseL27csrmvn_lrb_long_rows_kernelIllf21rocsparse_complex_numIfES2_S2_EEvbT_PjPT0_S6_jNS_24const_host_device_scalarIT4_EEPKS3_PKS5_PKT1_PKT2_S9_PT3_21rocsparse_index_base_b,comdat
.Lfunc_end169:
	.size	_ZN9rocsparseL27csrmvn_lrb_long_rows_kernelIllf21rocsparse_complex_numIfES2_S2_EEvbT_PjPT0_S6_jNS_24const_host_device_scalarIT4_EEPKS3_PKS5_PKT1_PKT2_S9_PT3_21rocsparse_index_base_b, .Lfunc_end169-_ZN9rocsparseL27csrmvn_lrb_long_rows_kernelIllf21rocsparse_complex_numIfES2_S2_EEvbT_PjPT0_S6_jNS_24const_host_device_scalarIT4_EEPKS3_PKS5_PKT1_PKT2_S9_PT3_21rocsparse_index_base_b
                                        ; -- End function
	.set _ZN9rocsparseL27csrmvn_lrb_long_rows_kernelIllf21rocsparse_complex_numIfES2_S2_EEvbT_PjPT0_S6_jNS_24const_host_device_scalarIT4_EEPKS3_PKS5_PKT1_PKT2_S9_PT3_21rocsparse_index_base_b.num_vgpr, 20
	.set _ZN9rocsparseL27csrmvn_lrb_long_rows_kernelIllf21rocsparse_complex_numIfES2_S2_EEvbT_PjPT0_S6_jNS_24const_host_device_scalarIT4_EEPKS3_PKS5_PKT1_PKT2_S9_PT3_21rocsparse_index_base_b.num_agpr, 0
	.set _ZN9rocsparseL27csrmvn_lrb_long_rows_kernelIllf21rocsparse_complex_numIfES2_S2_EEvbT_PjPT0_S6_jNS_24const_host_device_scalarIT4_EEPKS3_PKS5_PKT1_PKT2_S9_PT3_21rocsparse_index_base_b.numbered_sgpr, 28
	.set _ZN9rocsparseL27csrmvn_lrb_long_rows_kernelIllf21rocsparse_complex_numIfES2_S2_EEvbT_PjPT0_S6_jNS_24const_host_device_scalarIT4_EEPKS3_PKS5_PKT1_PKT2_S9_PT3_21rocsparse_index_base_b.num_named_barrier, 0
	.set _ZN9rocsparseL27csrmvn_lrb_long_rows_kernelIllf21rocsparse_complex_numIfES2_S2_EEvbT_PjPT0_S6_jNS_24const_host_device_scalarIT4_EEPKS3_PKS5_PKT1_PKT2_S9_PT3_21rocsparse_index_base_b.private_seg_size, 0
	.set _ZN9rocsparseL27csrmvn_lrb_long_rows_kernelIllf21rocsparse_complex_numIfES2_S2_EEvbT_PjPT0_S6_jNS_24const_host_device_scalarIT4_EEPKS3_PKS5_PKT1_PKT2_S9_PT3_21rocsparse_index_base_b.uses_vcc, 1
	.set _ZN9rocsparseL27csrmvn_lrb_long_rows_kernelIllf21rocsparse_complex_numIfES2_S2_EEvbT_PjPT0_S6_jNS_24const_host_device_scalarIT4_EEPKS3_PKS5_PKT1_PKT2_S9_PT3_21rocsparse_index_base_b.uses_flat_scratch, 0
	.set _ZN9rocsparseL27csrmvn_lrb_long_rows_kernelIllf21rocsparse_complex_numIfES2_S2_EEvbT_PjPT0_S6_jNS_24const_host_device_scalarIT4_EEPKS3_PKS5_PKT1_PKT2_S9_PT3_21rocsparse_index_base_b.has_dyn_sized_stack, 0
	.set _ZN9rocsparseL27csrmvn_lrb_long_rows_kernelIllf21rocsparse_complex_numIfES2_S2_EEvbT_PjPT0_S6_jNS_24const_host_device_scalarIT4_EEPKS3_PKS5_PKT1_PKT2_S9_PT3_21rocsparse_index_base_b.has_recursion, 0
	.set _ZN9rocsparseL27csrmvn_lrb_long_rows_kernelIllf21rocsparse_complex_numIfES2_S2_EEvbT_PjPT0_S6_jNS_24const_host_device_scalarIT4_EEPKS3_PKS5_PKT1_PKT2_S9_PT3_21rocsparse_index_base_b.has_indirect_call, 0
	.section	.AMDGPU.csdata,"",@progbits
; Kernel info:
; codeLenInByte = 1788
; TotalNumSgprs: 30
; NumVgprs: 20
; ScratchSize: 0
; MemoryBound: 0
; FloatMode: 240
; IeeeMode: 1
; LDSByteSize: 2048 bytes/workgroup (compile time only)
; SGPRBlocks: 0
; VGPRBlocks: 1
; NumSGPRsForWavesPerEU: 30
; NumVGPRsForWavesPerEU: 20
; NamedBarCnt: 0
; Occupancy: 16
; WaveLimiterHint : 1
; COMPUTE_PGM_RSRC2:SCRATCH_EN: 0
; COMPUTE_PGM_RSRC2:USER_SGPR: 2
; COMPUTE_PGM_RSRC2:TRAP_HANDLER: 0
; COMPUTE_PGM_RSRC2:TGID_X_EN: 1
; COMPUTE_PGM_RSRC2:TGID_Y_EN: 0
; COMPUTE_PGM_RSRC2:TGID_Z_EN: 0
; COMPUTE_PGM_RSRC2:TIDIG_COMP_CNT: 0
	.section	.text._ZN9rocsparseL28csrmvn_lrb_short_rows_kernelIiifdddEEvbT_PT0_S3_jNS_24const_host_device_scalarIT4_EEPKS1_PKS2_PKT1_PKT2_S6_PT3_21rocsparse_index_base_b,"axG",@progbits,_ZN9rocsparseL28csrmvn_lrb_short_rows_kernelIiifdddEEvbT_PT0_S3_jNS_24const_host_device_scalarIT4_EEPKS1_PKS2_PKT1_PKT2_S6_PT3_21rocsparse_index_base_b,comdat
	.globl	_ZN9rocsparseL28csrmvn_lrb_short_rows_kernelIiifdddEEvbT_PT0_S3_jNS_24const_host_device_scalarIT4_EEPKS1_PKS2_PKT1_PKT2_S6_PT3_21rocsparse_index_base_b ; -- Begin function _ZN9rocsparseL28csrmvn_lrb_short_rows_kernelIiifdddEEvbT_PT0_S3_jNS_24const_host_device_scalarIT4_EEPKS1_PKS2_PKT1_PKT2_S6_PT3_21rocsparse_index_base_b
	.p2align	8
	.type	_ZN9rocsparseL28csrmvn_lrb_short_rows_kernelIiifdddEEvbT_PT0_S3_jNS_24const_host_device_scalarIT4_EEPKS1_PKS2_PKT1_PKT2_S6_PT3_21rocsparse_index_base_b,@function
_ZN9rocsparseL28csrmvn_lrb_short_rows_kernelIiifdddEEvbT_PT0_S3_jNS_24const_host_device_scalarIT4_EEPKS1_PKS2_PKT1_PKT2_S6_PT3_21rocsparse_index_base_b: ; @_ZN9rocsparseL28csrmvn_lrb_short_rows_kernelIiifdddEEvbT_PT0_S3_jNS_24const_host_device_scalarIT4_EEPKS1_PKS2_PKT1_PKT2_S6_PT3_21rocsparse_index_base_b
; %bb.0:
	s_clause 0x2
	s_load_b64 s[16:17], s[0:1], 0x58
	s_load_b64 s[4:5], s[0:1], 0x20
	;; [unrolled: 1-line block ×3, first 2 shown]
	s_wait_kmcnt 0x0
	s_bitcmp1_b32 s17, 0
	v_mov_b64_e32 v[4:5], s[4:5]
	s_cselect_b32 s6, -1, 0
	s_delay_alu instid0(SALU_CYCLE_1)
	s_and_b32 vcc_lo, exec_lo, s6
	s_xor_b32 s6, s6, -1
	s_cbranch_vccnz .LBB170_2
; %bb.1:
	v_mov_b32_e32 v1, 0
	flat_load_b64 v[4:5], v1, s[4:5]
.LBB170_2:
	v_mov_b64_e32 v[2:3], s[2:3]
	s_and_not1_b32 vcc_lo, exec_lo, s6
	s_cbranch_vccnz .LBB170_4
; %bb.3:
	s_wait_xcnt 0x0
	v_mov_b32_e32 v1, 0
	flat_load_b64 v[2:3], v1, s[2:3]
.LBB170_4:
	s_wait_loadcnt_dscnt 0x0
	v_cmp_neq_f64_e32 vcc_lo, 0, v[4:5]
	s_delay_alu instid0(VALU_DEP_2) | instskip(SKIP_1) | instid1(SALU_CYCLE_1)
	v_cmp_neq_f64_e64 s2, 1.0, v[2:3]
	s_or_b32 s2, vcc_lo, s2
	s_and_saveexec_b32 s3, s2
	s_cbranch_execz .LBB170_18
; %bb.5:
	s_clause 0x1
	s_load_b32 s2, s[0:1], 0x18
	s_load_b128 s[12:15], s[0:1], 0x8
	s_and_b32 s6, ttmp6, 15
	s_getreg_b32 s7, hwreg(HW_REG_IB_STS2, 6, 4)
	s_mov_b32 s17, 0
	s_wait_kmcnt 0x0
	s_add_co_i32 s4, s2, 1
	s_clause 0x1
	s_load_b32 s3, s[14:15], s2 offset:0x0 scale_offset
	s_load_b32 s5, s[14:15], s4 offset:0x0 scale_offset
	s_wait_xcnt 0x0
	s_bfe_u32 s4, ttmp6, 0x4000c
	s_delay_alu instid0(SALU_CYCLE_1) | instskip(NEXT) | instid1(SALU_CYCLE_1)
	s_add_co_i32 s4, s4, 1
	s_mul_i32 s4, ttmp9, s4
	s_delay_alu instid0(SALU_CYCLE_1) | instskip(SKIP_4) | instid1(SALU_CYCLE_1)
	s_add_co_i32 s6, s6, s4
	s_wait_kmcnt 0x0
	s_sub_co_i32 s5, s5, s3
	s_cmp_eq_u32 s7, 0
	s_cselect_b32 s4, ttmp9, s6
	s_lshl_b32 s14, s4, 8
	s_delay_alu instid0(SALU_CYCLE_1) | instskip(NEXT) | instid1(SALU_CYCLE_1)
	s_add_co_i32 s4, s14, 0x100
	s_min_u32 s15, s5, s4
	s_cmp_gt_u32 s2, 23
	s_cbranch_scc1 .LBB170_12
; %bb.6:
	s_load_b256 s[4:11], s[0:1], 0x28
	v_bfe_u32 v1, v0, 0, s2
	v_lshl_add_u32 v11, v0, 3, 0
	s_lshl_b32 s18, 0x100, s2
	s_delay_alu instid0(VALU_DEP_2)
	v_subrev_nc_u32_e32 v10, s16, v1
	s_branch .LBB170_9
.LBB170_7:                              ;   in Loop: Header=BB170_9 Depth=1
	s_or_b32 exec_lo, exec_lo, s20
	ds_store_b64 v11, v[6:7]
.LBB170_8:                              ;   in Loop: Header=BB170_9 Depth=1
	s_or_b32 exec_lo, exec_lo, s19
	v_add_nc_u32_e32 v11, 0x800, v11
	s_addk_co_i32 s17, 0x100
	s_delay_alu instid0(SALU_CYCLE_1)
	s_cmp_ge_u32 s17, s18
	s_cbranch_scc1 .LBB170_12
.LBB170_9:                              ; =>This Inner Loop Header: Depth=1
	v_add_nc_u32_e32 v6, s17, v0
	s_mov_b32 s19, exec_lo
	s_delay_alu instid0(VALU_DEP_1) | instskip(NEXT) | instid1(VALU_DEP_1)
	v_lshrrev_b32_e32 v6, s2, v6
	v_add_nc_u32_e32 v6, s14, v6
	s_delay_alu instid0(VALU_DEP_1)
	v_cmpx_gt_u32_e64 s15, v6
	s_cbranch_execz .LBB170_8
; %bb.10:                               ;   in Loop: Header=BB170_9 Depth=1
	v_add_nc_u32_e32 v6, s3, v6
	s_mov_b32 s20, exec_lo
	global_load_b32 v6, v6, s[12:13] scale_offset
	s_wait_loadcnt 0x0
	v_ashrrev_i32_e32 v7, 31, v6
	s_wait_kmcnt 0x0
	s_wait_xcnt 0x0
	s_delay_alu instid0(VALU_DEP_1)
	v_lshl_add_u64 v[6:7], v[6:7], 2, s[4:5]
	global_load_b64 v[8:9], v[6:7], off
	s_wait_xcnt 0x0
	v_mov_b64_e32 v[6:7], 0
	s_wait_loadcnt 0x0
	v_sub_nc_u32_e32 v9, v9, v8
	s_delay_alu instid0(VALU_DEP_1)
	v_cmpx_lt_u32_e64 v1, v9
	s_cbranch_execz .LBB170_7
; %bb.11:                               ;   in Loop: Header=BB170_9 Depth=1
	v_add_nc_u32_e32 v6, v10, v8
	s_clause 0x1
	global_load_b32 v7, v6, s[6:7] scale_offset
	global_load_b32 v8, v6, s[8:9] scale_offset
	s_wait_loadcnt 0x1
	s_wait_xcnt 0x0
	v_subrev_nc_u32_e32 v6, s16, v7
	s_wait_loadcnt 0x0
	v_cvt_f64_f32_e32 v[8:9], v8
	global_load_b64 v[6:7], v6, s[10:11] scale_offset
	v_mul_f64_e32 v[8:9], v[4:5], v[8:9]
	s_wait_loadcnt 0x0
	s_wait_xcnt 0x0
	s_delay_alu instid0(VALU_DEP_1)
	v_mul_f64_e32 v[6:7], v[8:9], v[6:7]
	s_branch .LBB170_7
.LBB170_12:
	s_wait_kmcnt 0x0
	s_sub_co_i32 s4, s15, s14
	s_wait_dscnt 0x0
	v_cmp_gt_u32_e32 vcc_lo, s4, v0
	s_barrier_signal -1
	s_barrier_wait -1
	s_and_b32 exec_lo, exec_lo, vcc_lo
	s_cbranch_execz .LBB170_18
; %bb.13:
	v_add3_u32 v1, s3, s14, v0
	s_load_b64 s[0:1], s[0:1], 0x50
	v_lshlrev_b32_e32 v5, s2, v0
	s_mov_b32 s3, 1
	global_load_b32 v4, v1, s[12:13] scale_offset
	s_wait_xcnt 0x0
	v_mov_b64_e32 v[0:1], 0
	v_lshl_add_u32 v5, v5, 3, 0
.LBB170_14:                             ; =>This Inner Loop Header: Depth=1
	ds_load_b64 v[6:7], v5
	s_lshr_b32 s4, s3, s2
	s_add_co_i32 s3, s3, 1
	s_cmp_lg_u32 s4, 0
	s_wait_dscnt 0x0
	v_dual_add_f64 v[0:1], v[0:1], v[6:7] :: v_dual_add_nc_u32 v5, 8, v5
	s_cbranch_scc0 .LBB170_14
; %bb.15:
	s_wait_loadcnt 0x0
	v_ashrrev_i32_e32 v5, 31, v4
	s_wait_kmcnt 0x0
	s_delay_alu instid0(VALU_DEP_1)
	v_lshl_add_u64 v[4:5], v[4:5], 3, s[0:1]
	s_mov_b32 s0, exec_lo
	v_cmpx_neq_f64_e32 0, v[2:3]
	s_cbranch_execz .LBB170_17
; %bb.16:
	global_load_b64 v[6:7], v[4:5], off
	s_wait_loadcnt 0x0
	v_fmac_f64_e32 v[0:1], v[2:3], v[6:7]
.LBB170_17:
	s_or_b32 exec_lo, exec_lo, s0
	global_store_b64 v[4:5], v[0:1], off
.LBB170_18:
	s_endpgm
	.section	.rodata,"a",@progbits
	.p2align	6, 0x0
	.amdhsa_kernel _ZN9rocsparseL28csrmvn_lrb_short_rows_kernelIiifdddEEvbT_PT0_S3_jNS_24const_host_device_scalarIT4_EEPKS1_PKS2_PKT1_PKT2_S6_PT3_21rocsparse_index_base_b
		.amdhsa_group_segment_fixed_size 0
		.amdhsa_private_segment_fixed_size 0
		.amdhsa_kernarg_size 96
		.amdhsa_user_sgpr_count 2
		.amdhsa_user_sgpr_dispatch_ptr 0
		.amdhsa_user_sgpr_queue_ptr 0
		.amdhsa_user_sgpr_kernarg_segment_ptr 1
		.amdhsa_user_sgpr_dispatch_id 0
		.amdhsa_user_sgpr_kernarg_preload_length 0
		.amdhsa_user_sgpr_kernarg_preload_offset 0
		.amdhsa_user_sgpr_private_segment_size 0
		.amdhsa_wavefront_size32 1
		.amdhsa_uses_dynamic_stack 0
		.amdhsa_enable_private_segment 0
		.amdhsa_system_sgpr_workgroup_id_x 1
		.amdhsa_system_sgpr_workgroup_id_y 0
		.amdhsa_system_sgpr_workgroup_id_z 0
		.amdhsa_system_sgpr_workgroup_info 0
		.amdhsa_system_vgpr_workitem_id 0
		.amdhsa_next_free_vgpr 12
		.amdhsa_next_free_sgpr 21
		.amdhsa_named_barrier_count 0
		.amdhsa_reserve_vcc 1
		.amdhsa_float_round_mode_32 0
		.amdhsa_float_round_mode_16_64 0
		.amdhsa_float_denorm_mode_32 3
		.amdhsa_float_denorm_mode_16_64 3
		.amdhsa_fp16_overflow 0
		.amdhsa_memory_ordered 1
		.amdhsa_forward_progress 1
		.amdhsa_inst_pref_size 7
		.amdhsa_round_robin_scheduling 0
		.amdhsa_exception_fp_ieee_invalid_op 0
		.amdhsa_exception_fp_denorm_src 0
		.amdhsa_exception_fp_ieee_div_zero 0
		.amdhsa_exception_fp_ieee_overflow 0
		.amdhsa_exception_fp_ieee_underflow 0
		.amdhsa_exception_fp_ieee_inexact 0
		.amdhsa_exception_int_div_zero 0
	.end_amdhsa_kernel
	.section	.text._ZN9rocsparseL28csrmvn_lrb_short_rows_kernelIiifdddEEvbT_PT0_S3_jNS_24const_host_device_scalarIT4_EEPKS1_PKS2_PKT1_PKT2_S6_PT3_21rocsparse_index_base_b,"axG",@progbits,_ZN9rocsparseL28csrmvn_lrb_short_rows_kernelIiifdddEEvbT_PT0_S3_jNS_24const_host_device_scalarIT4_EEPKS1_PKS2_PKT1_PKT2_S6_PT3_21rocsparse_index_base_b,comdat
.Lfunc_end170:
	.size	_ZN9rocsparseL28csrmvn_lrb_short_rows_kernelIiifdddEEvbT_PT0_S3_jNS_24const_host_device_scalarIT4_EEPKS1_PKS2_PKT1_PKT2_S6_PT3_21rocsparse_index_base_b, .Lfunc_end170-_ZN9rocsparseL28csrmvn_lrb_short_rows_kernelIiifdddEEvbT_PT0_S3_jNS_24const_host_device_scalarIT4_EEPKS1_PKS2_PKT1_PKT2_S6_PT3_21rocsparse_index_base_b
                                        ; -- End function
	.set _ZN9rocsparseL28csrmvn_lrb_short_rows_kernelIiifdddEEvbT_PT0_S3_jNS_24const_host_device_scalarIT4_EEPKS1_PKS2_PKT1_PKT2_S6_PT3_21rocsparse_index_base_b.num_vgpr, 12
	.set _ZN9rocsparseL28csrmvn_lrb_short_rows_kernelIiifdddEEvbT_PT0_S3_jNS_24const_host_device_scalarIT4_EEPKS1_PKS2_PKT1_PKT2_S6_PT3_21rocsparse_index_base_b.num_agpr, 0
	.set _ZN9rocsparseL28csrmvn_lrb_short_rows_kernelIiifdddEEvbT_PT0_S3_jNS_24const_host_device_scalarIT4_EEPKS1_PKS2_PKT1_PKT2_S6_PT3_21rocsparse_index_base_b.numbered_sgpr, 21
	.set _ZN9rocsparseL28csrmvn_lrb_short_rows_kernelIiifdddEEvbT_PT0_S3_jNS_24const_host_device_scalarIT4_EEPKS1_PKS2_PKT1_PKT2_S6_PT3_21rocsparse_index_base_b.num_named_barrier, 0
	.set _ZN9rocsparseL28csrmvn_lrb_short_rows_kernelIiifdddEEvbT_PT0_S3_jNS_24const_host_device_scalarIT4_EEPKS1_PKS2_PKT1_PKT2_S6_PT3_21rocsparse_index_base_b.private_seg_size, 0
	.set _ZN9rocsparseL28csrmvn_lrb_short_rows_kernelIiifdddEEvbT_PT0_S3_jNS_24const_host_device_scalarIT4_EEPKS1_PKS2_PKT1_PKT2_S6_PT3_21rocsparse_index_base_b.uses_vcc, 1
	.set _ZN9rocsparseL28csrmvn_lrb_short_rows_kernelIiifdddEEvbT_PT0_S3_jNS_24const_host_device_scalarIT4_EEPKS1_PKS2_PKT1_PKT2_S6_PT3_21rocsparse_index_base_b.uses_flat_scratch, 0
	.set _ZN9rocsparseL28csrmvn_lrb_short_rows_kernelIiifdddEEvbT_PT0_S3_jNS_24const_host_device_scalarIT4_EEPKS1_PKS2_PKT1_PKT2_S6_PT3_21rocsparse_index_base_b.has_dyn_sized_stack, 0
	.set _ZN9rocsparseL28csrmvn_lrb_short_rows_kernelIiifdddEEvbT_PT0_S3_jNS_24const_host_device_scalarIT4_EEPKS1_PKS2_PKT1_PKT2_S6_PT3_21rocsparse_index_base_b.has_recursion, 0
	.set _ZN9rocsparseL28csrmvn_lrb_short_rows_kernelIiifdddEEvbT_PT0_S3_jNS_24const_host_device_scalarIT4_EEPKS1_PKS2_PKT1_PKT2_S6_PT3_21rocsparse_index_base_b.has_indirect_call, 0
	.section	.AMDGPU.csdata,"",@progbits
; Kernel info:
; codeLenInByte = 776
; TotalNumSgprs: 23
; NumVgprs: 12
; ScratchSize: 0
; MemoryBound: 0
; FloatMode: 240
; IeeeMode: 1
; LDSByteSize: 0 bytes/workgroup (compile time only)
; SGPRBlocks: 0
; VGPRBlocks: 0
; NumSGPRsForWavesPerEU: 23
; NumVGPRsForWavesPerEU: 12
; NamedBarCnt: 0
; Occupancy: 16
; WaveLimiterHint : 1
; COMPUTE_PGM_RSRC2:SCRATCH_EN: 0
; COMPUTE_PGM_RSRC2:USER_SGPR: 2
; COMPUTE_PGM_RSRC2:TRAP_HANDLER: 0
; COMPUTE_PGM_RSRC2:TGID_X_EN: 1
; COMPUTE_PGM_RSRC2:TGID_Y_EN: 0
; COMPUTE_PGM_RSRC2:TGID_Z_EN: 0
; COMPUTE_PGM_RSRC2:TIDIG_COMP_CNT: 0
	.section	.text._ZN9rocsparseL30csrmvn_lrb_short_rows_2_kernelIiifdddEEvbT_PT0_S3_jNS_24const_host_device_scalarIT4_EEPKS1_PKS2_PKT1_PKT2_S6_PT3_21rocsparse_index_base_b,"axG",@progbits,_ZN9rocsparseL30csrmvn_lrb_short_rows_2_kernelIiifdddEEvbT_PT0_S3_jNS_24const_host_device_scalarIT4_EEPKS1_PKS2_PKT1_PKT2_S6_PT3_21rocsparse_index_base_b,comdat
	.globl	_ZN9rocsparseL30csrmvn_lrb_short_rows_2_kernelIiifdddEEvbT_PT0_S3_jNS_24const_host_device_scalarIT4_EEPKS1_PKS2_PKT1_PKT2_S6_PT3_21rocsparse_index_base_b ; -- Begin function _ZN9rocsparseL30csrmvn_lrb_short_rows_2_kernelIiifdddEEvbT_PT0_S3_jNS_24const_host_device_scalarIT4_EEPKS1_PKS2_PKT1_PKT2_S6_PT3_21rocsparse_index_base_b
	.p2align	8
	.type	_ZN9rocsparseL30csrmvn_lrb_short_rows_2_kernelIiifdddEEvbT_PT0_S3_jNS_24const_host_device_scalarIT4_EEPKS1_PKS2_PKT1_PKT2_S6_PT3_21rocsparse_index_base_b,@function
_ZN9rocsparseL30csrmvn_lrb_short_rows_2_kernelIiifdddEEvbT_PT0_S3_jNS_24const_host_device_scalarIT4_EEPKS1_PKS2_PKT1_PKT2_S6_PT3_21rocsparse_index_base_b: ; @_ZN9rocsparseL30csrmvn_lrb_short_rows_2_kernelIiifdddEEvbT_PT0_S3_jNS_24const_host_device_scalarIT4_EEPKS1_PKS2_PKT1_PKT2_S6_PT3_21rocsparse_index_base_b
; %bb.0:
	s_clause 0x2
	s_load_b64 s[16:17], s[0:1], 0x58
	s_load_b64 s[4:5], s[0:1], 0x20
	;; [unrolled: 1-line block ×3, first 2 shown]
	s_wait_kmcnt 0x0
	s_bitcmp1_b32 s17, 0
	v_mov_b64_e32 v[4:5], s[4:5]
	s_cselect_b32 s6, -1, 0
	s_delay_alu instid0(SALU_CYCLE_1)
	s_and_b32 vcc_lo, exec_lo, s6
	s_xor_b32 s6, s6, -1
	s_cbranch_vccnz .LBB171_2
; %bb.1:
	v_mov_b32_e32 v1, 0
	flat_load_b64 v[4:5], v1, s[4:5]
.LBB171_2:
	v_mov_b64_e32 v[2:3], s[2:3]
	s_and_not1_b32 vcc_lo, exec_lo, s6
	s_cbranch_vccnz .LBB171_4
; %bb.3:
	s_wait_xcnt 0x0
	v_mov_b32_e32 v1, 0
	flat_load_b64 v[2:3], v1, s[2:3]
.LBB171_4:
	s_wait_loadcnt_dscnt 0x0
	v_cmp_neq_f64_e32 vcc_lo, 0, v[4:5]
	s_delay_alu instid0(VALU_DEP_2) | instskip(SKIP_1) | instid1(SALU_CYCLE_1)
	v_cmp_neq_f64_e64 s2, 1.0, v[2:3]
	s_or_b32 s2, vcc_lo, s2
	s_and_saveexec_b32 s3, s2
	s_cbranch_execz .LBB171_30
; %bb.5:
	s_clause 0x1
	s_load_b32 s17, s[0:1], 0x18
	s_load_b128 s[12:15], s[0:1], 0x8
	s_getreg_b32 s19, hwreg(HW_REG_IB_STS2, 6, 4)
	s_wait_kmcnt 0x0
	s_add_co_i32 s2, s17, 1
	s_clause 0x1
	s_load_b32 s18, s[14:15], s17 offset:0x0 scale_offset
	s_load_b32 s3, s[14:15], s2 offset:0x0 scale_offset
	s_load_b256 s[4:11], s[0:1], 0x28
	s_wait_xcnt 0x0
	s_bfe_u32 s2, ttmp6, 0x4000c
	s_and_b32 s15, ttmp6, 15
	s_add_co_i32 s2, s2, 1
	s_lshr_b32 s14, 0x400, s17
	s_mul_i32 s2, ttmp9, s2
	v_lshrrev_b32_e32 v1, s17, v0
	s_add_co_i32 s15, s15, s2
	v_bfe_u32 v10, v0, 0, s17
	s_wait_kmcnt 0x0
	s_sub_co_i32 s3, s3, s18
	s_cmp_eq_u32 s19, 0
	s_cselect_b32 s2, ttmp9, s15
	s_delay_alu instid0(SALU_CYCLE_1) | instskip(NEXT) | instid1(SALU_CYCLE_1)
	s_mul_i32 s15, s14, s2
	v_add_nc_u32_e32 v6, s15, v1
	v_subrev_nc_u32_e32 v1, s16, v10
	s_add_co_i32 s2, s15, s14
	s_delay_alu instid0(SALU_CYCLE_1)
	s_min_u32 s19, s3, s2
	s_mov_b32 s2, exec_lo
	v_cmpx_gt_u32_e64 s19, v6
	s_cbranch_execz .LBB171_9
; %bb.6:
	v_add_nc_u32_e32 v6, s18, v6
	s_mov_b32 s3, exec_lo
	global_load_b32 v6, v6, s[12:13] scale_offset
	s_wait_loadcnt 0x0
	v_ashrrev_i32_e32 v7, 31, v6
	s_delay_alu instid0(VALU_DEP_1)
	v_lshl_add_u64 v[6:7], v[6:7], 2, s[4:5]
	global_load_b64 v[8:9], v[6:7], off
	s_wait_xcnt 0x0
	v_mov_b64_e32 v[6:7], 0
	s_wait_loadcnt 0x0
	v_sub_nc_u32_e32 v9, v9, v8
	s_delay_alu instid0(VALU_DEP_1)
	v_cmpx_lt_u32_e64 v10, v9
	s_cbranch_execz .LBB171_8
; %bb.7:
	v_add_nc_u32_e32 v6, v8, v1
	s_clause 0x1
	global_load_b32 v7, v6, s[6:7] scale_offset
	global_load_b32 v8, v6, s[8:9] scale_offset
	s_wait_loadcnt 0x1
	s_wait_xcnt 0x0
	v_subrev_nc_u32_e32 v6, s16, v7
	s_wait_loadcnt 0x0
	v_cvt_f64_f32_e32 v[8:9], v8
	global_load_b64 v[6:7], v6, s[10:11] scale_offset
	v_mul_f64_e32 v[8:9], v[4:5], v[8:9]
	s_wait_loadcnt 0x0
	s_delay_alu instid0(VALU_DEP_1)
	v_mul_f64_e32 v[6:7], v[8:9], v[6:7]
.LBB171_8:
	s_or_b32 exec_lo, exec_lo, s3
	v_lshlrev_b32_e32 v8, 3, v0
	ds_store_b64 v8, v[6:7]
.LBB171_9:
	s_or_b32 exec_lo, exec_lo, s2
	s_load_b64 s[2:3], s[0:1], 0x50
	v_or_b32_e32 v6, 0x100, v0
	s_wait_xcnt 0x0
	s_mov_b32 s0, exec_lo
	s_delay_alu instid0(VALU_DEP_1) | instskip(NEXT) | instid1(VALU_DEP_1)
	v_lshrrev_b32_e32 v6, s17, v6
	v_add_nc_u32_e32 v6, s15, v6
	s_delay_alu instid0(VALU_DEP_1)
	v_cmpx_gt_u32_e64 s19, v6
	s_cbranch_execz .LBB171_13
; %bb.10:
	v_add_nc_u32_e32 v6, s18, v6
	s_mov_b32 s1, exec_lo
	global_load_b32 v6, v6, s[12:13] scale_offset
	s_wait_loadcnt 0x0
	v_ashrrev_i32_e32 v7, 31, v6
	s_delay_alu instid0(VALU_DEP_1)
	v_lshl_add_u64 v[6:7], v[6:7], 2, s[4:5]
	global_load_b64 v[8:9], v[6:7], off
	s_wait_xcnt 0x0
	v_mov_b64_e32 v[6:7], 0
	s_wait_loadcnt 0x0
	v_sub_nc_u32_e32 v9, v9, v8
	s_delay_alu instid0(VALU_DEP_1)
	v_cmpx_lt_u32_e64 v10, v9
	s_cbranch_execz .LBB171_12
; %bb.11:
	v_add_nc_u32_e32 v6, v8, v1
	s_clause 0x1
	global_load_b32 v7, v6, s[6:7] scale_offset
	global_load_b32 v8, v6, s[8:9] scale_offset
	s_wait_loadcnt 0x1
	s_wait_xcnt 0x0
	v_subrev_nc_u32_e32 v6, s16, v7
	s_wait_loadcnt 0x0
	v_cvt_f64_f32_e32 v[8:9], v8
	global_load_b64 v[6:7], v6, s[10:11] scale_offset
	v_mul_f64_e32 v[8:9], v[4:5], v[8:9]
	s_wait_loadcnt 0x0
	s_delay_alu instid0(VALU_DEP_1)
	v_mul_f64_e32 v[6:7], v[8:9], v[6:7]
.LBB171_12:
	s_or_b32 exec_lo, exec_lo, s1
	v_lshlrev_b32_e32 v8, 3, v0
	ds_store_b64 v8, v[6:7] offset:2048
.LBB171_13:
	s_or_b32 exec_lo, exec_lo, s0
	v_or_b32_e32 v6, 0x200, v0
	s_mov_b32 s0, exec_lo
	s_delay_alu instid0(VALU_DEP_1) | instskip(NEXT) | instid1(VALU_DEP_1)
	v_lshrrev_b32_e32 v6, s17, v6
	v_add_nc_u32_e32 v6, s15, v6
	s_delay_alu instid0(VALU_DEP_1)
	v_cmpx_gt_u32_e64 s19, v6
	s_cbranch_execz .LBB171_17
; %bb.14:
	v_add_nc_u32_e32 v6, s18, v6
	s_mov_b32 s1, exec_lo
	global_load_b32 v6, v6, s[12:13] scale_offset
	s_wait_loadcnt 0x0
	v_ashrrev_i32_e32 v7, 31, v6
	s_delay_alu instid0(VALU_DEP_1)
	v_lshl_add_u64 v[6:7], v[6:7], 2, s[4:5]
	global_load_b64 v[8:9], v[6:7], off
	s_wait_xcnt 0x0
	v_mov_b64_e32 v[6:7], 0
	s_wait_loadcnt 0x0
	v_sub_nc_u32_e32 v9, v9, v8
	s_delay_alu instid0(VALU_DEP_1)
	v_cmpx_lt_u32_e64 v10, v9
	s_cbranch_execz .LBB171_16
; %bb.15:
	v_add_nc_u32_e32 v6, v8, v1
	s_clause 0x1
	global_load_b32 v7, v6, s[6:7] scale_offset
	global_load_b32 v8, v6, s[8:9] scale_offset
	s_wait_loadcnt 0x1
	s_wait_xcnt 0x0
	v_subrev_nc_u32_e32 v6, s16, v7
	s_wait_loadcnt 0x0
	v_cvt_f64_f32_e32 v[8:9], v8
	global_load_b64 v[6:7], v6, s[10:11] scale_offset
	v_mul_f64_e32 v[8:9], v[4:5], v[8:9]
	s_wait_loadcnt 0x0
	s_delay_alu instid0(VALU_DEP_1)
	v_mul_f64_e32 v[6:7], v[8:9], v[6:7]
.LBB171_16:
	s_or_b32 exec_lo, exec_lo, s1
	v_lshlrev_b32_e32 v8, 3, v0
	ds_store_b64 v8, v[6:7] offset:4096
.LBB171_17:
	s_or_b32 exec_lo, exec_lo, s0
	v_or_b32_e32 v6, 0x300, v0
	s_mov_b32 s0, exec_lo
	s_delay_alu instid0(VALU_DEP_1) | instskip(NEXT) | instid1(VALU_DEP_1)
	v_lshrrev_b32_e32 v6, s17, v6
	v_add_nc_u32_e32 v6, s15, v6
	s_delay_alu instid0(VALU_DEP_1)
	v_cmpx_gt_u32_e64 s19, v6
	s_cbranch_execz .LBB171_21
; %bb.18:
	v_add_nc_u32_e32 v6, s18, v6
	s_mov_b32 s1, exec_lo
	global_load_b32 v6, v6, s[12:13] scale_offset
	s_wait_loadcnt 0x0
	v_ashrrev_i32_e32 v7, 31, v6
	s_delay_alu instid0(VALU_DEP_1)
	v_lshl_add_u64 v[6:7], v[6:7], 2, s[4:5]
	global_load_b64 v[8:9], v[6:7], off
	s_wait_xcnt 0x0
	v_mov_b64_e32 v[6:7], 0
	s_wait_loadcnt 0x0
	v_sub_nc_u32_e32 v9, v9, v8
	s_delay_alu instid0(VALU_DEP_1)
	v_cmpx_lt_u32_e64 v10, v9
	s_cbranch_execz .LBB171_20
; %bb.19:
	v_add_nc_u32_e32 v1, v8, v1
	s_clause 0x1
	global_load_b32 v6, v1, s[6:7] scale_offset
	global_load_b32 v8, v1, s[8:9] scale_offset
	s_wait_loadcnt 0x1
	s_wait_xcnt 0x0
	v_subrev_nc_u32_e32 v1, s16, v6
	s_wait_loadcnt 0x0
	v_cvt_f64_f32_e32 v[8:9], v8
	global_load_b64 v[6:7], v1, s[10:11] scale_offset
	v_mul_f64_e32 v[4:5], v[4:5], v[8:9]
	s_wait_loadcnt 0x0
	s_delay_alu instid0(VALU_DEP_1)
	v_mul_f64_e32 v[6:7], v[4:5], v[6:7]
.LBB171_20:
	s_or_b32 exec_lo, exec_lo, s1
	v_lshlrev_b32_e32 v1, 3, v0
	ds_store_b64 v1, v[6:7] offset:6144
.LBB171_21:
	s_or_b32 exec_lo, exec_lo, s0
	s_cmp_lt_u32 s17, 11
	s_wait_dscnt 0x0
	s_barrier_signal -1
	s_barrier_wait -1
	s_cbranch_scc0 .LBB171_30
; %bb.22:
	s_sub_co_i32 s1, s19, s15
	s_add_co_i32 s18, s18, s15
	s_mov_b32 s4, 0
	v_cmp_neq_f64_e32 vcc_lo, 0, v[2:3]
	s_branch .LBB171_25
.LBB171_23:                             ;   in Loop: Header=BB171_25 Depth=1
	s_wait_xcnt 0x0
	s_or_b32 exec_lo, exec_lo, s0
	global_store_b64 v[6:7], v[4:5], off
.LBB171_24:                             ;   in Loop: Header=BB171_25 Depth=1
	s_wait_xcnt 0x0
	s_or_b32 exec_lo, exec_lo, s5
	s_addk_co_i32 s4, 0x100
	s_delay_alu instid0(SALU_CYCLE_1)
	s_cmp_lt_u32 s4, s14
	s_cbranch_scc0 .LBB171_30
.LBB171_25:                             ; =>This Loop Header: Depth=1
                                        ;     Child Loop BB171_27 Depth 2
	v_add_nc_u32_e32 v1, s4, v0
	s_mov_b32 s5, exec_lo
	s_delay_alu instid0(VALU_DEP_1)
	v_cmpx_gt_u32_e64 s1, v1
	s_cbranch_execz .LBB171_24
; %bb.26:                               ;   in Loop: Header=BB171_25 Depth=1
	v_dual_add_nc_u32 v4, s18, v1 :: v_dual_lshlrev_b32 v1, s17, v1
	s_mov_b32 s0, 1
	global_load_b32 v6, v4, s[12:13] scale_offset
	s_wait_xcnt 0x0
	v_mov_b64_e32 v[4:5], 0
	v_lshlrev_b32_e32 v1, 3, v1
.LBB171_27:                             ;   Parent Loop BB171_25 Depth=1
                                        ; =>  This Inner Loop Header: Depth=2
	ds_load_b64 v[8:9], v1
	v_add_nc_u32_e32 v1, 8, v1
	s_lshr_b32 s6, s0, s17
	s_add_co_i32 s0, s0, 1
	s_cmp_lg_u32 s6, 0
	s_wait_dscnt 0x0
	v_add_f64_e32 v[4:5], v[4:5], v[8:9]
	s_cbranch_scc0 .LBB171_27
; %bb.28:                               ;   in Loop: Header=BB171_25 Depth=1
	s_wait_loadcnt 0x0
	v_ashrrev_i32_e32 v7, 31, v6
	s_wait_kmcnt 0x0
	s_delay_alu instid0(VALU_DEP_1)
	v_lshl_add_u64 v[6:7], v[6:7], 3, s[2:3]
	s_and_saveexec_b32 s0, vcc_lo
	s_cbranch_execz .LBB171_23
; %bb.29:                               ;   in Loop: Header=BB171_25 Depth=1
	global_load_b64 v[8:9], v[6:7], off
	s_wait_loadcnt 0x0
	v_fmac_f64_e32 v[4:5], v[2:3], v[8:9]
	s_branch .LBB171_23
.LBB171_30:
	s_endpgm
	.section	.rodata,"a",@progbits
	.p2align	6, 0x0
	.amdhsa_kernel _ZN9rocsparseL30csrmvn_lrb_short_rows_2_kernelIiifdddEEvbT_PT0_S3_jNS_24const_host_device_scalarIT4_EEPKS1_PKS2_PKT1_PKT2_S6_PT3_21rocsparse_index_base_b
		.amdhsa_group_segment_fixed_size 8192
		.amdhsa_private_segment_fixed_size 0
		.amdhsa_kernarg_size 96
		.amdhsa_user_sgpr_count 2
		.amdhsa_user_sgpr_dispatch_ptr 0
		.amdhsa_user_sgpr_queue_ptr 0
		.amdhsa_user_sgpr_kernarg_segment_ptr 1
		.amdhsa_user_sgpr_dispatch_id 0
		.amdhsa_user_sgpr_kernarg_preload_length 0
		.amdhsa_user_sgpr_kernarg_preload_offset 0
		.amdhsa_user_sgpr_private_segment_size 0
		.amdhsa_wavefront_size32 1
		.amdhsa_uses_dynamic_stack 0
		.amdhsa_enable_private_segment 0
		.amdhsa_system_sgpr_workgroup_id_x 1
		.amdhsa_system_sgpr_workgroup_id_y 0
		.amdhsa_system_sgpr_workgroup_id_z 0
		.amdhsa_system_sgpr_workgroup_info 0
		.amdhsa_system_vgpr_workitem_id 0
		.amdhsa_next_free_vgpr 11
		.amdhsa_next_free_sgpr 20
		.amdhsa_named_barrier_count 0
		.amdhsa_reserve_vcc 1
		.amdhsa_float_round_mode_32 0
		.amdhsa_float_round_mode_16_64 0
		.amdhsa_float_denorm_mode_32 3
		.amdhsa_float_denorm_mode_16_64 3
		.amdhsa_fp16_overflow 0
		.amdhsa_memory_ordered 1
		.amdhsa_forward_progress 1
		.amdhsa_inst_pref_size 12
		.amdhsa_round_robin_scheduling 0
		.amdhsa_exception_fp_ieee_invalid_op 0
		.amdhsa_exception_fp_denorm_src 0
		.amdhsa_exception_fp_ieee_div_zero 0
		.amdhsa_exception_fp_ieee_overflow 0
		.amdhsa_exception_fp_ieee_underflow 0
		.amdhsa_exception_fp_ieee_inexact 0
		.amdhsa_exception_int_div_zero 0
	.end_amdhsa_kernel
	.section	.text._ZN9rocsparseL30csrmvn_lrb_short_rows_2_kernelIiifdddEEvbT_PT0_S3_jNS_24const_host_device_scalarIT4_EEPKS1_PKS2_PKT1_PKT2_S6_PT3_21rocsparse_index_base_b,"axG",@progbits,_ZN9rocsparseL30csrmvn_lrb_short_rows_2_kernelIiifdddEEvbT_PT0_S3_jNS_24const_host_device_scalarIT4_EEPKS1_PKS2_PKT1_PKT2_S6_PT3_21rocsparse_index_base_b,comdat
.Lfunc_end171:
	.size	_ZN9rocsparseL30csrmvn_lrb_short_rows_2_kernelIiifdddEEvbT_PT0_S3_jNS_24const_host_device_scalarIT4_EEPKS1_PKS2_PKT1_PKT2_S6_PT3_21rocsparse_index_base_b, .Lfunc_end171-_ZN9rocsparseL30csrmvn_lrb_short_rows_2_kernelIiifdddEEvbT_PT0_S3_jNS_24const_host_device_scalarIT4_EEPKS1_PKS2_PKT1_PKT2_S6_PT3_21rocsparse_index_base_b
                                        ; -- End function
	.set _ZN9rocsparseL30csrmvn_lrb_short_rows_2_kernelIiifdddEEvbT_PT0_S3_jNS_24const_host_device_scalarIT4_EEPKS1_PKS2_PKT1_PKT2_S6_PT3_21rocsparse_index_base_b.num_vgpr, 11
	.set _ZN9rocsparseL30csrmvn_lrb_short_rows_2_kernelIiifdddEEvbT_PT0_S3_jNS_24const_host_device_scalarIT4_EEPKS1_PKS2_PKT1_PKT2_S6_PT3_21rocsparse_index_base_b.num_agpr, 0
	.set _ZN9rocsparseL30csrmvn_lrb_short_rows_2_kernelIiifdddEEvbT_PT0_S3_jNS_24const_host_device_scalarIT4_EEPKS1_PKS2_PKT1_PKT2_S6_PT3_21rocsparse_index_base_b.numbered_sgpr, 20
	.set _ZN9rocsparseL30csrmvn_lrb_short_rows_2_kernelIiifdddEEvbT_PT0_S3_jNS_24const_host_device_scalarIT4_EEPKS1_PKS2_PKT1_PKT2_S6_PT3_21rocsparse_index_base_b.num_named_barrier, 0
	.set _ZN9rocsparseL30csrmvn_lrb_short_rows_2_kernelIiifdddEEvbT_PT0_S3_jNS_24const_host_device_scalarIT4_EEPKS1_PKS2_PKT1_PKT2_S6_PT3_21rocsparse_index_base_b.private_seg_size, 0
	.set _ZN9rocsparseL30csrmvn_lrb_short_rows_2_kernelIiifdddEEvbT_PT0_S3_jNS_24const_host_device_scalarIT4_EEPKS1_PKS2_PKT1_PKT2_S6_PT3_21rocsparse_index_base_b.uses_vcc, 1
	.set _ZN9rocsparseL30csrmvn_lrb_short_rows_2_kernelIiifdddEEvbT_PT0_S3_jNS_24const_host_device_scalarIT4_EEPKS1_PKS2_PKT1_PKT2_S6_PT3_21rocsparse_index_base_b.uses_flat_scratch, 0
	.set _ZN9rocsparseL30csrmvn_lrb_short_rows_2_kernelIiifdddEEvbT_PT0_S3_jNS_24const_host_device_scalarIT4_EEPKS1_PKS2_PKT1_PKT2_S6_PT3_21rocsparse_index_base_b.has_dyn_sized_stack, 0
	.set _ZN9rocsparseL30csrmvn_lrb_short_rows_2_kernelIiifdddEEvbT_PT0_S3_jNS_24const_host_device_scalarIT4_EEPKS1_PKS2_PKT1_PKT2_S6_PT3_21rocsparse_index_base_b.has_recursion, 0
	.set _ZN9rocsparseL30csrmvn_lrb_short_rows_2_kernelIiifdddEEvbT_PT0_S3_jNS_24const_host_device_scalarIT4_EEPKS1_PKS2_PKT1_PKT2_S6_PT3_21rocsparse_index_base_b.has_indirect_call, 0
	.section	.AMDGPU.csdata,"",@progbits
; Kernel info:
; codeLenInByte = 1420
; TotalNumSgprs: 22
; NumVgprs: 11
; ScratchSize: 0
; MemoryBound: 0
; FloatMode: 240
; IeeeMode: 1
; LDSByteSize: 8192 bytes/workgroup (compile time only)
; SGPRBlocks: 0
; VGPRBlocks: 0
; NumSGPRsForWavesPerEU: 22
; NumVGPRsForWavesPerEU: 11
; NamedBarCnt: 0
; Occupancy: 16
; WaveLimiterHint : 1
; COMPUTE_PGM_RSRC2:SCRATCH_EN: 0
; COMPUTE_PGM_RSRC2:USER_SGPR: 2
; COMPUTE_PGM_RSRC2:TRAP_HANDLER: 0
; COMPUTE_PGM_RSRC2:TGID_X_EN: 1
; COMPUTE_PGM_RSRC2:TGID_Y_EN: 0
; COMPUTE_PGM_RSRC2:TGID_Z_EN: 0
; COMPUTE_PGM_RSRC2:TIDIG_COMP_CNT: 0
	.section	.text._ZN9rocsparseL41csrmvn_lrb_medium_rows_warp_reduce_kernelILj256ELj32EiifdddEEvbT1_lPT2_S3_jNS_24const_host_device_scalarIT6_EEPKS1_PKS2_PKT3_PKT4_S6_PT5_21rocsparse_index_base_b,"axG",@progbits,_ZN9rocsparseL41csrmvn_lrb_medium_rows_warp_reduce_kernelILj256ELj32EiifdddEEvbT1_lPT2_S3_jNS_24const_host_device_scalarIT6_EEPKS1_PKS2_PKT3_PKT4_S6_PT5_21rocsparse_index_base_b,comdat
	.globl	_ZN9rocsparseL41csrmvn_lrb_medium_rows_warp_reduce_kernelILj256ELj32EiifdddEEvbT1_lPT2_S3_jNS_24const_host_device_scalarIT6_EEPKS1_PKS2_PKT3_PKT4_S6_PT5_21rocsparse_index_base_b ; -- Begin function _ZN9rocsparseL41csrmvn_lrb_medium_rows_warp_reduce_kernelILj256ELj32EiifdddEEvbT1_lPT2_S3_jNS_24const_host_device_scalarIT6_EEPKS1_PKS2_PKT3_PKT4_S6_PT5_21rocsparse_index_base_b
	.p2align	8
	.type	_ZN9rocsparseL41csrmvn_lrb_medium_rows_warp_reduce_kernelILj256ELj32EiifdddEEvbT1_lPT2_S3_jNS_24const_host_device_scalarIT6_EEPKS1_PKS2_PKT3_PKT4_S6_PT5_21rocsparse_index_base_b,@function
_ZN9rocsparseL41csrmvn_lrb_medium_rows_warp_reduce_kernelILj256ELj32EiifdddEEvbT1_lPT2_S3_jNS_24const_host_device_scalarIT6_EEPKS1_PKS2_PKT3_PKT4_S6_PT5_21rocsparse_index_base_b: ; @_ZN9rocsparseL41csrmvn_lrb_medium_rows_warp_reduce_kernelILj256ELj32EiifdddEEvbT1_lPT2_S3_jNS_24const_host_device_scalarIT6_EEPKS1_PKS2_PKT3_PKT4_S6_PT5_21rocsparse_index_base_b
; %bb.0:
	s_clause 0x2
	s_load_b64 s[8:9], s[0:1], 0x60
	s_load_b64 s[4:5], s[0:1], 0x28
	;; [unrolled: 1-line block ×3, first 2 shown]
	s_wait_kmcnt 0x0
	s_bitcmp1_b32 s9, 0
	v_mov_b64_e32 v[4:5], s[4:5]
	s_cselect_b32 s6, -1, 0
	s_delay_alu instid0(SALU_CYCLE_1)
	s_and_b32 vcc_lo, exec_lo, s6
	s_xor_b32 s6, s6, -1
	s_cbranch_vccnz .LBB172_2
; %bb.1:
	v_mov_b32_e32 v1, 0
	flat_load_b64 v[4:5], v1, s[4:5]
.LBB172_2:
	v_mov_b64_e32 v[2:3], s[2:3]
	s_and_not1_b32 vcc_lo, exec_lo, s6
	s_cbranch_vccnz .LBB172_4
; %bb.3:
	s_wait_xcnt 0x0
	v_mov_b32_e32 v1, 0
	flat_load_b64 v[2:3], v1, s[2:3]
.LBB172_4:
	s_wait_loadcnt_dscnt 0x0
	v_cmp_neq_f64_e32 vcc_lo, 0, v[4:5]
	s_delay_alu instid0(VALU_DEP_2) | instskip(SKIP_1) | instid1(SALU_CYCLE_1)
	v_cmp_neq_f64_e64 s2, 1.0, v[2:3]
	s_or_b32 s2, vcc_lo, s2
	s_and_saveexec_b32 s3, s2
	s_cbranch_execz .LBB172_14
; %bb.5:
	s_bfe_u32 s4, ttmp6, 0x4000c
	s_load_b64 s[2:3], s[0:1], 0x8
	s_add_co_i32 s4, s4, 1
	s_and_b32 s5, ttmp6, 15
	s_mul_i32 s4, ttmp9, s4
	s_getreg_b32 s6, hwreg(HW_REG_IB_STS2, 6, 4)
	v_lshrrev_b32_e32 v1, 5, v0
	s_add_co_i32 s5, s5, s4
	s_cmp_eq_u32 s6, 0
	s_cselect_b32 s4, ttmp9, s5
	s_delay_alu instid0(VALU_DEP_1) | instid1(SALU_CYCLE_1)
	v_lshl_or_b32 v6, s4, 3, v1
	s_delay_alu instid0(VALU_DEP_1) | instskip(SKIP_1) | instid1(VALU_DEP_1)
	v_ashrrev_i32_e32 v7, 31, v6
	s_wait_kmcnt 0x0
	v_cmp_gt_i64_e32 vcc_lo, s[2:3], v[6:7]
	s_and_b32 exec_lo, exec_lo, vcc_lo
	s_cbranch_execz .LBB172_14
; %bb.6:
	s_clause 0x1
	s_load_b128 s[4:7], s[0:1], 0x10
	s_load_b32 s2, s[0:1], 0x20
	s_mov_b32 s9, exec_lo
	s_wait_kmcnt 0x0
	s_load_b32 s2, s[6:7], s2 offset:0x0 scale_offset
	s_wait_kmcnt 0x0
	v_add_nc_u32_e32 v1, s2, v6
	s_load_b64 s[2:3], s[0:1], 0x30
	global_load_b32 v6, v1, s[4:5] scale_offset
	s_wait_loadcnt 0x0
	v_ashrrev_i32_e32 v7, 31, v6
	s_wait_kmcnt 0x0
	s_delay_alu instid0(VALU_DEP_1) | instskip(SKIP_3) | instid1(VALU_DEP_1)
	v_lshl_add_u64 v[8:9], v[6:7], 2, s[2:3]
	global_load_b64 v[10:11], v[8:9], off
	s_wait_xcnt 0x0
	v_and_b32_e32 v8, 31, v0
	v_subrev_nc_u32_e32 v0, s8, v8
	s_wait_loadcnt 0x0
	s_delay_alu instid0(VALU_DEP_1) | instskip(SKIP_2) | instid1(VALU_DEP_1)
	v_add_nc_u32_e32 v10, v10, v0
	v_mov_b64_e32 v[0:1], 0
	v_subrev_nc_u32_e32 v9, s8, v11
	v_cmpx_lt_i32_e64 v10, v9
	s_cbranch_execz .LBB172_10
; %bb.7:
	s_clause 0x1
	s_load_b128 s[4:7], s[0:1], 0x38
	s_load_b64 s[2:3], s[0:1], 0x48
	v_mov_b64_e32 v[0:1], 0
	s_mov_b32 s10, 0
.LBB172_8:                              ; =>This Inner Loop Header: Depth=1
	s_wait_kmcnt 0x0
	s_clause 0x1
	global_load_b32 v11, v10, s[4:5] scale_offset
	global_load_b32 v14, v10, s[6:7] scale_offset
	s_wait_xcnt 0x0
	v_add_nc_u32_e32 v10, 32, v10
	s_delay_alu instid0(VALU_DEP_1)
	v_cmp_ge_i32_e32 vcc_lo, v10, v9
	s_or_b32 s10, vcc_lo, s10
	s_wait_loadcnt 0x1
	v_subrev_nc_u32_e32 v11, s8, v11
	s_wait_loadcnt 0x0
	v_cvt_f64_f32_e32 v[14:15], v14
	global_load_b64 v[12:13], v11, s[2:3] scale_offset
	v_mul_f64_e32 v[14:15], v[4:5], v[14:15]
	s_wait_loadcnt 0x0
	s_delay_alu instid0(VALU_DEP_1)
	v_fmac_f64_e32 v[0:1], v[14:15], v[12:13]
	s_and_not1_b32 exec_lo, exec_lo, s10
	s_cbranch_execnz .LBB172_8
; %bb.9:
	s_or_b32 exec_lo, exec_lo, s10
.LBB172_10:
	s_delay_alu instid0(SALU_CYCLE_1) | instskip(SKIP_2) | instid1(VALU_DEP_1)
	s_or_b32 exec_lo, exec_lo, s9
	v_mbcnt_lo_u32_b32 v9, -1, 0
	s_load_b64 s[0:1], s[0:1], 0x58
	v_xor_b32_e32 v4, 16, v9
	s_delay_alu instid0(VALU_DEP_1) | instskip(SKIP_1) | instid1(VALU_DEP_1)
	v_cmp_gt_i32_e32 vcc_lo, 32, v4
	v_cndmask_b32_e32 v4, v9, v4, vcc_lo
	v_lshlrev_b32_e32 v5, 2, v4
	ds_bpermute_b32 v4, v5, v0
	ds_bpermute_b32 v5, v5, v1
	s_wait_dscnt 0x0
	v_add_f64_e32 v[0:1], v[0:1], v[4:5]
	v_xor_b32_e32 v4, 8, v9
	s_delay_alu instid0(VALU_DEP_1) | instskip(SKIP_1) | instid1(VALU_DEP_1)
	v_cmp_gt_i32_e32 vcc_lo, 32, v4
	v_cndmask_b32_e32 v4, v9, v4, vcc_lo
	v_lshlrev_b32_e32 v5, 2, v4
	ds_bpermute_b32 v4, v5, v0
	ds_bpermute_b32 v5, v5, v1
	s_wait_dscnt 0x0
	v_add_f64_e32 v[0:1], v[0:1], v[4:5]
	;; [unrolled: 9-line block ×4, first 2 shown]
	v_xor_b32_e32 v4, 1, v9
	s_delay_alu instid0(VALU_DEP_1) | instskip(SKIP_2) | instid1(VALU_DEP_2)
	v_cmp_gt_i32_e32 vcc_lo, 32, v4
	v_cndmask_b32_e32 v4, v9, v4, vcc_lo
	v_cmp_eq_u32_e32 vcc_lo, 31, v8
	v_lshlrev_b32_e32 v5, 2, v4
	ds_bpermute_b32 v4, v5, v0
	ds_bpermute_b32 v5, v5, v1
	s_and_b32 exec_lo, exec_lo, vcc_lo
	s_cbranch_execz .LBB172_14
; %bb.11:
	s_wait_dscnt 0x0
	v_add_f64_e32 v[0:1], v[0:1], v[4:5]
	s_wait_kmcnt 0x0
	v_lshl_add_u64 v[4:5], v[6:7], 3, s[0:1]
	s_mov_b32 s0, exec_lo
	v_cmpx_neq_f64_e32 0, v[2:3]
	s_cbranch_execz .LBB172_13
; %bb.12:
	global_load_b64 v[6:7], v[4:5], off
	s_wait_loadcnt 0x0
	v_fmac_f64_e32 v[0:1], v[2:3], v[6:7]
.LBB172_13:
	s_or_b32 exec_lo, exec_lo, s0
	global_store_b64 v[4:5], v[0:1], off
.LBB172_14:
	s_endpgm
	.section	.rodata,"a",@progbits
	.p2align	6, 0x0
	.amdhsa_kernel _ZN9rocsparseL41csrmvn_lrb_medium_rows_warp_reduce_kernelILj256ELj32EiifdddEEvbT1_lPT2_S3_jNS_24const_host_device_scalarIT6_EEPKS1_PKS2_PKT3_PKT4_S6_PT5_21rocsparse_index_base_b
		.amdhsa_group_segment_fixed_size 0
		.amdhsa_private_segment_fixed_size 0
		.amdhsa_kernarg_size 104
		.amdhsa_user_sgpr_count 2
		.amdhsa_user_sgpr_dispatch_ptr 0
		.amdhsa_user_sgpr_queue_ptr 0
		.amdhsa_user_sgpr_kernarg_segment_ptr 1
		.amdhsa_user_sgpr_dispatch_id 0
		.amdhsa_user_sgpr_kernarg_preload_length 0
		.amdhsa_user_sgpr_kernarg_preload_offset 0
		.amdhsa_user_sgpr_private_segment_size 0
		.amdhsa_wavefront_size32 1
		.amdhsa_uses_dynamic_stack 0
		.amdhsa_enable_private_segment 0
		.amdhsa_system_sgpr_workgroup_id_x 1
		.amdhsa_system_sgpr_workgroup_id_y 0
		.amdhsa_system_sgpr_workgroup_id_z 0
		.amdhsa_system_sgpr_workgroup_info 0
		.amdhsa_system_vgpr_workitem_id 0
		.amdhsa_next_free_vgpr 16
		.amdhsa_next_free_sgpr 11
		.amdhsa_named_barrier_count 0
		.amdhsa_reserve_vcc 1
		.amdhsa_float_round_mode_32 0
		.amdhsa_float_round_mode_16_64 0
		.amdhsa_float_denorm_mode_32 3
		.amdhsa_float_denorm_mode_16_64 3
		.amdhsa_fp16_overflow 0
		.amdhsa_memory_ordered 1
		.amdhsa_forward_progress 1
		.amdhsa_inst_pref_size 7
		.amdhsa_round_robin_scheduling 0
		.amdhsa_exception_fp_ieee_invalid_op 0
		.amdhsa_exception_fp_denorm_src 0
		.amdhsa_exception_fp_ieee_div_zero 0
		.amdhsa_exception_fp_ieee_overflow 0
		.amdhsa_exception_fp_ieee_underflow 0
		.amdhsa_exception_fp_ieee_inexact 0
		.amdhsa_exception_int_div_zero 0
	.end_amdhsa_kernel
	.section	.text._ZN9rocsparseL41csrmvn_lrb_medium_rows_warp_reduce_kernelILj256ELj32EiifdddEEvbT1_lPT2_S3_jNS_24const_host_device_scalarIT6_EEPKS1_PKS2_PKT3_PKT4_S6_PT5_21rocsparse_index_base_b,"axG",@progbits,_ZN9rocsparseL41csrmvn_lrb_medium_rows_warp_reduce_kernelILj256ELj32EiifdddEEvbT1_lPT2_S3_jNS_24const_host_device_scalarIT6_EEPKS1_PKS2_PKT3_PKT4_S6_PT5_21rocsparse_index_base_b,comdat
.Lfunc_end172:
	.size	_ZN9rocsparseL41csrmvn_lrb_medium_rows_warp_reduce_kernelILj256ELj32EiifdddEEvbT1_lPT2_S3_jNS_24const_host_device_scalarIT6_EEPKS1_PKS2_PKT3_PKT4_S6_PT5_21rocsparse_index_base_b, .Lfunc_end172-_ZN9rocsparseL41csrmvn_lrb_medium_rows_warp_reduce_kernelILj256ELj32EiifdddEEvbT1_lPT2_S3_jNS_24const_host_device_scalarIT6_EEPKS1_PKS2_PKT3_PKT4_S6_PT5_21rocsparse_index_base_b
                                        ; -- End function
	.set _ZN9rocsparseL41csrmvn_lrb_medium_rows_warp_reduce_kernelILj256ELj32EiifdddEEvbT1_lPT2_S3_jNS_24const_host_device_scalarIT6_EEPKS1_PKS2_PKT3_PKT4_S6_PT5_21rocsparse_index_base_b.num_vgpr, 16
	.set _ZN9rocsparseL41csrmvn_lrb_medium_rows_warp_reduce_kernelILj256ELj32EiifdddEEvbT1_lPT2_S3_jNS_24const_host_device_scalarIT6_EEPKS1_PKS2_PKT3_PKT4_S6_PT5_21rocsparse_index_base_b.num_agpr, 0
	.set _ZN9rocsparseL41csrmvn_lrb_medium_rows_warp_reduce_kernelILj256ELj32EiifdddEEvbT1_lPT2_S3_jNS_24const_host_device_scalarIT6_EEPKS1_PKS2_PKT3_PKT4_S6_PT5_21rocsparse_index_base_b.numbered_sgpr, 11
	.set _ZN9rocsparseL41csrmvn_lrb_medium_rows_warp_reduce_kernelILj256ELj32EiifdddEEvbT1_lPT2_S3_jNS_24const_host_device_scalarIT6_EEPKS1_PKS2_PKT3_PKT4_S6_PT5_21rocsparse_index_base_b.num_named_barrier, 0
	.set _ZN9rocsparseL41csrmvn_lrb_medium_rows_warp_reduce_kernelILj256ELj32EiifdddEEvbT1_lPT2_S3_jNS_24const_host_device_scalarIT6_EEPKS1_PKS2_PKT3_PKT4_S6_PT5_21rocsparse_index_base_b.private_seg_size, 0
	.set _ZN9rocsparseL41csrmvn_lrb_medium_rows_warp_reduce_kernelILj256ELj32EiifdddEEvbT1_lPT2_S3_jNS_24const_host_device_scalarIT6_EEPKS1_PKS2_PKT3_PKT4_S6_PT5_21rocsparse_index_base_b.uses_vcc, 1
	.set _ZN9rocsparseL41csrmvn_lrb_medium_rows_warp_reduce_kernelILj256ELj32EiifdddEEvbT1_lPT2_S3_jNS_24const_host_device_scalarIT6_EEPKS1_PKS2_PKT3_PKT4_S6_PT5_21rocsparse_index_base_b.uses_flat_scratch, 0
	.set _ZN9rocsparseL41csrmvn_lrb_medium_rows_warp_reduce_kernelILj256ELj32EiifdddEEvbT1_lPT2_S3_jNS_24const_host_device_scalarIT6_EEPKS1_PKS2_PKT3_PKT4_S6_PT5_21rocsparse_index_base_b.has_dyn_sized_stack, 0
	.set _ZN9rocsparseL41csrmvn_lrb_medium_rows_warp_reduce_kernelILj256ELj32EiifdddEEvbT1_lPT2_S3_jNS_24const_host_device_scalarIT6_EEPKS1_PKS2_PKT3_PKT4_S6_PT5_21rocsparse_index_base_b.has_recursion, 0
	.set _ZN9rocsparseL41csrmvn_lrb_medium_rows_warp_reduce_kernelILj256ELj32EiifdddEEvbT1_lPT2_S3_jNS_24const_host_device_scalarIT6_EEPKS1_PKS2_PKT3_PKT4_S6_PT5_21rocsparse_index_base_b.has_indirect_call, 0
	.section	.AMDGPU.csdata,"",@progbits
; Kernel info:
; codeLenInByte = 824
; TotalNumSgprs: 13
; NumVgprs: 16
; ScratchSize: 0
; MemoryBound: 0
; FloatMode: 240
; IeeeMode: 1
; LDSByteSize: 0 bytes/workgroup (compile time only)
; SGPRBlocks: 0
; VGPRBlocks: 0
; NumSGPRsForWavesPerEU: 13
; NumVGPRsForWavesPerEU: 16
; NamedBarCnt: 0
; Occupancy: 16
; WaveLimiterHint : 1
; COMPUTE_PGM_RSRC2:SCRATCH_EN: 0
; COMPUTE_PGM_RSRC2:USER_SGPR: 2
; COMPUTE_PGM_RSRC2:TRAP_HANDLER: 0
; COMPUTE_PGM_RSRC2:TGID_X_EN: 1
; COMPUTE_PGM_RSRC2:TGID_Y_EN: 0
; COMPUTE_PGM_RSRC2:TGID_Z_EN: 0
; COMPUTE_PGM_RSRC2:TIDIG_COMP_CNT: 0
	.section	.text._ZN9rocsparseL41csrmvn_lrb_medium_rows_warp_reduce_kernelILj256ELj64EiifdddEEvbT1_lPT2_S3_jNS_24const_host_device_scalarIT6_EEPKS1_PKS2_PKT3_PKT4_S6_PT5_21rocsparse_index_base_b,"axG",@progbits,_ZN9rocsparseL41csrmvn_lrb_medium_rows_warp_reduce_kernelILj256ELj64EiifdddEEvbT1_lPT2_S3_jNS_24const_host_device_scalarIT6_EEPKS1_PKS2_PKT3_PKT4_S6_PT5_21rocsparse_index_base_b,comdat
	.globl	_ZN9rocsparseL41csrmvn_lrb_medium_rows_warp_reduce_kernelILj256ELj64EiifdddEEvbT1_lPT2_S3_jNS_24const_host_device_scalarIT6_EEPKS1_PKS2_PKT3_PKT4_S6_PT5_21rocsparse_index_base_b ; -- Begin function _ZN9rocsparseL41csrmvn_lrb_medium_rows_warp_reduce_kernelILj256ELj64EiifdddEEvbT1_lPT2_S3_jNS_24const_host_device_scalarIT6_EEPKS1_PKS2_PKT3_PKT4_S6_PT5_21rocsparse_index_base_b
	.p2align	8
	.type	_ZN9rocsparseL41csrmvn_lrb_medium_rows_warp_reduce_kernelILj256ELj64EiifdddEEvbT1_lPT2_S3_jNS_24const_host_device_scalarIT6_EEPKS1_PKS2_PKT3_PKT4_S6_PT5_21rocsparse_index_base_b,@function
_ZN9rocsparseL41csrmvn_lrb_medium_rows_warp_reduce_kernelILj256ELj64EiifdddEEvbT1_lPT2_S3_jNS_24const_host_device_scalarIT6_EEPKS1_PKS2_PKT3_PKT4_S6_PT5_21rocsparse_index_base_b: ; @_ZN9rocsparseL41csrmvn_lrb_medium_rows_warp_reduce_kernelILj256ELj64EiifdddEEvbT1_lPT2_S3_jNS_24const_host_device_scalarIT6_EEPKS1_PKS2_PKT3_PKT4_S6_PT5_21rocsparse_index_base_b
; %bb.0:
	s_clause 0x2
	s_load_b64 s[8:9], s[0:1], 0x60
	s_load_b64 s[4:5], s[0:1], 0x28
	;; [unrolled: 1-line block ×3, first 2 shown]
	s_wait_kmcnt 0x0
	s_bitcmp1_b32 s9, 0
	v_mov_b64_e32 v[6:7], s[4:5]
	s_cselect_b32 s6, -1, 0
	s_delay_alu instid0(SALU_CYCLE_1)
	s_and_b32 vcc_lo, exec_lo, s6
	s_xor_b32 s6, s6, -1
	s_cbranch_vccnz .LBB173_2
; %bb.1:
	v_mov_b32_e32 v1, 0
	flat_load_b64 v[6:7], v1, s[4:5]
.LBB173_2:
	v_mov_b64_e32 v[2:3], s[2:3]
	s_and_not1_b32 vcc_lo, exec_lo, s6
	s_cbranch_vccnz .LBB173_4
; %bb.3:
	s_wait_xcnt 0x0
	v_mov_b32_e32 v1, 0
	flat_load_b64 v[2:3], v1, s[2:3]
.LBB173_4:
	s_wait_loadcnt_dscnt 0x0
	v_cmp_neq_f64_e32 vcc_lo, 0, v[6:7]
	s_delay_alu instid0(VALU_DEP_2) | instskip(SKIP_1) | instid1(SALU_CYCLE_1)
	v_cmp_neq_f64_e64 s2, 1.0, v[2:3]
	s_or_b32 s2, vcc_lo, s2
	s_and_saveexec_b32 s3, s2
	s_cbranch_execz .LBB173_14
; %bb.5:
	s_bfe_u32 s4, ttmp6, 0x4000c
	s_load_b64 s[2:3], s[0:1], 0x8
	s_add_co_i32 s4, s4, 1
	s_and_b32 s5, ttmp6, 15
	s_mul_i32 s4, ttmp9, s4
	s_getreg_b32 s6, hwreg(HW_REG_IB_STS2, 6, 4)
	v_lshrrev_b32_e32 v1, 6, v0
	s_add_co_i32 s5, s5, s4
	s_cmp_eq_u32 s6, 0
	s_cselect_b32 s4, ttmp9, s5
	s_delay_alu instid0(VALU_DEP_1) | instid1(SALU_CYCLE_1)
	v_lshl_or_b32 v4, s4, 2, v1
	s_delay_alu instid0(VALU_DEP_1) | instskip(SKIP_1) | instid1(VALU_DEP_1)
	v_ashrrev_i32_e32 v5, 31, v4
	s_wait_kmcnt 0x0
	v_cmp_gt_i64_e32 vcc_lo, s[2:3], v[4:5]
	s_and_b32 exec_lo, exec_lo, vcc_lo
	s_cbranch_execz .LBB173_14
; %bb.6:
	s_clause 0x1
	s_load_b128 s[4:7], s[0:1], 0x10
	s_load_b32 s2, s[0:1], 0x20
	s_mov_b32 s9, exec_lo
	s_wait_kmcnt 0x0
	s_load_b32 s2, s[6:7], s2 offset:0x0 scale_offset
	s_wait_kmcnt 0x0
	v_add_nc_u32_e32 v1, s2, v4
	s_load_b64 s[2:3], s[0:1], 0x30
	global_load_b32 v4, v1, s[4:5] scale_offset
	s_wait_loadcnt 0x0
	v_ashrrev_i32_e32 v5, 31, v4
	s_wait_kmcnt 0x0
	s_delay_alu instid0(VALU_DEP_1) | instskip(SKIP_3) | instid1(VALU_DEP_1)
	v_lshl_add_u64 v[8:9], v[4:5], 2, s[2:3]
	global_load_b64 v[10:11], v[8:9], off
	s_wait_xcnt 0x0
	v_and_b32_e32 v8, 63, v0
	v_subrev_nc_u32_e32 v0, s8, v8
	s_wait_loadcnt 0x0
	s_delay_alu instid0(VALU_DEP_1) | instskip(SKIP_2) | instid1(VALU_DEP_1)
	v_add_nc_u32_e32 v10, v10, v0
	v_mov_b64_e32 v[0:1], 0
	v_subrev_nc_u32_e32 v9, s8, v11
	v_cmpx_lt_i32_e64 v10, v9
	s_cbranch_execz .LBB173_10
; %bb.7:
	s_clause 0x1
	s_load_b128 s[4:7], s[0:1], 0x38
	s_load_b64 s[2:3], s[0:1], 0x48
	v_mov_b64_e32 v[0:1], 0
	s_mov_b32 s10, 0
.LBB173_8:                              ; =>This Inner Loop Header: Depth=1
	s_wait_kmcnt 0x0
	s_clause 0x1
	global_load_b32 v11, v10, s[4:5] scale_offset
	global_load_b32 v14, v10, s[6:7] scale_offset
	s_wait_xcnt 0x0
	v_add_nc_u32_e32 v10, 64, v10
	s_delay_alu instid0(VALU_DEP_1)
	v_cmp_ge_i32_e32 vcc_lo, v10, v9
	s_or_b32 s10, vcc_lo, s10
	s_wait_loadcnt 0x1
	v_subrev_nc_u32_e32 v11, s8, v11
	s_wait_loadcnt 0x0
	v_cvt_f64_f32_e32 v[14:15], v14
	global_load_b64 v[12:13], v11, s[2:3] scale_offset
	v_mul_f64_e32 v[14:15], v[6:7], v[14:15]
	s_wait_loadcnt 0x0
	s_delay_alu instid0(VALU_DEP_1)
	v_fmac_f64_e32 v[0:1], v[14:15], v[12:13]
	s_and_not1_b32 exec_lo, exec_lo, s10
	s_cbranch_execnz .LBB173_8
; %bb.9:
	s_or_b32 exec_lo, exec_lo, s10
.LBB173_10:
	s_delay_alu instid0(SALU_CYCLE_1) | instskip(SKIP_2) | instid1(VALU_DEP_1)
	s_or_b32 exec_lo, exec_lo, s9
	v_mbcnt_lo_u32_b32 v9, -1, 0
	s_load_b64 s[0:1], s[0:1], 0x58
	v_or_b32_e32 v6, 32, v9
	s_delay_alu instid0(VALU_DEP_1) | instskip(SKIP_1) | instid1(VALU_DEP_1)
	v_cmp_gt_i32_e32 vcc_lo, 32, v6
	v_cndmask_b32_e32 v6, v9, v6, vcc_lo
	v_lshlrev_b32_e32 v7, 2, v6
	ds_bpermute_b32 v6, v7, v0
	ds_bpermute_b32 v7, v7, v1
	s_wait_dscnt 0x0
	v_dual_add_f64 v[0:1], v[0:1], v[6:7] :: v_dual_bitop2_b32 v6, 16, v9 bitop3:0x14
	s_delay_alu instid0(VALU_DEP_1) | instskip(SKIP_1) | instid1(VALU_DEP_1)
	v_cmp_gt_i32_e32 vcc_lo, 32, v6
	v_cndmask_b32_e32 v6, v9, v6, vcc_lo
	v_lshlrev_b32_e32 v7, 2, v6
	ds_bpermute_b32 v6, v7, v0
	ds_bpermute_b32 v7, v7, v1
	s_wait_dscnt 0x0
	v_dual_add_f64 v[0:1], v[0:1], v[6:7] :: v_dual_bitop2_b32 v6, 8, v9 bitop3:0x14
	;; [unrolled: 8-line block ×5, first 2 shown]
	s_delay_alu instid0(VALU_DEP_1) | instskip(SKIP_2) | instid1(VALU_DEP_2)
	v_cmp_gt_i32_e32 vcc_lo, 32, v6
	v_cndmask_b32_e32 v6, v9, v6, vcc_lo
	v_cmp_eq_u32_e32 vcc_lo, 63, v8
	v_lshlrev_b32_e32 v7, 2, v6
	ds_bpermute_b32 v6, v7, v0
	ds_bpermute_b32 v7, v7, v1
	s_and_b32 exec_lo, exec_lo, vcc_lo
	s_cbranch_execz .LBB173_14
; %bb.11:
	s_wait_dscnt 0x0
	v_add_f64_e32 v[0:1], v[0:1], v[6:7]
	s_wait_kmcnt 0x0
	v_lshl_add_u64 v[4:5], v[4:5], 3, s[0:1]
	s_mov_b32 s0, exec_lo
	v_cmpx_neq_f64_e32 0, v[2:3]
	s_cbranch_execz .LBB173_13
; %bb.12:
	global_load_b64 v[6:7], v[4:5], off
	s_wait_loadcnt 0x0
	v_fmac_f64_e32 v[0:1], v[2:3], v[6:7]
.LBB173_13:
	s_or_b32 exec_lo, exec_lo, s0
	global_store_b64 v[4:5], v[0:1], off
.LBB173_14:
	s_endpgm
	.section	.rodata,"a",@progbits
	.p2align	6, 0x0
	.amdhsa_kernel _ZN9rocsparseL41csrmvn_lrb_medium_rows_warp_reduce_kernelILj256ELj64EiifdddEEvbT1_lPT2_S3_jNS_24const_host_device_scalarIT6_EEPKS1_PKS2_PKT3_PKT4_S6_PT5_21rocsparse_index_base_b
		.amdhsa_group_segment_fixed_size 0
		.amdhsa_private_segment_fixed_size 0
		.amdhsa_kernarg_size 104
		.amdhsa_user_sgpr_count 2
		.amdhsa_user_sgpr_dispatch_ptr 0
		.amdhsa_user_sgpr_queue_ptr 0
		.amdhsa_user_sgpr_kernarg_segment_ptr 1
		.amdhsa_user_sgpr_dispatch_id 0
		.amdhsa_user_sgpr_kernarg_preload_length 0
		.amdhsa_user_sgpr_kernarg_preload_offset 0
		.amdhsa_user_sgpr_private_segment_size 0
		.amdhsa_wavefront_size32 1
		.amdhsa_uses_dynamic_stack 0
		.amdhsa_enable_private_segment 0
		.amdhsa_system_sgpr_workgroup_id_x 1
		.amdhsa_system_sgpr_workgroup_id_y 0
		.amdhsa_system_sgpr_workgroup_id_z 0
		.amdhsa_system_sgpr_workgroup_info 0
		.amdhsa_system_vgpr_workitem_id 0
		.amdhsa_next_free_vgpr 16
		.amdhsa_next_free_sgpr 11
		.amdhsa_named_barrier_count 0
		.amdhsa_reserve_vcc 1
		.amdhsa_float_round_mode_32 0
		.amdhsa_float_round_mode_16_64 0
		.amdhsa_float_denorm_mode_32 3
		.amdhsa_float_denorm_mode_16_64 3
		.amdhsa_fp16_overflow 0
		.amdhsa_memory_ordered 1
		.amdhsa_forward_progress 1
		.amdhsa_inst_pref_size 7
		.amdhsa_round_robin_scheduling 0
		.amdhsa_exception_fp_ieee_invalid_op 0
		.amdhsa_exception_fp_denorm_src 0
		.amdhsa_exception_fp_ieee_div_zero 0
		.amdhsa_exception_fp_ieee_overflow 0
		.amdhsa_exception_fp_ieee_underflow 0
		.amdhsa_exception_fp_ieee_inexact 0
		.amdhsa_exception_int_div_zero 0
	.end_amdhsa_kernel
	.section	.text._ZN9rocsparseL41csrmvn_lrb_medium_rows_warp_reduce_kernelILj256ELj64EiifdddEEvbT1_lPT2_S3_jNS_24const_host_device_scalarIT6_EEPKS1_PKS2_PKT3_PKT4_S6_PT5_21rocsparse_index_base_b,"axG",@progbits,_ZN9rocsparseL41csrmvn_lrb_medium_rows_warp_reduce_kernelILj256ELj64EiifdddEEvbT1_lPT2_S3_jNS_24const_host_device_scalarIT6_EEPKS1_PKS2_PKT3_PKT4_S6_PT5_21rocsparse_index_base_b,comdat
.Lfunc_end173:
	.size	_ZN9rocsparseL41csrmvn_lrb_medium_rows_warp_reduce_kernelILj256ELj64EiifdddEEvbT1_lPT2_S3_jNS_24const_host_device_scalarIT6_EEPKS1_PKS2_PKT3_PKT4_S6_PT5_21rocsparse_index_base_b, .Lfunc_end173-_ZN9rocsparseL41csrmvn_lrb_medium_rows_warp_reduce_kernelILj256ELj64EiifdddEEvbT1_lPT2_S3_jNS_24const_host_device_scalarIT6_EEPKS1_PKS2_PKT3_PKT4_S6_PT5_21rocsparse_index_base_b
                                        ; -- End function
	.set _ZN9rocsparseL41csrmvn_lrb_medium_rows_warp_reduce_kernelILj256ELj64EiifdddEEvbT1_lPT2_S3_jNS_24const_host_device_scalarIT6_EEPKS1_PKS2_PKT3_PKT4_S6_PT5_21rocsparse_index_base_b.num_vgpr, 16
	.set _ZN9rocsparseL41csrmvn_lrb_medium_rows_warp_reduce_kernelILj256ELj64EiifdddEEvbT1_lPT2_S3_jNS_24const_host_device_scalarIT6_EEPKS1_PKS2_PKT3_PKT4_S6_PT5_21rocsparse_index_base_b.num_agpr, 0
	.set _ZN9rocsparseL41csrmvn_lrb_medium_rows_warp_reduce_kernelILj256ELj64EiifdddEEvbT1_lPT2_S3_jNS_24const_host_device_scalarIT6_EEPKS1_PKS2_PKT3_PKT4_S6_PT5_21rocsparse_index_base_b.numbered_sgpr, 11
	.set _ZN9rocsparseL41csrmvn_lrb_medium_rows_warp_reduce_kernelILj256ELj64EiifdddEEvbT1_lPT2_S3_jNS_24const_host_device_scalarIT6_EEPKS1_PKS2_PKT3_PKT4_S6_PT5_21rocsparse_index_base_b.num_named_barrier, 0
	.set _ZN9rocsparseL41csrmvn_lrb_medium_rows_warp_reduce_kernelILj256ELj64EiifdddEEvbT1_lPT2_S3_jNS_24const_host_device_scalarIT6_EEPKS1_PKS2_PKT3_PKT4_S6_PT5_21rocsparse_index_base_b.private_seg_size, 0
	.set _ZN9rocsparseL41csrmvn_lrb_medium_rows_warp_reduce_kernelILj256ELj64EiifdddEEvbT1_lPT2_S3_jNS_24const_host_device_scalarIT6_EEPKS1_PKS2_PKT3_PKT4_S6_PT5_21rocsparse_index_base_b.uses_vcc, 1
	.set _ZN9rocsparseL41csrmvn_lrb_medium_rows_warp_reduce_kernelILj256ELj64EiifdddEEvbT1_lPT2_S3_jNS_24const_host_device_scalarIT6_EEPKS1_PKS2_PKT3_PKT4_S6_PT5_21rocsparse_index_base_b.uses_flat_scratch, 0
	.set _ZN9rocsparseL41csrmvn_lrb_medium_rows_warp_reduce_kernelILj256ELj64EiifdddEEvbT1_lPT2_S3_jNS_24const_host_device_scalarIT6_EEPKS1_PKS2_PKT3_PKT4_S6_PT5_21rocsparse_index_base_b.has_dyn_sized_stack, 0
	.set _ZN9rocsparseL41csrmvn_lrb_medium_rows_warp_reduce_kernelILj256ELj64EiifdddEEvbT1_lPT2_S3_jNS_24const_host_device_scalarIT6_EEPKS1_PKS2_PKT3_PKT4_S6_PT5_21rocsparse_index_base_b.has_recursion, 0
	.set _ZN9rocsparseL41csrmvn_lrb_medium_rows_warp_reduce_kernelILj256ELj64EiifdddEEvbT1_lPT2_S3_jNS_24const_host_device_scalarIT6_EEPKS1_PKS2_PKT3_PKT4_S6_PT5_21rocsparse_index_base_b.has_indirect_call, 0
	.section	.AMDGPU.csdata,"",@progbits
; Kernel info:
; codeLenInByte = 888
; TotalNumSgprs: 13
; NumVgprs: 16
; ScratchSize: 0
; MemoryBound: 0
; FloatMode: 240
; IeeeMode: 1
; LDSByteSize: 0 bytes/workgroup (compile time only)
; SGPRBlocks: 0
; VGPRBlocks: 0
; NumSGPRsForWavesPerEU: 13
; NumVGPRsForWavesPerEU: 16
; NamedBarCnt: 0
; Occupancy: 16
; WaveLimiterHint : 1
; COMPUTE_PGM_RSRC2:SCRATCH_EN: 0
; COMPUTE_PGM_RSRC2:USER_SGPR: 2
; COMPUTE_PGM_RSRC2:TRAP_HANDLER: 0
; COMPUTE_PGM_RSRC2:TGID_X_EN: 1
; COMPUTE_PGM_RSRC2:TGID_Y_EN: 0
; COMPUTE_PGM_RSRC2:TGID_Z_EN: 0
; COMPUTE_PGM_RSRC2:TIDIG_COMP_CNT: 0
	.section	.text._ZN9rocsparseL29csrmvn_lrb_medium_rows_kernelILj256EiifdddEEvbT0_PT1_S3_jNS_24const_host_device_scalarIT5_EEPKS1_PKS2_PKT2_PKT3_S6_PT4_21rocsparse_index_base_b,"axG",@progbits,_ZN9rocsparseL29csrmvn_lrb_medium_rows_kernelILj256EiifdddEEvbT0_PT1_S3_jNS_24const_host_device_scalarIT5_EEPKS1_PKS2_PKT2_PKT3_S6_PT4_21rocsparse_index_base_b,comdat
	.globl	_ZN9rocsparseL29csrmvn_lrb_medium_rows_kernelILj256EiifdddEEvbT0_PT1_S3_jNS_24const_host_device_scalarIT5_EEPKS1_PKS2_PKT2_PKT3_S6_PT4_21rocsparse_index_base_b ; -- Begin function _ZN9rocsparseL29csrmvn_lrb_medium_rows_kernelILj256EiifdddEEvbT0_PT1_S3_jNS_24const_host_device_scalarIT5_EEPKS1_PKS2_PKT2_PKT3_S6_PT4_21rocsparse_index_base_b
	.p2align	8
	.type	_ZN9rocsparseL29csrmvn_lrb_medium_rows_kernelILj256EiifdddEEvbT0_PT1_S3_jNS_24const_host_device_scalarIT5_EEPKS1_PKS2_PKT2_PKT3_S6_PT4_21rocsparse_index_base_b,@function
_ZN9rocsparseL29csrmvn_lrb_medium_rows_kernelILj256EiifdddEEvbT0_PT1_S3_jNS_24const_host_device_scalarIT5_EEPKS1_PKS2_PKT2_PKT3_S6_PT4_21rocsparse_index_base_b: ; @_ZN9rocsparseL29csrmvn_lrb_medium_rows_kernelILj256EiifdddEEvbT0_PT1_S3_jNS_24const_host_device_scalarIT5_EEPKS1_PKS2_PKT2_PKT3_S6_PT4_21rocsparse_index_base_b
; %bb.0:
	s_clause 0x2
	s_load_b64 s[8:9], s[0:1], 0x58
	s_load_b64 s[4:5], s[0:1], 0x20
	;; [unrolled: 1-line block ×3, first 2 shown]
	s_wait_kmcnt 0x0
	s_bitcmp1_b32 s9, 0
	v_mov_b64_e32 v[4:5], s[4:5]
	s_cselect_b32 s6, -1, 0
	s_delay_alu instid0(SALU_CYCLE_1)
	s_and_b32 vcc_lo, exec_lo, s6
	s_xor_b32 s6, s6, -1
	s_cbranch_vccnz .LBB174_2
; %bb.1:
	v_mov_b32_e32 v1, 0
	flat_load_b64 v[4:5], v1, s[4:5]
.LBB174_2:
	v_mov_b64_e32 v[2:3], s[2:3]
	s_and_not1_b32 vcc_lo, exec_lo, s6
	s_cbranch_vccnz .LBB174_4
; %bb.3:
	s_wait_xcnt 0x0
	v_mov_b32_e32 v1, 0
	flat_load_b64 v[2:3], v1, s[2:3]
.LBB174_4:
	s_wait_loadcnt_dscnt 0x0
	v_cmp_neq_f64_e32 vcc_lo, 0, v[4:5]
	s_delay_alu instid0(VALU_DEP_2) | instskip(SKIP_1) | instid1(SALU_CYCLE_1)
	v_cmp_neq_f64_e64 s2, 1.0, v[2:3]
	s_or_b32 s2, vcc_lo, s2
	s_and_saveexec_b32 s3, s2
	s_cbranch_execz .LBB174_29
; %bb.5:
	s_clause 0x1
	s_load_b128 s[4:7], s[0:1], 0x8
	s_load_b32 s2, s[0:1], 0x18
	s_bfe_u32 s3, ttmp6, 0x4000c
	v_subrev_nc_u32_e32 v1, s8, v0
	s_add_co_i32 s3, s3, 1
	v_mov_b64_e32 v[6:7], 0
	s_mul_i32 s3, ttmp9, s3
	s_mov_b32 s13, 0
	s_mov_b32 s12, exec_lo
	s_wait_kmcnt 0x0
	s_load_b32 s2, s[6:7], s2 offset:0x0 scale_offset
	s_wait_xcnt 0x0
	s_and_b32 s6, ttmp6, 15
	s_getreg_b32 s7, hwreg(HW_REG_IB_STS2, 6, 4)
	s_add_co_i32 s6, s6, s3
	s_cmp_eq_u32 s7, 0
	s_cselect_b32 s3, ttmp9, s6
	s_wait_kmcnt 0x0
	s_add_co_i32 s2, s2, s3
	s_delay_alu instid0(SALU_CYCLE_1) | instskip(NEXT) | instid1(SALU_CYCLE_1)
	s_ashr_i32 s3, s2, 31
	s_lshl_b64 s[2:3], s[2:3], 2
	s_delay_alu instid0(SALU_CYCLE_1) | instskip(SKIP_4) | instid1(SALU_CYCLE_1)
	s_add_nc_u64 s[4:5], s[4:5], s[2:3]
	s_load_b32 s2, s[4:5], 0x0
	s_load_b64 s[6:7], s[0:1], 0x28
	s_wait_kmcnt 0x0
	s_ashr_i32 s3, s2, 31
	s_lshl_b64 s[4:5], s[2:3], 2
	s_delay_alu instid0(SALU_CYCLE_1)
	s_add_nc_u64 s[4:5], s[6:7], s[4:5]
	s_load_b64 s[6:7], s[4:5], 0x0
	s_wait_kmcnt 0x0
	v_add_nc_u32_e32 v1, s6, v1
	s_sub_co_i32 s9, s7, s8
	s_delay_alu instid0(VALU_DEP_1) | instid1(SALU_CYCLE_1)
	v_cmpx_gt_i32_e64 s9, v1
	s_cbranch_execz .LBB174_9
; %bb.6:
	s_clause 0x1
	s_load_b128 s[4:7], s[0:1], 0x30
	s_load_b64 s[10:11], s[0:1], 0x40
	v_mov_b64_e32 v[6:7], 0
.LBB174_7:                              ; =>This Inner Loop Header: Depth=1
	s_wait_kmcnt 0x0
	s_clause 0x1
	global_load_b32 v8, v1, s[4:5] scale_offset
	global_load_b32 v10, v1, s[6:7] scale_offset
	s_wait_xcnt 0x0
	v_add_nc_u32_e32 v1, 0x100, v1
	s_delay_alu instid0(VALU_DEP_1)
	v_cmp_le_i32_e32 vcc_lo, s9, v1
	s_or_b32 s13, vcc_lo, s13
	s_wait_loadcnt 0x1
	v_subrev_nc_u32_e32 v8, s8, v8
	s_wait_loadcnt 0x0
	v_cvt_f64_f32_e32 v[10:11], v10
	global_load_b64 v[8:9], v8, s[10:11] scale_offset
	v_mul_f64_e32 v[10:11], v[4:5], v[10:11]
	s_wait_loadcnt 0x0
	s_delay_alu instid0(VALU_DEP_1)
	v_fmac_f64_e32 v[6:7], v[10:11], v[8:9]
	s_and_not1_b32 exec_lo, exec_lo, s13
	s_cbranch_execnz .LBB174_7
; %bb.8:
	s_or_b32 exec_lo, exec_lo, s13
.LBB174_9:
	s_delay_alu instid0(SALU_CYCLE_1)
	s_or_b32 exec_lo, exec_lo, s12
	s_load_b64 s[0:1], s[0:1], 0x50
	v_lshlrev_b32_e32 v1, 3, v0
	s_mov_b32 s4, exec_lo
	ds_store_b64 v1, v[6:7]
	s_wait_dscnt 0x0
	s_barrier_signal -1
	s_barrier_wait -1
	v_cmpx_gt_u32_e32 0x80, v0
	s_cbranch_execz .LBB174_11
; %bb.10:
	ds_load_2addr_stride64_b64 v[4:7], v1 offset1:2
	s_wait_dscnt 0x0
	v_add_f64_e32 v[4:5], v[4:5], v[6:7]
	ds_store_b64 v1, v[4:5]
.LBB174_11:
	s_or_b32 exec_lo, exec_lo, s4
	s_delay_alu instid0(SALU_CYCLE_1)
	s_mov_b32 s4, exec_lo
	s_wait_dscnt 0x0
	s_barrier_signal -1
	s_barrier_wait -1
	v_cmpx_gt_u32_e32 64, v0
	s_cbranch_execz .LBB174_13
; %bb.12:
	ds_load_2addr_stride64_b64 v[4:7], v1 offset1:1
	s_wait_dscnt 0x0
	v_add_f64_e32 v[4:5], v[4:5], v[6:7]
	ds_store_b64 v1, v[4:5]
.LBB174_13:
	s_or_b32 exec_lo, exec_lo, s4
	s_delay_alu instid0(SALU_CYCLE_1)
	s_mov_b32 s4, exec_lo
	s_wait_dscnt 0x0
	s_barrier_signal -1
	s_barrier_wait -1
	v_cmpx_gt_u32_e32 32, v0
	s_cbranch_execz .LBB174_15
; %bb.14:
	ds_load_2addr_b64 v[4:7], v1 offset1:32
	s_wait_dscnt 0x0
	v_add_f64_e32 v[4:5], v[4:5], v[6:7]
	ds_store_b64 v1, v[4:5]
.LBB174_15:
	s_or_b32 exec_lo, exec_lo, s4
	s_delay_alu instid0(SALU_CYCLE_1)
	s_mov_b32 s4, exec_lo
	s_wait_dscnt 0x0
	s_barrier_signal -1
	s_barrier_wait -1
	v_cmpx_gt_u32_e32 16, v0
	s_cbranch_execz .LBB174_17
; %bb.16:
	ds_load_2addr_b64 v[4:7], v1 offset1:16
	s_wait_dscnt 0x0
	v_add_f64_e32 v[4:5], v[4:5], v[6:7]
	ds_store_b64 v1, v[4:5]
.LBB174_17:
	;; [unrolled: 14-line block ×5, first 2 shown]
	s_or_b32 exec_lo, exec_lo, s4
	v_cmp_eq_u32_e32 vcc_lo, 0, v0
	s_wait_dscnt 0x0
	s_barrier_signal -1
	s_barrier_wait -1
	s_and_saveexec_b32 s4, vcc_lo
	s_cbranch_execz .LBB174_25
; %bb.24:
	v_mov_b32_e32 v8, 0
	ds_load_b128 v[4:7], v8
	s_wait_dscnt 0x0
	v_add_f64_e32 v[0:1], v[4:5], v[6:7]
	ds_store_b64 v8, v[0:1]
.LBB174_25:
	s_or_b32 exec_lo, exec_lo, s4
	s_wait_dscnt 0x0
	s_barrier_signal -1
	s_barrier_wait -1
	s_and_b32 exec_lo, exec_lo, vcc_lo
	s_cbranch_execz .LBB174_29
; %bb.26:
	v_mov_b32_e32 v4, 0
	s_mov_b32 s4, exec_lo
	ds_load_b64 v[0:1], v4
	v_cmpx_neq_f64_e32 0, v[2:3]
	s_cbranch_execz .LBB174_28
; %bb.27:
	s_lshl_b64 s[6:7], s[2:3], 3
	s_wait_kmcnt 0x0
	s_add_nc_u64 s[6:7], s[0:1], s[6:7]
	s_load_b64 s[6:7], s[6:7], 0x0
	s_wait_dscnt 0x0
	s_wait_kmcnt 0x0
	v_fmac_f64_e32 v[0:1], s[6:7], v[2:3]
.LBB174_28:
	s_or_b32 exec_lo, exec_lo, s4
	s_lshl_b64 s[2:3], s[2:3], 3
	s_wait_kmcnt 0x0
	s_add_nc_u64 s[0:1], s[0:1], s[2:3]
	s_wait_dscnt 0x0
	global_store_b64 v4, v[0:1], s[0:1]
.LBB174_29:
	s_endpgm
	.section	.rodata,"a",@progbits
	.p2align	6, 0x0
	.amdhsa_kernel _ZN9rocsparseL29csrmvn_lrb_medium_rows_kernelILj256EiifdddEEvbT0_PT1_S3_jNS_24const_host_device_scalarIT5_EEPKS1_PKS2_PKT2_PKT3_S6_PT4_21rocsparse_index_base_b
		.amdhsa_group_segment_fixed_size 2048
		.amdhsa_private_segment_fixed_size 0
		.amdhsa_kernarg_size 96
		.amdhsa_user_sgpr_count 2
		.amdhsa_user_sgpr_dispatch_ptr 0
		.amdhsa_user_sgpr_queue_ptr 0
		.amdhsa_user_sgpr_kernarg_segment_ptr 1
		.amdhsa_user_sgpr_dispatch_id 0
		.amdhsa_user_sgpr_kernarg_preload_length 0
		.amdhsa_user_sgpr_kernarg_preload_offset 0
		.amdhsa_user_sgpr_private_segment_size 0
		.amdhsa_wavefront_size32 1
		.amdhsa_uses_dynamic_stack 0
		.amdhsa_enable_private_segment 0
		.amdhsa_system_sgpr_workgroup_id_x 1
		.amdhsa_system_sgpr_workgroup_id_y 0
		.amdhsa_system_sgpr_workgroup_id_z 0
		.amdhsa_system_sgpr_workgroup_info 0
		.amdhsa_system_vgpr_workitem_id 0
		.amdhsa_next_free_vgpr 12
		.amdhsa_next_free_sgpr 14
		.amdhsa_named_barrier_count 0
		.amdhsa_reserve_vcc 1
		.amdhsa_float_round_mode_32 0
		.amdhsa_float_round_mode_16_64 0
		.amdhsa_float_denorm_mode_32 3
		.amdhsa_float_denorm_mode_16_64 3
		.amdhsa_fp16_overflow 0
		.amdhsa_memory_ordered 1
		.amdhsa_forward_progress 1
		.amdhsa_inst_pref_size 9
		.amdhsa_round_robin_scheduling 0
		.amdhsa_exception_fp_ieee_invalid_op 0
		.amdhsa_exception_fp_denorm_src 0
		.amdhsa_exception_fp_ieee_div_zero 0
		.amdhsa_exception_fp_ieee_overflow 0
		.amdhsa_exception_fp_ieee_underflow 0
		.amdhsa_exception_fp_ieee_inexact 0
		.amdhsa_exception_int_div_zero 0
	.end_amdhsa_kernel
	.section	.text._ZN9rocsparseL29csrmvn_lrb_medium_rows_kernelILj256EiifdddEEvbT0_PT1_S3_jNS_24const_host_device_scalarIT5_EEPKS1_PKS2_PKT2_PKT3_S6_PT4_21rocsparse_index_base_b,"axG",@progbits,_ZN9rocsparseL29csrmvn_lrb_medium_rows_kernelILj256EiifdddEEvbT0_PT1_S3_jNS_24const_host_device_scalarIT5_EEPKS1_PKS2_PKT2_PKT3_S6_PT4_21rocsparse_index_base_b,comdat
.Lfunc_end174:
	.size	_ZN9rocsparseL29csrmvn_lrb_medium_rows_kernelILj256EiifdddEEvbT0_PT1_S3_jNS_24const_host_device_scalarIT5_EEPKS1_PKS2_PKT2_PKT3_S6_PT4_21rocsparse_index_base_b, .Lfunc_end174-_ZN9rocsparseL29csrmvn_lrb_medium_rows_kernelILj256EiifdddEEvbT0_PT1_S3_jNS_24const_host_device_scalarIT5_EEPKS1_PKS2_PKT2_PKT3_S6_PT4_21rocsparse_index_base_b
                                        ; -- End function
	.set _ZN9rocsparseL29csrmvn_lrb_medium_rows_kernelILj256EiifdddEEvbT0_PT1_S3_jNS_24const_host_device_scalarIT5_EEPKS1_PKS2_PKT2_PKT3_S6_PT4_21rocsparse_index_base_b.num_vgpr, 12
	.set _ZN9rocsparseL29csrmvn_lrb_medium_rows_kernelILj256EiifdddEEvbT0_PT1_S3_jNS_24const_host_device_scalarIT5_EEPKS1_PKS2_PKT2_PKT3_S6_PT4_21rocsparse_index_base_b.num_agpr, 0
	.set _ZN9rocsparseL29csrmvn_lrb_medium_rows_kernelILj256EiifdddEEvbT0_PT1_S3_jNS_24const_host_device_scalarIT5_EEPKS1_PKS2_PKT2_PKT3_S6_PT4_21rocsparse_index_base_b.numbered_sgpr, 14
	.set _ZN9rocsparseL29csrmvn_lrb_medium_rows_kernelILj256EiifdddEEvbT0_PT1_S3_jNS_24const_host_device_scalarIT5_EEPKS1_PKS2_PKT2_PKT3_S6_PT4_21rocsparse_index_base_b.num_named_barrier, 0
	.set _ZN9rocsparseL29csrmvn_lrb_medium_rows_kernelILj256EiifdddEEvbT0_PT1_S3_jNS_24const_host_device_scalarIT5_EEPKS1_PKS2_PKT2_PKT3_S6_PT4_21rocsparse_index_base_b.private_seg_size, 0
	.set _ZN9rocsparseL29csrmvn_lrb_medium_rows_kernelILj256EiifdddEEvbT0_PT1_S3_jNS_24const_host_device_scalarIT5_EEPKS1_PKS2_PKT2_PKT3_S6_PT4_21rocsparse_index_base_b.uses_vcc, 1
	.set _ZN9rocsparseL29csrmvn_lrb_medium_rows_kernelILj256EiifdddEEvbT0_PT1_S3_jNS_24const_host_device_scalarIT5_EEPKS1_PKS2_PKT2_PKT3_S6_PT4_21rocsparse_index_base_b.uses_flat_scratch, 0
	.set _ZN9rocsparseL29csrmvn_lrb_medium_rows_kernelILj256EiifdddEEvbT0_PT1_S3_jNS_24const_host_device_scalarIT5_EEPKS1_PKS2_PKT2_PKT3_S6_PT4_21rocsparse_index_base_b.has_dyn_sized_stack, 0
	.set _ZN9rocsparseL29csrmvn_lrb_medium_rows_kernelILj256EiifdddEEvbT0_PT1_S3_jNS_24const_host_device_scalarIT5_EEPKS1_PKS2_PKT2_PKT3_S6_PT4_21rocsparse_index_base_b.has_recursion, 0
	.set _ZN9rocsparseL29csrmvn_lrb_medium_rows_kernelILj256EiifdddEEvbT0_PT1_S3_jNS_24const_host_device_scalarIT5_EEPKS1_PKS2_PKT2_PKT3_S6_PT4_21rocsparse_index_base_b.has_indirect_call, 0
	.section	.AMDGPU.csdata,"",@progbits
; Kernel info:
; codeLenInByte = 1052
; TotalNumSgprs: 16
; NumVgprs: 12
; ScratchSize: 0
; MemoryBound: 0
; FloatMode: 240
; IeeeMode: 1
; LDSByteSize: 2048 bytes/workgroup (compile time only)
; SGPRBlocks: 0
; VGPRBlocks: 0
; NumSGPRsForWavesPerEU: 16
; NumVGPRsForWavesPerEU: 12
; NamedBarCnt: 0
; Occupancy: 16
; WaveLimiterHint : 1
; COMPUTE_PGM_RSRC2:SCRATCH_EN: 0
; COMPUTE_PGM_RSRC2:USER_SGPR: 2
; COMPUTE_PGM_RSRC2:TRAP_HANDLER: 0
; COMPUTE_PGM_RSRC2:TGID_X_EN: 1
; COMPUTE_PGM_RSRC2:TGID_Y_EN: 0
; COMPUTE_PGM_RSRC2:TGID_Z_EN: 0
; COMPUTE_PGM_RSRC2:TIDIG_COMP_CNT: 0
	.section	.text._ZN9rocsparseL27csrmvn_lrb_long_rows_kernelIiifdddEEvbT_PjPT0_S4_jNS_24const_host_device_scalarIT4_EEPKS1_PKS3_PKT1_PKT2_S7_PT3_21rocsparse_index_base_b,"axG",@progbits,_ZN9rocsparseL27csrmvn_lrb_long_rows_kernelIiifdddEEvbT_PjPT0_S4_jNS_24const_host_device_scalarIT4_EEPKS1_PKS3_PKT1_PKT2_S7_PT3_21rocsparse_index_base_b,comdat
	.globl	_ZN9rocsparseL27csrmvn_lrb_long_rows_kernelIiifdddEEvbT_PjPT0_S4_jNS_24const_host_device_scalarIT4_EEPKS1_PKS3_PKT1_PKT2_S7_PT3_21rocsparse_index_base_b ; -- Begin function _ZN9rocsparseL27csrmvn_lrb_long_rows_kernelIiifdddEEvbT_PjPT0_S4_jNS_24const_host_device_scalarIT4_EEPKS1_PKS3_PKT1_PKT2_S7_PT3_21rocsparse_index_base_b
	.p2align	8
	.type	_ZN9rocsparseL27csrmvn_lrb_long_rows_kernelIiifdddEEvbT_PjPT0_S4_jNS_24const_host_device_scalarIT4_EEPKS1_PKS3_PKT1_PKT2_S7_PT3_21rocsparse_index_base_b,@function
_ZN9rocsparseL27csrmvn_lrb_long_rows_kernelIiifdddEEvbT_PjPT0_S4_jNS_24const_host_device_scalarIT4_EEPKS1_PKS3_PKT1_PKT2_S7_PT3_21rocsparse_index_base_b: ; @_ZN9rocsparseL27csrmvn_lrb_long_rows_kernelIiifdddEEvbT_PjPT0_S4_jNS_24const_host_device_scalarIT4_EEPKS1_PKS3_PKT1_PKT2_S7_PT3_21rocsparse_index_base_b
; %bb.0:
	s_clause 0x2
	s_load_b64 s[16:17], s[0:1], 0x60
	s_load_b64 s[4:5], s[0:1], 0x28
	;; [unrolled: 1-line block ×3, first 2 shown]
	s_wait_kmcnt 0x0
	s_bitcmp1_b32 s17, 0
	v_mov_b64_e32 v[2:3], s[4:5]
	s_cselect_b32 s6, -1, 0
	s_delay_alu instid0(SALU_CYCLE_1)
	s_and_b32 vcc_lo, exec_lo, s6
	s_xor_b32 s6, s6, -1
	s_cbranch_vccnz .LBB175_2
; %bb.1:
	v_mov_b32_e32 v1, 0
	flat_load_b64 v[2:3], v1, s[4:5]
.LBB175_2:
	v_mov_b64_e32 v[4:5], s[2:3]
	s_and_not1_b32 vcc_lo, exec_lo, s6
	s_cbranch_vccnz .LBB175_4
; %bb.3:
	s_wait_xcnt 0x0
	v_mov_b32_e32 v1, 0
	flat_load_b64 v[4:5], v1, s[2:3]
.LBB175_4:
	s_wait_loadcnt_dscnt 0x0
	v_cmp_neq_f64_e32 vcc_lo, 0, v[2:3]
	s_delay_alu instid0(VALU_DEP_2) | instskip(SKIP_1) | instid1(SALU_CYCLE_1)
	v_cmp_neq_f64_e64 s2, 1.0, v[4:5]
	s_or_b32 s2, vcc_lo, s2
	s_and_saveexec_b32 s3, s2
	s_cbranch_execz .LBB175_38
; %bb.5:
	s_load_b96 s[4:6], s[0:1], 0x18
	s_bfe_u32 s8, ttmp6, 0x4000c
	s_and_b32 s7, ttmp6, 15
	s_add_co_i32 s8, s8, 1
	s_getreg_b32 s9, hwreg(HW_REG_IB_STS2, 6, 4)
	s_mul_i32 s8, ttmp9, s8
	v_mov_b64_e32 v[6:7], 0
	s_add_co_i32 s7, s7, s8
	s_wait_kmcnt 0x0
	s_lshl_b32 s2, -1, s6
	s_load_b32 s8, s[4:5], s6 offset:0x0 scale_offset
	s_not_b32 s2, s2
	s_delay_alu instid0(SALU_CYCLE_1) | instskip(NEXT) | instid1(SALU_CYCLE_1)
	s_mul_hi_u32 s2, s2, 0x2aaaaaab
	s_lshr_b32 s2, s2, 7
	s_delay_alu instid0(SALU_CYCLE_1) | instskip(SKIP_2) | instid1(SALU_CYCLE_3)
	s_add_co_i32 s20, s2, 1
	s_not_b32 s2, s2
	s_cvt_f32_u32 s3, s20
	v_rcp_iflag_f32_e32 v1, s3
	v_nop
	s_delay_alu instid0(TRANS32_DEP_1) | instskip(SKIP_1) | instid1(SALU_CYCLE_3)
	v_readfirstlane_b32 s3, v1
	s_mul_f32 s3, s3, 0x4f7ffffe
	s_cvt_u32_f32 s3, s3
	s_delay_alu instid0(SALU_CYCLE_3) | instskip(NEXT) | instid1(SALU_CYCLE_1)
	s_mul_i32 s2, s2, s3
	s_mul_hi_u32 s2, s3, s2
	s_delay_alu instid0(SALU_CYCLE_1)
	s_add_co_i32 s3, s3, s2
	s_cmp_eq_u32 s9, 0
	s_cselect_b32 s10, ttmp9, s7
	s_wait_xcnt 0x0
	s_load_b128 s[4:7], s[0:1], 0x8
	s_mul_hi_u32 s2, s10, s3
	s_delay_alu instid0(SALU_CYCLE_1) | instskip(SKIP_2) | instid1(SALU_CYCLE_1)
	s_mul_i32 s3, s2, s20
	s_add_co_i32 s9, s2, 1
	s_sub_co_i32 s3, s10, s3
	s_sub_co_i32 s11, s3, s20
	s_cmp_ge_u32 s3, s20
	s_cselect_b32 s2, s9, s2
	s_cselect_b32 s3, s11, s3
	s_add_co_i32 s9, s2, 1
	s_cmp_ge_u32 s3, s20
	s_cselect_b32 s21, s9, s2
	s_ashr_i32 s11, s10, 31
	s_wait_kmcnt 0x0
	s_add_co_i32 s2, s21, s8
	s_lshl_b64 s[14:15], s[10:11], 2
	s_ashr_i32 s3, s2, 31
	s_delay_alu instid0(SALU_CYCLE_1) | instskip(NEXT) | instid1(SALU_CYCLE_1)
	s_lshl_b64 s[2:3], s[2:3], 2
	s_add_nc_u64 s[8:9], s[6:7], s[2:3]
	s_load_b32 s2, s[8:9], 0x0
	s_clause 0x1
	s_load_b64 s[12:13], s[0:1], 0x30
	s_load_b64 s[6:7], s[0:1], 0x58
	s_wait_kmcnt 0x0
	s_ashr_i32 s3, s2, 31
	s_delay_alu instid0(SALU_CYCLE_1) | instskip(NEXT) | instid1(SALU_CYCLE_1)
	s_lshl_b64 s[8:9], s[2:3], 2
	s_add_nc_u64 s[18:19], s[12:13], s[8:9]
	s_add_nc_u64 s[12:13], s[4:5], s[14:15]
	s_load_b64 s[8:9], s[18:19], 0x0
	s_load_b32 s17, s[12:13], 0x0
	s_mul_i32 s14, s21, s20
	s_wait_xcnt 0x0
	s_mov_b32 s18, exec_lo
	s_sub_co_i32 s15, s10, s14
	s_delay_alu instid0(SALU_CYCLE_1) | instskip(NEXT) | instid1(VALU_DEP_1)
	v_or_b32_e32 v1, s15, v0
	v_cmpx_eq_u32_e32 0, v1
	s_cbranch_execz .LBB175_9
; %bb.6:
	v_add_f64_e32 v[4:5], -1.0, v[4:5]
	s_lshl_b64 s[10:11], s[2:3], 3
	s_mov_b32 s19, exec_lo
	s_add_nc_u64 s[10:11], s[6:7], s[10:11]
	v_mbcnt_lo_u32_b32 v1, s19, 0
	s_load_b64 s[10:11], s[10:11], 0x0
	s_mov_b32 s20, exec_lo
	global_wb scope:SCOPE_DEV
	s_wait_storecnt 0x0
	global_inv scope:SCOPE_DEV
	v_cmpx_eq_u32_e32 0, v1
	s_cbranch_execz .LBB175_8
; %bb.7:
	s_bcnt1_i32_b32 s19, s19
	s_delay_alu instid0(SALU_CYCLE_1) | instskip(NEXT) | instid1(SALU_CYCLE_1)
	s_and_b32 s19, s19, 1
	v_dual_mov_b32 v1, s14 :: v_dual_mov_b32 v6, s19
	s_wait_xcnt 0x0
	global_atomic_xor_b32 v1, v6, s[4:5] scale_offset scope:SCOPE_DEV
.LBB175_8:
	s_wait_xcnt 0x0
	s_or_b32 exec_lo, exec_lo, s20
	s_wait_kmcnt 0x0
	v_mul_f64_e32 v[6:7], s[10:11], v[4:5]
.LBB175_9:
	s_or_b32 exec_lo, exec_lo, s18
	s_mul_i32 s10, s15, 0x300
	s_wait_kmcnt 0x0
	s_sub_co_i32 s9, s9, s16
	s_sub_co_i32 s10, s10, s16
	s_mov_b32 s20, exec_lo
	s_add_co_i32 s8, s10, s8
	s_delay_alu instid0(SALU_CYCLE_1) | instskip(SKIP_1) | instid1(SALU_CYCLE_1)
	v_add_nc_u32_e32 v1, s8, v0
	s_addk_co_i32 s8, 0x300
	s_min_i32 s21, s8, s9
	s_delay_alu instid0(VALU_DEP_1) | instid1(SALU_CYCLE_1)
	v_cmpx_gt_i32_e64 s21, v1
	s_cbranch_execz .LBB175_13
; %bb.10:
	s_clause 0x1
	s_load_b64 s[18:19], s[0:1], 0x48
	s_load_b128 s[8:11], s[0:1], 0x38
	s_wait_xcnt 0x0
	s_mov_b32 s0, 0
.LBB175_11:                             ; =>This Inner Loop Header: Depth=1
	s_wait_kmcnt 0x0
	s_clause 0x1
	global_load_b32 v4, v1, s[8:9] scale_offset
	global_load_b32 v8, v1, s[10:11] scale_offset
	s_wait_xcnt 0x0
	v_add_nc_u32_e32 v1, 0x100, v1
	s_delay_alu instid0(VALU_DEP_1)
	v_cmp_le_i32_e32 vcc_lo, s21, v1
	s_or_b32 s0, vcc_lo, s0
	s_wait_loadcnt 0x1
	v_subrev_nc_u32_e32 v4, s16, v4
	s_wait_loadcnt 0x0
	v_cvt_f64_f32_e32 v[8:9], v8
	global_load_b64 v[4:5], v4, s[18:19] scale_offset
	v_mul_f64_e32 v[8:9], v[2:3], v[8:9]
	s_wait_loadcnt 0x0
	s_delay_alu instid0(VALU_DEP_1)
	v_fmac_f64_e32 v[6:7], v[8:9], v[4:5]
	s_wait_xcnt 0x0
	s_and_not1_b32 exec_lo, exec_lo, s0
	s_cbranch_execnz .LBB175_11
; %bb.12:
	s_or_b32 exec_lo, exec_lo, s0
.LBB175_13:
	s_delay_alu instid0(SALU_CYCLE_1)
	s_or_b32 exec_lo, exec_lo, s20
	v_lshlrev_b32_e32 v1, 3, v0
	s_mov_b32 s0, exec_lo
	ds_store_b64 v1, v[6:7]
	s_wait_storecnt 0x0
	s_wait_loadcnt_dscnt 0x0
	s_barrier_signal -1
	s_barrier_wait -1
	v_cmpx_gt_u32_e32 0x80, v0
	s_cbranch_execz .LBB175_15
; %bb.14:
	ds_load_2addr_stride64_b64 v[2:5], v1 offset1:2
	s_wait_dscnt 0x0
	v_add_f64_e32 v[2:3], v[2:3], v[4:5]
	ds_store_b64 v1, v[2:3]
.LBB175_15:
	s_or_b32 exec_lo, exec_lo, s0
	s_delay_alu instid0(SALU_CYCLE_1)
	s_mov_b32 s0, exec_lo
	s_wait_dscnt 0x0
	s_barrier_signal -1
	s_barrier_wait -1
	v_cmpx_gt_u32_e32 64, v0
	s_cbranch_execz .LBB175_17
; %bb.16:
	ds_load_2addr_stride64_b64 v[2:5], v1 offset1:1
	s_wait_dscnt 0x0
	v_add_f64_e32 v[2:3], v[2:3], v[4:5]
	ds_store_b64 v1, v[2:3]
.LBB175_17:
	s_or_b32 exec_lo, exec_lo, s0
	s_delay_alu instid0(SALU_CYCLE_1)
	s_mov_b32 s0, exec_lo
	s_wait_dscnt 0x0
	s_barrier_signal -1
	s_barrier_wait -1
	v_cmpx_gt_u32_e32 32, v0
	s_cbranch_execz .LBB175_19
; %bb.18:
	ds_load_2addr_b64 v[2:5], v1 offset1:32
	s_wait_dscnt 0x0
	v_add_f64_e32 v[2:3], v[2:3], v[4:5]
	ds_store_b64 v1, v[2:3]
.LBB175_19:
	s_or_b32 exec_lo, exec_lo, s0
	s_delay_alu instid0(SALU_CYCLE_1)
	s_mov_b32 s0, exec_lo
	s_wait_dscnt 0x0
	s_barrier_signal -1
	s_barrier_wait -1
	v_cmpx_gt_u32_e32 16, v0
	s_cbranch_execz .LBB175_21
; %bb.20:
	ds_load_2addr_b64 v[2:5], v1 offset1:16
	s_wait_dscnt 0x0
	v_add_f64_e32 v[2:3], v[2:3], v[4:5]
	ds_store_b64 v1, v[2:3]
.LBB175_21:
	;; [unrolled: 14-line block ×5, first 2 shown]
	s_or_b32 exec_lo, exec_lo, s0
	v_cmp_eq_u32_e32 vcc_lo, 0, v0
	s_wait_dscnt 0x0
	s_barrier_signal -1
	s_barrier_wait -1
	s_and_saveexec_b32 s0, vcc_lo
	s_cbranch_execz .LBB175_29
; %bb.28:
	v_mov_b32_e32 v4, 0
	ds_load_b128 v[0:3], v4
	s_wait_dscnt 0x0
	v_add_f64_e32 v[0:1], v[0:1], v[2:3]
	ds_store_b64 v4, v[0:1]
.LBB175_29:
	s_or_b32 exec_lo, exec_lo, s0
	s_wait_dscnt 0x0
	s_barrier_signal -1
	s_barrier_wait -1
	s_and_b32 exec_lo, exec_lo, vcc_lo
	s_cbranch_execz .LBB175_38
; %bb.30:
	s_cmp_eq_u32 s15, 0
	s_cbranch_scc1 .LBB175_36
; %bb.31:
	s_ashr_i32 s15, s14, 31
	v_mov_b32_e32 v0, 0
	s_lshl_b64 s[0:1], s[14:15], 2
	s_delay_alu instid0(SALU_CYCLE_1)
	s_add_nc_u64 s[0:1], s[4:5], s[0:1]
	s_branch .LBB175_33
.LBB175_32:                             ;   in Loop: Header=BB175_33 Depth=1
	s_wait_xcnt 0x0
	s_or_b32 exec_lo, exec_lo, s4
	s_wait_loadcnt 0x0
	v_readfirstlane_b32 s4, v1
	s_cmp_eq_u32 s4, s17
	s_cbranch_scc0 .LBB175_35
.LBB175_33:                             ; =>This Inner Loop Header: Depth=1
	v_mbcnt_lo_u32_b32 v1, exec_lo, 0
	s_delay_alu instid0(VALU_DEP_1)
	v_cmp_eq_u32_e32 vcc_lo, 0, v1
                                        ; implicit-def: $vgpr1
	s_and_saveexec_b32 s4, vcc_lo
	s_cbranch_execz .LBB175_32
; %bb.34:                               ;   in Loop: Header=BB175_33 Depth=1
	global_load_b32 v1, v0, s[0:1] scope:SCOPE_DEV
	s_branch .LBB175_32
.LBB175_35:
	v_mov_b32_e32 v0, 0
	global_load_u16 v1, v0, s[12:13]
	s_wait_loadcnt 0x0
	v_xor_b32_e32 v1, 1, v1
	global_store_b16 v0, v1, s[12:13]
.LBB175_36:
	s_mov_b32 s0, exec_lo
	s_wait_xcnt 0x0
	v_mbcnt_lo_u32_b32 v0, s0, 0
	s_delay_alu instid0(VALU_DEP_1) | instskip(SKIP_1) | instid1(SALU_CYCLE_1)
	v_cmp_eq_u32_e32 vcc_lo, 0, v0
	s_and_b32 s1, exec_lo, vcc_lo
	s_mov_b32 exec_lo, s1
	s_cbranch_execz .LBB175_38
; %bb.37:
	s_bcnt1_i32_b32 s0, s0
	s_delay_alu instid0(SALU_CYCLE_1) | instskip(SKIP_2) | instid1(SALU_CYCLE_1)
	v_cvt_f64_u32_e32 v[0:1], s0
	v_mov_b32_e32 v4, 0
	s_lshl_b64 s[0:1], s[2:3], 3
	s_add_nc_u64 s[0:1], s[6:7], s[0:1]
	ds_load_b64 v[2:3], v4
	s_wait_dscnt 0x0
	v_mul_f64_e32 v[0:1], v[2:3], v[0:1]
	global_atomic_add_f64 v4, v[0:1], s[0:1] scope:SCOPE_DEV
.LBB175_38:
	s_endpgm
	.section	.rodata,"a",@progbits
	.p2align	6, 0x0
	.amdhsa_kernel _ZN9rocsparseL27csrmvn_lrb_long_rows_kernelIiifdddEEvbT_PjPT0_S4_jNS_24const_host_device_scalarIT4_EEPKS1_PKS3_PKT1_PKT2_S7_PT3_21rocsparse_index_base_b
		.amdhsa_group_segment_fixed_size 2048
		.amdhsa_private_segment_fixed_size 0
		.amdhsa_kernarg_size 104
		.amdhsa_user_sgpr_count 2
		.amdhsa_user_sgpr_dispatch_ptr 0
		.amdhsa_user_sgpr_queue_ptr 0
		.amdhsa_user_sgpr_kernarg_segment_ptr 1
		.amdhsa_user_sgpr_dispatch_id 0
		.amdhsa_user_sgpr_kernarg_preload_length 0
		.amdhsa_user_sgpr_kernarg_preload_offset 0
		.amdhsa_user_sgpr_private_segment_size 0
		.amdhsa_wavefront_size32 1
		.amdhsa_uses_dynamic_stack 0
		.amdhsa_enable_private_segment 0
		.amdhsa_system_sgpr_workgroup_id_x 1
		.amdhsa_system_sgpr_workgroup_id_y 0
		.amdhsa_system_sgpr_workgroup_id_z 0
		.amdhsa_system_sgpr_workgroup_info 0
		.amdhsa_system_vgpr_workitem_id 0
		.amdhsa_next_free_vgpr 10
		.amdhsa_next_free_sgpr 22
		.amdhsa_named_barrier_count 0
		.amdhsa_reserve_vcc 1
		.amdhsa_float_round_mode_32 0
		.amdhsa_float_round_mode_16_64 0
		.amdhsa_float_denorm_mode_32 3
		.amdhsa_float_denorm_mode_16_64 3
		.amdhsa_fp16_overflow 0
		.amdhsa_memory_ordered 1
		.amdhsa_forward_progress 1
		.amdhsa_inst_pref_size 12
		.amdhsa_round_robin_scheduling 0
		.amdhsa_exception_fp_ieee_invalid_op 0
		.amdhsa_exception_fp_denorm_src 0
		.amdhsa_exception_fp_ieee_div_zero 0
		.amdhsa_exception_fp_ieee_overflow 0
		.amdhsa_exception_fp_ieee_underflow 0
		.amdhsa_exception_fp_ieee_inexact 0
		.amdhsa_exception_int_div_zero 0
	.end_amdhsa_kernel
	.section	.text._ZN9rocsparseL27csrmvn_lrb_long_rows_kernelIiifdddEEvbT_PjPT0_S4_jNS_24const_host_device_scalarIT4_EEPKS1_PKS3_PKT1_PKT2_S7_PT3_21rocsparse_index_base_b,"axG",@progbits,_ZN9rocsparseL27csrmvn_lrb_long_rows_kernelIiifdddEEvbT_PjPT0_S4_jNS_24const_host_device_scalarIT4_EEPKS1_PKS3_PKT1_PKT2_S7_PT3_21rocsparse_index_base_b,comdat
.Lfunc_end175:
	.size	_ZN9rocsparseL27csrmvn_lrb_long_rows_kernelIiifdddEEvbT_PjPT0_S4_jNS_24const_host_device_scalarIT4_EEPKS1_PKS3_PKT1_PKT2_S7_PT3_21rocsparse_index_base_b, .Lfunc_end175-_ZN9rocsparseL27csrmvn_lrb_long_rows_kernelIiifdddEEvbT_PjPT0_S4_jNS_24const_host_device_scalarIT4_EEPKS1_PKS3_PKT1_PKT2_S7_PT3_21rocsparse_index_base_b
                                        ; -- End function
	.set _ZN9rocsparseL27csrmvn_lrb_long_rows_kernelIiifdddEEvbT_PjPT0_S4_jNS_24const_host_device_scalarIT4_EEPKS1_PKS3_PKT1_PKT2_S7_PT3_21rocsparse_index_base_b.num_vgpr, 10
	.set _ZN9rocsparseL27csrmvn_lrb_long_rows_kernelIiifdddEEvbT_PjPT0_S4_jNS_24const_host_device_scalarIT4_EEPKS1_PKS3_PKT1_PKT2_S7_PT3_21rocsparse_index_base_b.num_agpr, 0
	.set _ZN9rocsparseL27csrmvn_lrb_long_rows_kernelIiifdddEEvbT_PjPT0_S4_jNS_24const_host_device_scalarIT4_EEPKS1_PKS3_PKT1_PKT2_S7_PT3_21rocsparse_index_base_b.numbered_sgpr, 22
	.set _ZN9rocsparseL27csrmvn_lrb_long_rows_kernelIiifdddEEvbT_PjPT0_S4_jNS_24const_host_device_scalarIT4_EEPKS1_PKS3_PKT1_PKT2_S7_PT3_21rocsparse_index_base_b.num_named_barrier, 0
	.set _ZN9rocsparseL27csrmvn_lrb_long_rows_kernelIiifdddEEvbT_PjPT0_S4_jNS_24const_host_device_scalarIT4_EEPKS1_PKS3_PKT1_PKT2_S7_PT3_21rocsparse_index_base_b.private_seg_size, 0
	.set _ZN9rocsparseL27csrmvn_lrb_long_rows_kernelIiifdddEEvbT_PjPT0_S4_jNS_24const_host_device_scalarIT4_EEPKS1_PKS3_PKT1_PKT2_S7_PT3_21rocsparse_index_base_b.uses_vcc, 1
	.set _ZN9rocsparseL27csrmvn_lrb_long_rows_kernelIiifdddEEvbT_PjPT0_S4_jNS_24const_host_device_scalarIT4_EEPKS1_PKS3_PKT1_PKT2_S7_PT3_21rocsparse_index_base_b.uses_flat_scratch, 0
	.set _ZN9rocsparseL27csrmvn_lrb_long_rows_kernelIiifdddEEvbT_PjPT0_S4_jNS_24const_host_device_scalarIT4_EEPKS1_PKS3_PKT1_PKT2_S7_PT3_21rocsparse_index_base_b.has_dyn_sized_stack, 0
	.set _ZN9rocsparseL27csrmvn_lrb_long_rows_kernelIiifdddEEvbT_PjPT0_S4_jNS_24const_host_device_scalarIT4_EEPKS1_PKS3_PKT1_PKT2_S7_PT3_21rocsparse_index_base_b.has_recursion, 0
	.set _ZN9rocsparseL27csrmvn_lrb_long_rows_kernelIiifdddEEvbT_PjPT0_S4_jNS_24const_host_device_scalarIT4_EEPKS1_PKS3_PKT1_PKT2_S7_PT3_21rocsparse_index_base_b.has_indirect_call, 0
	.section	.AMDGPU.csdata,"",@progbits
; Kernel info:
; codeLenInByte = 1528
; TotalNumSgprs: 24
; NumVgprs: 10
; ScratchSize: 0
; MemoryBound: 0
; FloatMode: 240
; IeeeMode: 1
; LDSByteSize: 2048 bytes/workgroup (compile time only)
; SGPRBlocks: 0
; VGPRBlocks: 0
; NumSGPRsForWavesPerEU: 24
; NumVGPRsForWavesPerEU: 10
; NamedBarCnt: 0
; Occupancy: 16
; WaveLimiterHint : 1
; COMPUTE_PGM_RSRC2:SCRATCH_EN: 0
; COMPUTE_PGM_RSRC2:USER_SGPR: 2
; COMPUTE_PGM_RSRC2:TRAP_HANDLER: 0
; COMPUTE_PGM_RSRC2:TGID_X_EN: 1
; COMPUTE_PGM_RSRC2:TGID_Y_EN: 0
; COMPUTE_PGM_RSRC2:TGID_Z_EN: 0
; COMPUTE_PGM_RSRC2:TIDIG_COMP_CNT: 0
	.section	.text._ZN9rocsparseL28csrmvn_lrb_short_rows_kernelIlifdddEEvbT_PT0_S3_jNS_24const_host_device_scalarIT4_EEPKS1_PKS2_PKT1_PKT2_S6_PT3_21rocsparse_index_base_b,"axG",@progbits,_ZN9rocsparseL28csrmvn_lrb_short_rows_kernelIlifdddEEvbT_PT0_S3_jNS_24const_host_device_scalarIT4_EEPKS1_PKS2_PKT1_PKT2_S6_PT3_21rocsparse_index_base_b,comdat
	.globl	_ZN9rocsparseL28csrmvn_lrb_short_rows_kernelIlifdddEEvbT_PT0_S3_jNS_24const_host_device_scalarIT4_EEPKS1_PKS2_PKT1_PKT2_S6_PT3_21rocsparse_index_base_b ; -- Begin function _ZN9rocsparseL28csrmvn_lrb_short_rows_kernelIlifdddEEvbT_PT0_S3_jNS_24const_host_device_scalarIT4_EEPKS1_PKS2_PKT1_PKT2_S6_PT3_21rocsparse_index_base_b
	.p2align	8
	.type	_ZN9rocsparseL28csrmvn_lrb_short_rows_kernelIlifdddEEvbT_PT0_S3_jNS_24const_host_device_scalarIT4_EEPKS1_PKS2_PKT1_PKT2_S6_PT3_21rocsparse_index_base_b,@function
_ZN9rocsparseL28csrmvn_lrb_short_rows_kernelIlifdddEEvbT_PT0_S3_jNS_24const_host_device_scalarIT4_EEPKS1_PKS2_PKT1_PKT2_S6_PT3_21rocsparse_index_base_b: ; @_ZN9rocsparseL28csrmvn_lrb_short_rows_kernelIlifdddEEvbT_PT0_S3_jNS_24const_host_device_scalarIT4_EEPKS1_PKS2_PKT1_PKT2_S6_PT3_21rocsparse_index_base_b
; %bb.0:
	s_clause 0x2
	s_load_b64 s[16:17], s[0:1], 0x60
	s_load_b64 s[4:5], s[0:1], 0x28
	;; [unrolled: 1-line block ×3, first 2 shown]
	s_wait_kmcnt 0x0
	s_bitcmp1_b32 s17, 0
	v_mov_b64_e32 v[8:9], s[4:5]
	s_cselect_b32 s6, -1, 0
	s_delay_alu instid0(SALU_CYCLE_1)
	s_and_b32 vcc_lo, exec_lo, s6
	s_xor_b32 s6, s6, -1
	s_cbranch_vccnz .LBB176_2
; %bb.1:
	v_mov_b32_e32 v1, 0
	flat_load_b64 v[8:9], v1, s[4:5]
.LBB176_2:
	v_mov_b64_e32 v[6:7], s[2:3]
	s_and_not1_b32 vcc_lo, exec_lo, s6
	s_cbranch_vccnz .LBB176_4
; %bb.3:
	s_wait_xcnt 0x0
	v_mov_b32_e32 v1, 0
	flat_load_b64 v[6:7], v1, s[2:3]
.LBB176_4:
	s_wait_loadcnt_dscnt 0x0
	v_cmp_neq_f64_e32 vcc_lo, 0, v[8:9]
	s_delay_alu instid0(VALU_DEP_2) | instskip(SKIP_1) | instid1(SALU_CYCLE_1)
	v_cmp_neq_f64_e64 s2, 1.0, v[6:7]
	s_or_b32 s2, vcc_lo, s2
	s_and_saveexec_b32 s3, s2
	s_cbranch_execz .LBB176_18
; %bb.5:
	s_clause 0x1
	s_load_b32 s2, s[0:1], 0x20
	s_load_b128 s[12:15], s[0:1], 0x10
	s_and_b32 s6, ttmp6, 15
	s_getreg_b32 s7, hwreg(HW_REG_IB_STS2, 6, 4)
	s_mov_b32 s17, 0
	s_wait_kmcnt 0x0
	s_add_co_i32 s4, s2, 1
	s_clause 0x1
	s_load_b32 s3, s[14:15], s2 offset:0x0 scale_offset
	s_load_b32 s5, s[14:15], s4 offset:0x0 scale_offset
	s_wait_xcnt 0x0
	s_bfe_u32 s4, ttmp6, 0x4000c
	s_delay_alu instid0(SALU_CYCLE_1) | instskip(NEXT) | instid1(SALU_CYCLE_1)
	s_add_co_i32 s4, s4, 1
	s_mul_i32 s4, ttmp9, s4
	s_delay_alu instid0(SALU_CYCLE_1) | instskip(SKIP_4) | instid1(SALU_CYCLE_1)
	s_add_co_i32 s6, s6, s4
	s_wait_kmcnt 0x0
	s_sub_co_i32 s5, s5, s3
	s_cmp_eq_u32 s7, 0
	s_cselect_b32 s4, ttmp9, s6
	s_lshl_b32 s14, s4, 8
	s_delay_alu instid0(SALU_CYCLE_1) | instskip(NEXT) | instid1(SALU_CYCLE_1)
	s_add_co_i32 s4, s14, 0x100
	s_min_u32 s15, s5, s4
	s_cmp_gt_u32 s2, 23
	s_cbranch_scc1 .LBB176_12
; %bb.6:
	s_load_b256 s[4:11], s[0:1], 0x30
	v_bfe_u32 v10, v0, 0, s2
	v_mov_b32_e32 v11, 0
	v_lshl_add_u32 v1, v0, 3, 0
	s_lshl_b32 s18, 0x100, s2
	s_mov_b32 s19, s17
	s_branch .LBB176_9
.LBB176_7:                              ;   in Loop: Header=BB176_9 Depth=1
	s_wait_xcnt 0x0
	s_or_b32 exec_lo, exec_lo, s21
	ds_store_b64 v1, v[4:5]
.LBB176_8:                              ;   in Loop: Header=BB176_9 Depth=1
	s_or_b32 exec_lo, exec_lo, s20
	v_add_nc_u32_e32 v1, 0x800, v1
	s_addk_co_i32 s19, 0x100
	s_delay_alu instid0(SALU_CYCLE_1)
	s_cmp_ge_u32 s19, s18
	s_cbranch_scc1 .LBB176_12
.LBB176_9:                              ; =>This Inner Loop Header: Depth=1
	v_add_nc_u32_e32 v2, s19, v0
	s_mov_b32 s20, exec_lo
	s_delay_alu instid0(VALU_DEP_1) | instskip(NEXT) | instid1(VALU_DEP_1)
	v_lshrrev_b32_e32 v2, s2, v2
	v_add_nc_u32_e32 v2, s14, v2
	s_delay_alu instid0(VALU_DEP_1)
	v_cmpx_gt_u32_e64 s15, v2
	s_cbranch_execz .LBB176_8
; %bb.10:                               ;   in Loop: Header=BB176_9 Depth=1
	v_add_nc_u32_e32 v2, s3, v2
	global_load_b32 v2, v2, s[12:13] scale_offset
	s_wait_loadcnt 0x0
	v_ashrrev_i32_e32 v3, 31, v2
	s_wait_kmcnt 0x0
	s_wait_xcnt 0x0
	s_delay_alu instid0(VALU_DEP_1) | instskip(SKIP_3) | instid1(VALU_DEP_1)
	v_lshl_add_u64 v[2:3], v[2:3], 3, s[4:5]
	global_load_b128 v[2:5], v[2:3], off
	s_wait_loadcnt 0x0
	v_sub_nc_u64_e32 v[4:5], v[4:5], v[2:3]
	v_cmp_gt_i64_e32 vcc_lo, v[4:5], v[10:11]
	v_mov_b64_e32 v[4:5], 0
	s_wait_xcnt 0x0
	s_and_saveexec_b32 s21, vcc_lo
	s_cbranch_execz .LBB176_7
; %bb.11:                               ;   in Loop: Header=BB176_9 Depth=1
	v_sub_nc_u64_e64 v[2:3], v[2:3], s[16:17]
	s_delay_alu instid0(VALU_DEP_1) | instskip(NEXT) | instid1(VALU_DEP_1)
	v_add_nc_u64_e32 v[2:3], v[2:3], v[10:11]
	v_lshlrev_b64_e32 v[2:3], 2, v[2:3]
	s_delay_alu instid0(VALU_DEP_1)
	v_add_nc_u64_e32 v[4:5], s[6:7], v[2:3]
	v_add_nc_u64_e32 v[2:3], s[8:9], v[2:3]
	global_load_b32 v4, v[4:5], off
	global_load_b32 v5, v[2:3], off
	s_wait_loadcnt 0x1
	s_wait_xcnt 0x0
	v_subrev_nc_u32_e32 v2, s16, v4
	s_wait_loadcnt 0x0
	v_cvt_f64_f32_e32 v[4:5], v5
	global_load_b64 v[2:3], v2, s[10:11] scale_offset
	v_mul_f64_e32 v[4:5], v[8:9], v[4:5]
	s_wait_loadcnt 0x0
	s_delay_alu instid0(VALU_DEP_1)
	v_mul_f64_e32 v[4:5], v[4:5], v[2:3]
	s_branch .LBB176_7
.LBB176_12:
	s_wait_kmcnt 0x0
	s_sub_co_i32 s4, s15, s14
	s_wait_dscnt 0x0
	v_cmp_gt_u32_e32 vcc_lo, s4, v0
	s_barrier_signal -1
	s_barrier_wait -1
	s_and_b32 exec_lo, exec_lo, vcc_lo
	s_cbranch_execz .LBB176_18
; %bb.13:
	v_add3_u32 v1, s3, s14, v0
	s_load_b64 s[0:1], s[0:1], 0x58
	v_lshlrev_b32_e32 v3, s2, v0
	s_mov_b32 s3, 1
	global_load_b32 v2, v1, s[12:13] scale_offset
	s_wait_xcnt 0x0
	v_mov_b64_e32 v[0:1], 0
	v_lshl_add_u32 v3, v3, 3, 0
.LBB176_14:                             ; =>This Inner Loop Header: Depth=1
	ds_load_b64 v[4:5], v3
	s_lshr_b32 s4, s3, s2
	s_add_co_i32 s3, s3, 1
	s_cmp_lg_u32 s4, 0
	s_wait_dscnt 0x0
	v_dual_add_f64 v[0:1], v[0:1], v[4:5] :: v_dual_add_nc_u32 v3, 8, v3
	s_cbranch_scc0 .LBB176_14
; %bb.15:
	s_wait_loadcnt 0x0
	v_ashrrev_i32_e32 v3, 31, v2
	s_wait_kmcnt 0x0
	s_delay_alu instid0(VALU_DEP_1)
	v_lshl_add_u64 v[2:3], v[2:3], 3, s[0:1]
	s_mov_b32 s0, exec_lo
	v_cmpx_neq_f64_e32 0, v[6:7]
	s_cbranch_execz .LBB176_17
; %bb.16:
	global_load_b64 v[4:5], v[2:3], off
	s_wait_loadcnt 0x0
	v_fmac_f64_e32 v[0:1], v[6:7], v[4:5]
.LBB176_17:
	s_or_b32 exec_lo, exec_lo, s0
	global_store_b64 v[2:3], v[0:1], off
.LBB176_18:
	s_endpgm
	.section	.rodata,"a",@progbits
	.p2align	6, 0x0
	.amdhsa_kernel _ZN9rocsparseL28csrmvn_lrb_short_rows_kernelIlifdddEEvbT_PT0_S3_jNS_24const_host_device_scalarIT4_EEPKS1_PKS2_PKT1_PKT2_S6_PT3_21rocsparse_index_base_b
		.amdhsa_group_segment_fixed_size 0
		.amdhsa_private_segment_fixed_size 0
		.amdhsa_kernarg_size 104
		.amdhsa_user_sgpr_count 2
		.amdhsa_user_sgpr_dispatch_ptr 0
		.amdhsa_user_sgpr_queue_ptr 0
		.amdhsa_user_sgpr_kernarg_segment_ptr 1
		.amdhsa_user_sgpr_dispatch_id 0
		.amdhsa_user_sgpr_kernarg_preload_length 0
		.amdhsa_user_sgpr_kernarg_preload_offset 0
		.amdhsa_user_sgpr_private_segment_size 0
		.amdhsa_wavefront_size32 1
		.amdhsa_uses_dynamic_stack 0
		.amdhsa_enable_private_segment 0
		.amdhsa_system_sgpr_workgroup_id_x 1
		.amdhsa_system_sgpr_workgroup_id_y 0
		.amdhsa_system_sgpr_workgroup_id_z 0
		.amdhsa_system_sgpr_workgroup_info 0
		.amdhsa_system_vgpr_workitem_id 0
		.amdhsa_next_free_vgpr 12
		.amdhsa_next_free_sgpr 22
		.amdhsa_named_barrier_count 0
		.amdhsa_reserve_vcc 1
		.amdhsa_float_round_mode_32 0
		.amdhsa_float_round_mode_16_64 0
		.amdhsa_float_denorm_mode_32 3
		.amdhsa_float_denorm_mode_16_64 3
		.amdhsa_fp16_overflow 0
		.amdhsa_memory_ordered 1
		.amdhsa_forward_progress 1
		.amdhsa_inst_pref_size 7
		.amdhsa_round_robin_scheduling 0
		.amdhsa_exception_fp_ieee_invalid_op 0
		.amdhsa_exception_fp_denorm_src 0
		.amdhsa_exception_fp_ieee_div_zero 0
		.amdhsa_exception_fp_ieee_overflow 0
		.amdhsa_exception_fp_ieee_underflow 0
		.amdhsa_exception_fp_ieee_inexact 0
		.amdhsa_exception_int_div_zero 0
	.end_amdhsa_kernel
	.section	.text._ZN9rocsparseL28csrmvn_lrb_short_rows_kernelIlifdddEEvbT_PT0_S3_jNS_24const_host_device_scalarIT4_EEPKS1_PKS2_PKT1_PKT2_S6_PT3_21rocsparse_index_base_b,"axG",@progbits,_ZN9rocsparseL28csrmvn_lrb_short_rows_kernelIlifdddEEvbT_PT0_S3_jNS_24const_host_device_scalarIT4_EEPKS1_PKS2_PKT1_PKT2_S6_PT3_21rocsparse_index_base_b,comdat
.Lfunc_end176:
	.size	_ZN9rocsparseL28csrmvn_lrb_short_rows_kernelIlifdddEEvbT_PT0_S3_jNS_24const_host_device_scalarIT4_EEPKS1_PKS2_PKT1_PKT2_S6_PT3_21rocsparse_index_base_b, .Lfunc_end176-_ZN9rocsparseL28csrmvn_lrb_short_rows_kernelIlifdddEEvbT_PT0_S3_jNS_24const_host_device_scalarIT4_EEPKS1_PKS2_PKT1_PKT2_S6_PT3_21rocsparse_index_base_b
                                        ; -- End function
	.set _ZN9rocsparseL28csrmvn_lrb_short_rows_kernelIlifdddEEvbT_PT0_S3_jNS_24const_host_device_scalarIT4_EEPKS1_PKS2_PKT1_PKT2_S6_PT3_21rocsparse_index_base_b.num_vgpr, 12
	.set _ZN9rocsparseL28csrmvn_lrb_short_rows_kernelIlifdddEEvbT_PT0_S3_jNS_24const_host_device_scalarIT4_EEPKS1_PKS2_PKT1_PKT2_S6_PT3_21rocsparse_index_base_b.num_agpr, 0
	.set _ZN9rocsparseL28csrmvn_lrb_short_rows_kernelIlifdddEEvbT_PT0_S3_jNS_24const_host_device_scalarIT4_EEPKS1_PKS2_PKT1_PKT2_S6_PT3_21rocsparse_index_base_b.numbered_sgpr, 22
	.set _ZN9rocsparseL28csrmvn_lrb_short_rows_kernelIlifdddEEvbT_PT0_S3_jNS_24const_host_device_scalarIT4_EEPKS1_PKS2_PKT1_PKT2_S6_PT3_21rocsparse_index_base_b.num_named_barrier, 0
	.set _ZN9rocsparseL28csrmvn_lrb_short_rows_kernelIlifdddEEvbT_PT0_S3_jNS_24const_host_device_scalarIT4_EEPKS1_PKS2_PKT1_PKT2_S6_PT3_21rocsparse_index_base_b.private_seg_size, 0
	.set _ZN9rocsparseL28csrmvn_lrb_short_rows_kernelIlifdddEEvbT_PT0_S3_jNS_24const_host_device_scalarIT4_EEPKS1_PKS2_PKT1_PKT2_S6_PT3_21rocsparse_index_base_b.uses_vcc, 1
	.set _ZN9rocsparseL28csrmvn_lrb_short_rows_kernelIlifdddEEvbT_PT0_S3_jNS_24const_host_device_scalarIT4_EEPKS1_PKS2_PKT1_PKT2_S6_PT3_21rocsparse_index_base_b.uses_flat_scratch, 0
	.set _ZN9rocsparseL28csrmvn_lrb_short_rows_kernelIlifdddEEvbT_PT0_S3_jNS_24const_host_device_scalarIT4_EEPKS1_PKS2_PKT1_PKT2_S6_PT3_21rocsparse_index_base_b.has_dyn_sized_stack, 0
	.set _ZN9rocsparseL28csrmvn_lrb_short_rows_kernelIlifdddEEvbT_PT0_S3_jNS_24const_host_device_scalarIT4_EEPKS1_PKS2_PKT1_PKT2_S6_PT3_21rocsparse_index_base_b.has_recursion, 0
	.set _ZN9rocsparseL28csrmvn_lrb_short_rows_kernelIlifdddEEvbT_PT0_S3_jNS_24const_host_device_scalarIT4_EEPKS1_PKS2_PKT1_PKT2_S6_PT3_21rocsparse_index_base_b.has_indirect_call, 0
	.section	.AMDGPU.csdata,"",@progbits
; Kernel info:
; codeLenInByte = 792
; TotalNumSgprs: 24
; NumVgprs: 12
; ScratchSize: 0
; MemoryBound: 0
; FloatMode: 240
; IeeeMode: 1
; LDSByteSize: 0 bytes/workgroup (compile time only)
; SGPRBlocks: 0
; VGPRBlocks: 0
; NumSGPRsForWavesPerEU: 24
; NumVGPRsForWavesPerEU: 12
; NamedBarCnt: 0
; Occupancy: 16
; WaveLimiterHint : 1
; COMPUTE_PGM_RSRC2:SCRATCH_EN: 0
; COMPUTE_PGM_RSRC2:USER_SGPR: 2
; COMPUTE_PGM_RSRC2:TRAP_HANDLER: 0
; COMPUTE_PGM_RSRC2:TGID_X_EN: 1
; COMPUTE_PGM_RSRC2:TGID_Y_EN: 0
; COMPUTE_PGM_RSRC2:TGID_Z_EN: 0
; COMPUTE_PGM_RSRC2:TIDIG_COMP_CNT: 0
	.section	.text._ZN9rocsparseL30csrmvn_lrb_short_rows_2_kernelIlifdddEEvbT_PT0_S3_jNS_24const_host_device_scalarIT4_EEPKS1_PKS2_PKT1_PKT2_S6_PT3_21rocsparse_index_base_b,"axG",@progbits,_ZN9rocsparseL30csrmvn_lrb_short_rows_2_kernelIlifdddEEvbT_PT0_S3_jNS_24const_host_device_scalarIT4_EEPKS1_PKS2_PKT1_PKT2_S6_PT3_21rocsparse_index_base_b,comdat
	.globl	_ZN9rocsparseL30csrmvn_lrb_short_rows_2_kernelIlifdddEEvbT_PT0_S3_jNS_24const_host_device_scalarIT4_EEPKS1_PKS2_PKT1_PKT2_S6_PT3_21rocsparse_index_base_b ; -- Begin function _ZN9rocsparseL30csrmvn_lrb_short_rows_2_kernelIlifdddEEvbT_PT0_S3_jNS_24const_host_device_scalarIT4_EEPKS1_PKS2_PKT1_PKT2_S6_PT3_21rocsparse_index_base_b
	.p2align	8
	.type	_ZN9rocsparseL30csrmvn_lrb_short_rows_2_kernelIlifdddEEvbT_PT0_S3_jNS_24const_host_device_scalarIT4_EEPKS1_PKS2_PKT1_PKT2_S6_PT3_21rocsparse_index_base_b,@function
_ZN9rocsparseL30csrmvn_lrb_short_rows_2_kernelIlifdddEEvbT_PT0_S3_jNS_24const_host_device_scalarIT4_EEPKS1_PKS2_PKT1_PKT2_S6_PT3_21rocsparse_index_base_b: ; @_ZN9rocsparseL30csrmvn_lrb_short_rows_2_kernelIlifdddEEvbT_PT0_S3_jNS_24const_host_device_scalarIT4_EEPKS1_PKS2_PKT1_PKT2_S6_PT3_21rocsparse_index_base_b
; %bb.0:
	s_clause 0x2
	s_load_b64 s[16:17], s[0:1], 0x60
	s_load_b64 s[4:5], s[0:1], 0x28
	;; [unrolled: 1-line block ×3, first 2 shown]
	s_wait_kmcnt 0x0
	s_bitcmp1_b32 s17, 0
	v_mov_b64_e32 v[8:9], s[4:5]
	s_cselect_b32 s6, -1, 0
	s_delay_alu instid0(SALU_CYCLE_1)
	s_and_b32 vcc_lo, exec_lo, s6
	s_xor_b32 s6, s6, -1
	s_cbranch_vccnz .LBB177_2
; %bb.1:
	v_mov_b32_e32 v1, 0
	flat_load_b64 v[8:9], v1, s[4:5]
.LBB177_2:
	v_mov_b64_e32 v[6:7], s[2:3]
	s_and_not1_b32 vcc_lo, exec_lo, s6
	s_cbranch_vccnz .LBB177_4
; %bb.3:
	s_wait_xcnt 0x0
	v_mov_b32_e32 v1, 0
	flat_load_b64 v[6:7], v1, s[2:3]
.LBB177_4:
	s_wait_loadcnt_dscnt 0x0
	v_cmp_neq_f64_e32 vcc_lo, 0, v[8:9]
	s_delay_alu instid0(VALU_DEP_2) | instskip(SKIP_1) | instid1(SALU_CYCLE_1)
	v_cmp_neq_f64_e64 s2, 1.0, v[6:7]
	s_or_b32 s2, vcc_lo, s2
	s_and_saveexec_b32 s3, s2
	s_cbranch_execz .LBB177_30
; %bb.5:
	s_clause 0x2
	s_load_b32 s18, s[0:1], 0x20
	s_load_b128 s[12:15], s[0:1], 0x10
	s_load_b256 s[4:11], s[0:1], 0x30
	s_mov_b32 s17, 0
	s_wait_kmcnt 0x0
	v_dual_mov_b32 v11, 0 :: v_dual_lshrrev_b32 v1, s18, v0
	s_add_co_i32 s2, s18, 1
	s_clause 0x1
	s_load_b32 s19, s[14:15], s18 offset:0x0 scale_offset
	s_load_b32 s3, s[14:15], s2 offset:0x0 scale_offset
	s_wait_xcnt 0x0
	s_bfe_u32 s2, ttmp6, 0x4000c
	s_and_b32 s14, ttmp6, 15
	s_add_co_i32 s2, s2, 1
	s_getreg_b32 s15, hwreg(HW_REG_IB_STS2, 6, 4)
	s_mul_i32 s2, ttmp9, s2
	v_bfe_u32 v10, v0, 0, s18
	s_add_co_i32 s2, s14, s2
	s_lshr_b32 s14, 0x400, s18
	s_wait_kmcnt 0x0
	s_sub_co_i32 s3, s3, s19
	s_cmp_eq_u32 s15, 0
	s_cselect_b32 s2, ttmp9, s2
	s_delay_alu instid0(SALU_CYCLE_1) | instskip(NEXT) | instid1(SALU_CYCLE_1)
	s_mul_i32 s15, s14, s2
	v_add_nc_u32_e32 v1, s15, v1
	s_add_co_i32 s2, s15, s14
	s_delay_alu instid0(SALU_CYCLE_1) | instskip(SKIP_1) | instid1(VALU_DEP_1)
	s_min_u32 s20, s3, s2
	s_mov_b32 s2, exec_lo
	v_cmpx_gt_u32_e64 s20, v1
	s_cbranch_execz .LBB177_9
; %bb.6:
	v_add_nc_u32_e32 v1, s19, v1
	global_load_b32 v2, v1, s[12:13] scale_offset
	s_wait_loadcnt 0x0
	v_ashrrev_i32_e32 v3, 31, v2
	s_delay_alu instid0(VALU_DEP_1) | instskip(SKIP_3) | instid1(VALU_DEP_1)
	v_lshl_add_u64 v[2:3], v[2:3], 3, s[4:5]
	global_load_b128 v[2:5], v[2:3], off
	s_wait_loadcnt 0x0
	v_sub_nc_u64_e32 v[4:5], v[4:5], v[2:3]
	v_cmp_gt_i64_e32 vcc_lo, v[4:5], v[10:11]
	v_mov_b64_e32 v[4:5], 0
	s_and_saveexec_b32 s3, vcc_lo
	s_cbranch_execz .LBB177_8
; %bb.7:
	v_sub_nc_u64_e64 v[2:3], v[2:3], s[16:17]
	s_delay_alu instid0(VALU_DEP_1) | instskip(NEXT) | instid1(VALU_DEP_1)
	v_add_nc_u64_e32 v[2:3], v[2:3], v[10:11]
	v_lshlrev_b64_e32 v[2:3], 2, v[2:3]
	s_delay_alu instid0(VALU_DEP_1)
	v_add_nc_u64_e32 v[4:5], s[6:7], v[2:3]
	v_add_nc_u64_e32 v[2:3], s[8:9], v[2:3]
	global_load_b32 v1, v[4:5], off
	global_load_b32 v4, v[2:3], off
	s_wait_loadcnt 0x1
	v_subrev_nc_u32_e32 v1, s16, v1
	s_wait_loadcnt 0x0
	v_cvt_f64_f32_e32 v[4:5], v4
	global_load_b64 v[2:3], v1, s[10:11] scale_offset
	v_mul_f64_e32 v[4:5], v[8:9], v[4:5]
	s_wait_loadcnt 0x0
	s_delay_alu instid0(VALU_DEP_1)
	v_mul_f64_e32 v[4:5], v[4:5], v[2:3]
.LBB177_8:
	s_or_b32 exec_lo, exec_lo, s3
	v_lshlrev_b32_e32 v1, 3, v0
	ds_store_b64 v1, v[4:5]
.LBB177_9:
	s_or_b32 exec_lo, exec_lo, s2
	s_load_b64 s[2:3], s[0:1], 0x58
	v_or_b32_e32 v1, 0x100, v0
	s_wait_xcnt 0x0
	s_mov_b32 s0, exec_lo
	s_delay_alu instid0(VALU_DEP_1) | instskip(NEXT) | instid1(VALU_DEP_1)
	v_lshrrev_b32_e32 v1, s18, v1
	v_add_nc_u32_e32 v1, s15, v1
	s_delay_alu instid0(VALU_DEP_1)
	v_cmpx_gt_u32_e64 s20, v1
	s_cbranch_execz .LBB177_13
; %bb.10:
	v_add_nc_u32_e32 v1, s19, v1
	global_load_b32 v2, v1, s[12:13] scale_offset
	s_wait_loadcnt 0x0
	v_ashrrev_i32_e32 v3, 31, v2
	s_delay_alu instid0(VALU_DEP_1) | instskip(SKIP_3) | instid1(VALU_DEP_1)
	v_lshl_add_u64 v[2:3], v[2:3], 3, s[4:5]
	global_load_b128 v[2:5], v[2:3], off
	s_wait_loadcnt 0x0
	v_sub_nc_u64_e32 v[4:5], v[4:5], v[2:3]
	v_cmp_gt_i64_e32 vcc_lo, v[4:5], v[10:11]
	v_mov_b64_e32 v[4:5], 0
	s_and_saveexec_b32 s1, vcc_lo
	s_cbranch_execz .LBB177_12
; %bb.11:
	v_sub_nc_u64_e64 v[2:3], v[2:3], s[16:17]
	s_delay_alu instid0(VALU_DEP_1) | instskip(NEXT) | instid1(VALU_DEP_1)
	v_add_nc_u64_e32 v[2:3], v[2:3], v[10:11]
	v_lshlrev_b64_e32 v[2:3], 2, v[2:3]
	s_delay_alu instid0(VALU_DEP_1)
	v_add_nc_u64_e32 v[4:5], s[6:7], v[2:3]
	v_add_nc_u64_e32 v[2:3], s[8:9], v[2:3]
	global_load_b32 v1, v[4:5], off
	global_load_b32 v4, v[2:3], off
	s_wait_loadcnt 0x1
	v_subrev_nc_u32_e32 v1, s16, v1
	s_wait_loadcnt 0x0
	v_cvt_f64_f32_e32 v[4:5], v4
	global_load_b64 v[2:3], v1, s[10:11] scale_offset
	v_mul_f64_e32 v[4:5], v[8:9], v[4:5]
	s_wait_loadcnt 0x0
	s_delay_alu instid0(VALU_DEP_1)
	v_mul_f64_e32 v[4:5], v[4:5], v[2:3]
.LBB177_12:
	s_or_b32 exec_lo, exec_lo, s1
	v_lshlrev_b32_e32 v1, 3, v0
	ds_store_b64 v1, v[4:5] offset:2048
.LBB177_13:
	s_or_b32 exec_lo, exec_lo, s0
	v_or_b32_e32 v1, 0x200, v0
	s_mov_b32 s0, exec_lo
	s_delay_alu instid0(VALU_DEP_1) | instskip(NEXT) | instid1(VALU_DEP_1)
	v_lshrrev_b32_e32 v1, s18, v1
	v_add_nc_u32_e32 v1, s15, v1
	s_delay_alu instid0(VALU_DEP_1)
	v_cmpx_gt_u32_e64 s20, v1
	s_cbranch_execz .LBB177_17
; %bb.14:
	v_add_nc_u32_e32 v1, s19, v1
	global_load_b32 v2, v1, s[12:13] scale_offset
	s_wait_loadcnt 0x0
	v_ashrrev_i32_e32 v3, 31, v2
	s_delay_alu instid0(VALU_DEP_1) | instskip(SKIP_3) | instid1(VALU_DEP_1)
	v_lshl_add_u64 v[2:3], v[2:3], 3, s[4:5]
	global_load_b128 v[2:5], v[2:3], off
	s_wait_loadcnt 0x0
	v_sub_nc_u64_e32 v[4:5], v[4:5], v[2:3]
	v_cmp_gt_i64_e32 vcc_lo, v[4:5], v[10:11]
	v_mov_b64_e32 v[4:5], 0
	s_and_saveexec_b32 s1, vcc_lo
	s_cbranch_execz .LBB177_16
; %bb.15:
	v_sub_nc_u64_e64 v[2:3], v[2:3], s[16:17]
	s_delay_alu instid0(VALU_DEP_1) | instskip(NEXT) | instid1(VALU_DEP_1)
	v_add_nc_u64_e32 v[2:3], v[2:3], v[10:11]
	v_lshlrev_b64_e32 v[2:3], 2, v[2:3]
	s_delay_alu instid0(VALU_DEP_1)
	v_add_nc_u64_e32 v[4:5], s[6:7], v[2:3]
	v_add_nc_u64_e32 v[2:3], s[8:9], v[2:3]
	global_load_b32 v1, v[4:5], off
	global_load_b32 v4, v[2:3], off
	s_wait_loadcnt 0x1
	v_subrev_nc_u32_e32 v1, s16, v1
	s_wait_loadcnt 0x0
	v_cvt_f64_f32_e32 v[4:5], v4
	global_load_b64 v[2:3], v1, s[10:11] scale_offset
	v_mul_f64_e32 v[4:5], v[8:9], v[4:5]
	s_wait_loadcnt 0x0
	s_delay_alu instid0(VALU_DEP_1)
	v_mul_f64_e32 v[4:5], v[4:5], v[2:3]
.LBB177_16:
	s_or_b32 exec_lo, exec_lo, s1
	v_lshlrev_b32_e32 v1, 3, v0
	ds_store_b64 v1, v[4:5] offset:4096
.LBB177_17:
	s_or_b32 exec_lo, exec_lo, s0
	v_or_b32_e32 v1, 0x300, v0
	s_mov_b32 s0, exec_lo
	s_delay_alu instid0(VALU_DEP_1) | instskip(NEXT) | instid1(VALU_DEP_1)
	v_lshrrev_b32_e32 v1, s18, v1
	v_add_nc_u32_e32 v1, s15, v1
	s_delay_alu instid0(VALU_DEP_1)
	v_cmpx_gt_u32_e64 s20, v1
	s_cbranch_execz .LBB177_21
; %bb.18:
	v_add_nc_u32_e32 v1, s19, v1
	global_load_b32 v2, v1, s[12:13] scale_offset
	s_wait_loadcnt 0x0
	v_ashrrev_i32_e32 v3, 31, v2
	s_delay_alu instid0(VALU_DEP_1) | instskip(SKIP_3) | instid1(VALU_DEP_1)
	v_lshl_add_u64 v[2:3], v[2:3], 3, s[4:5]
	global_load_b128 v[2:5], v[2:3], off
	s_wait_loadcnt 0x0
	v_sub_nc_u64_e32 v[4:5], v[4:5], v[2:3]
	v_cmp_gt_i64_e32 vcc_lo, v[4:5], v[10:11]
	v_mov_b64_e32 v[4:5], 0
	s_and_saveexec_b32 s1, vcc_lo
	s_cbranch_execz .LBB177_20
; %bb.19:
	v_sub_nc_u64_e64 v[2:3], v[2:3], s[16:17]
	s_delay_alu instid0(VALU_DEP_1) | instskip(NEXT) | instid1(VALU_DEP_1)
	v_add_nc_u64_e32 v[2:3], v[2:3], v[10:11]
	v_lshlrev_b64_e32 v[2:3], 2, v[2:3]
	s_delay_alu instid0(VALU_DEP_1)
	v_add_nc_u64_e32 v[4:5], s[6:7], v[2:3]
	v_add_nc_u64_e32 v[2:3], s[8:9], v[2:3]
	global_load_b32 v1, v[4:5], off
	global_load_b32 v4, v[2:3], off
	s_wait_loadcnt 0x1
	v_subrev_nc_u32_e32 v1, s16, v1
	s_wait_loadcnt 0x0
	v_cvt_f64_f32_e32 v[4:5], v4
	global_load_b64 v[2:3], v1, s[10:11] scale_offset
	v_mul_f64_e32 v[4:5], v[8:9], v[4:5]
	s_wait_loadcnt 0x0
	s_delay_alu instid0(VALU_DEP_1)
	v_mul_f64_e32 v[4:5], v[4:5], v[2:3]
.LBB177_20:
	s_or_b32 exec_lo, exec_lo, s1
	v_lshlrev_b32_e32 v1, 3, v0
	ds_store_b64 v1, v[4:5] offset:6144
.LBB177_21:
	s_or_b32 exec_lo, exec_lo, s0
	s_cmp_lt_u32 s18, 11
	s_wait_dscnt 0x0
	s_barrier_signal -1
	s_barrier_wait -1
	s_cbranch_scc0 .LBB177_30
; %bb.22:
	s_sub_co_i32 s1, s20, s15
	s_add_co_i32 s19, s19, s15
	s_mov_b32 s4, 0
	v_cmp_neq_f64_e32 vcc_lo, 0, v[6:7]
	s_branch .LBB177_25
.LBB177_23:                             ;   in Loop: Header=BB177_25 Depth=1
	s_wait_xcnt 0x0
	s_or_b32 exec_lo, exec_lo, s0
	global_store_b64 v[4:5], v[2:3], off
.LBB177_24:                             ;   in Loop: Header=BB177_25 Depth=1
	s_wait_xcnt 0x0
	s_or_b32 exec_lo, exec_lo, s5
	s_addk_co_i32 s4, 0x100
	s_delay_alu instid0(SALU_CYCLE_1)
	s_cmp_lt_u32 s4, s14
	s_cbranch_scc0 .LBB177_30
.LBB177_25:                             ; =>This Loop Header: Depth=1
                                        ;     Child Loop BB177_27 Depth 2
	v_add_nc_u32_e32 v1, s4, v0
	s_mov_b32 s5, exec_lo
	s_delay_alu instid0(VALU_DEP_1)
	v_cmpx_gt_u32_e64 s1, v1
	s_cbranch_execz .LBB177_24
; %bb.26:                               ;   in Loop: Header=BB177_25 Depth=1
	v_dual_add_nc_u32 v2, s19, v1 :: v_dual_lshlrev_b32 v1, s18, v1
	s_mov_b32 s0, 1
	global_load_b32 v4, v2, s[12:13] scale_offset
	s_wait_xcnt 0x0
	v_mov_b64_e32 v[2:3], 0
	v_lshlrev_b32_e32 v1, 3, v1
.LBB177_27:                             ;   Parent Loop BB177_25 Depth=1
                                        ; =>  This Inner Loop Header: Depth=2
	ds_load_b64 v[8:9], v1
	v_add_nc_u32_e32 v1, 8, v1
	s_lshr_b32 s6, s0, s18
	s_add_co_i32 s0, s0, 1
	s_cmp_lg_u32 s6, 0
	s_wait_dscnt 0x0
	v_add_f64_e32 v[2:3], v[2:3], v[8:9]
	s_cbranch_scc0 .LBB177_27
; %bb.28:                               ;   in Loop: Header=BB177_25 Depth=1
	s_wait_loadcnt 0x0
	v_ashrrev_i32_e32 v5, 31, v4
	s_wait_kmcnt 0x0
	s_delay_alu instid0(VALU_DEP_1)
	v_lshl_add_u64 v[4:5], v[4:5], 3, s[2:3]
	s_and_saveexec_b32 s0, vcc_lo
	s_cbranch_execz .LBB177_23
; %bb.29:                               ;   in Loop: Header=BB177_25 Depth=1
	global_load_b64 v[8:9], v[4:5], off
	s_wait_loadcnt 0x0
	v_fmac_f64_e32 v[2:3], v[6:7], v[8:9]
	s_branch .LBB177_23
.LBB177_30:
	s_endpgm
	.section	.rodata,"a",@progbits
	.p2align	6, 0x0
	.amdhsa_kernel _ZN9rocsparseL30csrmvn_lrb_short_rows_2_kernelIlifdddEEvbT_PT0_S3_jNS_24const_host_device_scalarIT4_EEPKS1_PKS2_PKT1_PKT2_S6_PT3_21rocsparse_index_base_b
		.amdhsa_group_segment_fixed_size 8192
		.amdhsa_private_segment_fixed_size 0
		.amdhsa_kernarg_size 104
		.amdhsa_user_sgpr_count 2
		.amdhsa_user_sgpr_dispatch_ptr 0
		.amdhsa_user_sgpr_queue_ptr 0
		.amdhsa_user_sgpr_kernarg_segment_ptr 1
		.amdhsa_user_sgpr_dispatch_id 0
		.amdhsa_user_sgpr_kernarg_preload_length 0
		.amdhsa_user_sgpr_kernarg_preload_offset 0
		.amdhsa_user_sgpr_private_segment_size 0
		.amdhsa_wavefront_size32 1
		.amdhsa_uses_dynamic_stack 0
		.amdhsa_enable_private_segment 0
		.amdhsa_system_sgpr_workgroup_id_x 1
		.amdhsa_system_sgpr_workgroup_id_y 0
		.amdhsa_system_sgpr_workgroup_id_z 0
		.amdhsa_system_sgpr_workgroup_info 0
		.amdhsa_system_vgpr_workitem_id 0
		.amdhsa_next_free_vgpr 12
		.amdhsa_next_free_sgpr 21
		.amdhsa_named_barrier_count 0
		.amdhsa_reserve_vcc 1
		.amdhsa_float_round_mode_32 0
		.amdhsa_float_round_mode_16_64 0
		.amdhsa_float_denorm_mode_32 3
		.amdhsa_float_denorm_mode_16_64 3
		.amdhsa_fp16_overflow 0
		.amdhsa_memory_ordered 1
		.amdhsa_forward_progress 1
		.amdhsa_inst_pref_size 12
		.amdhsa_round_robin_scheduling 0
		.amdhsa_exception_fp_ieee_invalid_op 0
		.amdhsa_exception_fp_denorm_src 0
		.amdhsa_exception_fp_ieee_div_zero 0
		.amdhsa_exception_fp_ieee_overflow 0
		.amdhsa_exception_fp_ieee_underflow 0
		.amdhsa_exception_fp_ieee_inexact 0
		.amdhsa_exception_int_div_zero 0
	.end_amdhsa_kernel
	.section	.text._ZN9rocsparseL30csrmvn_lrb_short_rows_2_kernelIlifdddEEvbT_PT0_S3_jNS_24const_host_device_scalarIT4_EEPKS1_PKS2_PKT1_PKT2_S6_PT3_21rocsparse_index_base_b,"axG",@progbits,_ZN9rocsparseL30csrmvn_lrb_short_rows_2_kernelIlifdddEEvbT_PT0_S3_jNS_24const_host_device_scalarIT4_EEPKS1_PKS2_PKT1_PKT2_S6_PT3_21rocsparse_index_base_b,comdat
.Lfunc_end177:
	.size	_ZN9rocsparseL30csrmvn_lrb_short_rows_2_kernelIlifdddEEvbT_PT0_S3_jNS_24const_host_device_scalarIT4_EEPKS1_PKS2_PKT1_PKT2_S6_PT3_21rocsparse_index_base_b, .Lfunc_end177-_ZN9rocsparseL30csrmvn_lrb_short_rows_2_kernelIlifdddEEvbT_PT0_S3_jNS_24const_host_device_scalarIT4_EEPKS1_PKS2_PKT1_PKT2_S6_PT3_21rocsparse_index_base_b
                                        ; -- End function
	.set _ZN9rocsparseL30csrmvn_lrb_short_rows_2_kernelIlifdddEEvbT_PT0_S3_jNS_24const_host_device_scalarIT4_EEPKS1_PKS2_PKT1_PKT2_S6_PT3_21rocsparse_index_base_b.num_vgpr, 12
	.set _ZN9rocsparseL30csrmvn_lrb_short_rows_2_kernelIlifdddEEvbT_PT0_S3_jNS_24const_host_device_scalarIT4_EEPKS1_PKS2_PKT1_PKT2_S6_PT3_21rocsparse_index_base_b.num_agpr, 0
	.set _ZN9rocsparseL30csrmvn_lrb_short_rows_2_kernelIlifdddEEvbT_PT0_S3_jNS_24const_host_device_scalarIT4_EEPKS1_PKS2_PKT1_PKT2_S6_PT3_21rocsparse_index_base_b.numbered_sgpr, 21
	.set _ZN9rocsparseL30csrmvn_lrb_short_rows_2_kernelIlifdddEEvbT_PT0_S3_jNS_24const_host_device_scalarIT4_EEPKS1_PKS2_PKT1_PKT2_S6_PT3_21rocsparse_index_base_b.num_named_barrier, 0
	.set _ZN9rocsparseL30csrmvn_lrb_short_rows_2_kernelIlifdddEEvbT_PT0_S3_jNS_24const_host_device_scalarIT4_EEPKS1_PKS2_PKT1_PKT2_S6_PT3_21rocsparse_index_base_b.private_seg_size, 0
	.set _ZN9rocsparseL30csrmvn_lrb_short_rows_2_kernelIlifdddEEvbT_PT0_S3_jNS_24const_host_device_scalarIT4_EEPKS1_PKS2_PKT1_PKT2_S6_PT3_21rocsparse_index_base_b.uses_vcc, 1
	.set _ZN9rocsparseL30csrmvn_lrb_short_rows_2_kernelIlifdddEEvbT_PT0_S3_jNS_24const_host_device_scalarIT4_EEPKS1_PKS2_PKT1_PKT2_S6_PT3_21rocsparse_index_base_b.uses_flat_scratch, 0
	.set _ZN9rocsparseL30csrmvn_lrb_short_rows_2_kernelIlifdddEEvbT_PT0_S3_jNS_24const_host_device_scalarIT4_EEPKS1_PKS2_PKT1_PKT2_S6_PT3_21rocsparse_index_base_b.has_dyn_sized_stack, 0
	.set _ZN9rocsparseL30csrmvn_lrb_short_rows_2_kernelIlifdddEEvbT_PT0_S3_jNS_24const_host_device_scalarIT4_EEPKS1_PKS2_PKT1_PKT2_S6_PT3_21rocsparse_index_base_b.has_recursion, 0
	.set _ZN9rocsparseL30csrmvn_lrb_short_rows_2_kernelIlifdddEEvbT_PT0_S3_jNS_24const_host_device_scalarIT4_EEPKS1_PKS2_PKT1_PKT2_S6_PT3_21rocsparse_index_base_b.has_indirect_call, 0
	.section	.AMDGPU.csdata,"",@progbits
; Kernel info:
; codeLenInByte = 1460
; TotalNumSgprs: 23
; NumVgprs: 12
; ScratchSize: 0
; MemoryBound: 0
; FloatMode: 240
; IeeeMode: 1
; LDSByteSize: 8192 bytes/workgroup (compile time only)
; SGPRBlocks: 0
; VGPRBlocks: 0
; NumSGPRsForWavesPerEU: 23
; NumVGPRsForWavesPerEU: 12
; NamedBarCnt: 0
; Occupancy: 16
; WaveLimiterHint : 1
; COMPUTE_PGM_RSRC2:SCRATCH_EN: 0
; COMPUTE_PGM_RSRC2:USER_SGPR: 2
; COMPUTE_PGM_RSRC2:TRAP_HANDLER: 0
; COMPUTE_PGM_RSRC2:TGID_X_EN: 1
; COMPUTE_PGM_RSRC2:TGID_Y_EN: 0
; COMPUTE_PGM_RSRC2:TGID_Z_EN: 0
; COMPUTE_PGM_RSRC2:TIDIG_COMP_CNT: 0
	.section	.text._ZN9rocsparseL41csrmvn_lrb_medium_rows_warp_reduce_kernelILj256ELj32ElifdddEEvbT1_lPT2_S3_jNS_24const_host_device_scalarIT6_EEPKS1_PKS2_PKT3_PKT4_S6_PT5_21rocsparse_index_base_b,"axG",@progbits,_ZN9rocsparseL41csrmvn_lrb_medium_rows_warp_reduce_kernelILj256ELj32ElifdddEEvbT1_lPT2_S3_jNS_24const_host_device_scalarIT6_EEPKS1_PKS2_PKT3_PKT4_S6_PT5_21rocsparse_index_base_b,comdat
	.globl	_ZN9rocsparseL41csrmvn_lrb_medium_rows_warp_reduce_kernelILj256ELj32ElifdddEEvbT1_lPT2_S3_jNS_24const_host_device_scalarIT6_EEPKS1_PKS2_PKT3_PKT4_S6_PT5_21rocsparse_index_base_b ; -- Begin function _ZN9rocsparseL41csrmvn_lrb_medium_rows_warp_reduce_kernelILj256ELj32ElifdddEEvbT1_lPT2_S3_jNS_24const_host_device_scalarIT6_EEPKS1_PKS2_PKT3_PKT4_S6_PT5_21rocsparse_index_base_b
	.p2align	8
	.type	_ZN9rocsparseL41csrmvn_lrb_medium_rows_warp_reduce_kernelILj256ELj32ElifdddEEvbT1_lPT2_S3_jNS_24const_host_device_scalarIT6_EEPKS1_PKS2_PKT3_PKT4_S6_PT5_21rocsparse_index_base_b,@function
_ZN9rocsparseL41csrmvn_lrb_medium_rows_warp_reduce_kernelILj256ELj32ElifdddEEvbT1_lPT2_S3_jNS_24const_host_device_scalarIT6_EEPKS1_PKS2_PKT3_PKT4_S6_PT5_21rocsparse_index_base_b: ; @_ZN9rocsparseL41csrmvn_lrb_medium_rows_warp_reduce_kernelILj256ELj32ElifdddEEvbT1_lPT2_S3_jNS_24const_host_device_scalarIT6_EEPKS1_PKS2_PKT3_PKT4_S6_PT5_21rocsparse_index_base_b
; %bb.0:
	s_clause 0x2
	s_load_b64 s[4:5], s[0:1], 0x68
	s_load_b64 s[6:7], s[0:1], 0x30
	;; [unrolled: 1-line block ×3, first 2 shown]
	s_wait_kmcnt 0x0
	s_bitcmp1_b32 s5, 0
	v_mov_b64_e32 v[4:5], s[6:7]
	s_cselect_b32 s5, -1, 0
	s_delay_alu instid0(SALU_CYCLE_1)
	s_and_b32 vcc_lo, exec_lo, s5
	s_xor_b32 s5, s5, -1
	s_cbranch_vccnz .LBB178_2
; %bb.1:
	v_mov_b32_e32 v1, 0
	flat_load_b64 v[4:5], v1, s[6:7]
.LBB178_2:
	v_mov_b64_e32 v[2:3], s[2:3]
	s_and_not1_b32 vcc_lo, exec_lo, s5
	s_cbranch_vccnz .LBB178_4
; %bb.3:
	s_wait_xcnt 0x0
	v_mov_b32_e32 v1, 0
	flat_load_b64 v[2:3], v1, s[2:3]
.LBB178_4:
	s_wait_loadcnt_dscnt 0x0
	v_cmp_neq_f64_e32 vcc_lo, 0, v[4:5]
	s_delay_alu instid0(VALU_DEP_2) | instskip(SKIP_1) | instid1(SALU_CYCLE_1)
	v_cmp_neq_f64_e64 s2, 1.0, v[2:3]
	s_or_b32 s2, vcc_lo, s2
	s_and_saveexec_b32 s3, s2
	s_cbranch_execz .LBB178_14
; %bb.5:
	s_bfe_u32 s5, ttmp6, 0x4000c
	s_load_b64 s[2:3], s[0:1], 0x10
	s_add_co_i32 s5, s5, 1
	s_and_b32 s6, ttmp6, 15
	s_mul_i32 s5, ttmp9, s5
	s_getreg_b32 s7, hwreg(HW_REG_IB_STS2, 6, 4)
	v_lshrrev_b32_e32 v1, 5, v0
	s_add_co_i32 s6, s6, s5
	s_cmp_eq_u32 s7, 0
	s_cselect_b32 s5, ttmp9, s6
	s_delay_alu instid0(VALU_DEP_1) | instid1(SALU_CYCLE_1)
	v_lshl_or_b32 v6, s5, 3, v1
	s_mov_b32 s5, 0
	s_delay_alu instid0(VALU_DEP_1) | instskip(SKIP_1) | instid1(VALU_DEP_1)
	v_ashrrev_i32_e32 v7, 31, v6
	s_wait_kmcnt 0x0
	v_cmp_gt_i64_e32 vcc_lo, s[2:3], v[6:7]
	s_and_b32 exec_lo, exec_lo, vcc_lo
	s_cbranch_execz .LBB178_14
; %bb.6:
	s_clause 0x1
	s_load_b128 s[8:11], s[0:1], 0x18
	s_load_b32 s2, s[0:1], 0x28
	v_and_b32_e32 v0, 31, v0
	s_wait_kmcnt 0x0
	s_load_b32 s2, s[10:11], s2 offset:0x0 scale_offset
	s_wait_kmcnt 0x0
	v_add_nc_u32_e32 v1, s2, v6
	s_load_b64 s[2:3], s[0:1], 0x38
	global_load_b32 v6, v1, s[8:9] scale_offset
	s_wait_xcnt 0x0
	v_mov_b32_e32 v1, 0
	s_delay_alu instid0(VALU_DEP_1) | instskip(SKIP_3) | instid1(VALU_DEP_1)
	v_sub_nc_u64_e64 v[12:13], v[0:1], s[4:5]
	s_wait_loadcnt 0x0
	v_ashrrev_i32_e32 v7, 31, v6
	s_wait_kmcnt 0x0
	v_lshl_add_u64 v[8:9], v[6:7], 3, s[2:3]
	global_load_b128 v[8:11], v[8:9], off
	s_wait_loadcnt 0x0
	v_sub_nc_u64_e64 v[10:11], v[10:11], s[4:5]
	v_add_nc_u64_e32 v[12:13], v[8:9], v[12:13]
	v_mov_b64_e32 v[8:9], 0
	s_mov_b32 s5, exec_lo
	s_delay_alu instid0(VALU_DEP_2)
	v_cmpx_lt_i64_e64 v[12:13], v[10:11]
	s_cbranch_execz .LBB178_10
; %bb.7:
	s_clause 0x1
	s_load_b128 s[8:11], s[0:1], 0x40
	s_load_b64 s[2:3], s[0:1], 0x50
	v_lshlrev_b64_e32 v[8:9], 2, v[12:13]
	s_mov_b32 s6, 0
	s_wait_kmcnt 0x0
	s_delay_alu instid0(VALU_DEP_1)
	v_add_nc_u64_e32 v[14:15], s[10:11], v[8:9]
	v_add_nc_u64_e32 v[16:17], s[8:9], v[8:9]
	v_mov_b64_e32 v[8:9], 0
.LBB178_8:                              ; =>This Inner Loop Header: Depth=1
	global_load_b32 v1, v[16:17], off
	global_load_b32 v20, v[14:15], off
	v_add_nc_u64_e32 v[12:13], 32, v[12:13]
	s_wait_xcnt 0x0
	v_add_nc_u64_e32 v[14:15], 0x80, v[14:15]
	v_add_nc_u64_e32 v[16:17], 0x80, v[16:17]
	s_delay_alu instid0(VALU_DEP_3)
	v_cmp_ge_i64_e32 vcc_lo, v[12:13], v[10:11]
	s_or_b32 s6, vcc_lo, s6
	s_wait_loadcnt 0x1
	v_subrev_nc_u32_e32 v1, s4, v1
	s_wait_loadcnt 0x0
	v_cvt_f64_f32_e32 v[20:21], v20
	global_load_b64 v[18:19], v1, s[2:3] scale_offset
	v_mul_f64_e32 v[20:21], v[4:5], v[20:21]
	s_wait_loadcnt 0x0
	s_delay_alu instid0(VALU_DEP_1)
	v_fmac_f64_e32 v[8:9], v[20:21], v[18:19]
	s_and_not1_b32 exec_lo, exec_lo, s6
	s_cbranch_execnz .LBB178_8
; %bb.9:
	s_or_b32 exec_lo, exec_lo, s6
.LBB178_10:
	s_delay_alu instid0(SALU_CYCLE_1) | instskip(SKIP_2) | instid1(VALU_DEP_1)
	s_or_b32 exec_lo, exec_lo, s5
	v_mbcnt_lo_u32_b32 v1, -1, 0
	s_load_b64 s[0:1], s[0:1], 0x60
	v_xor_b32_e32 v4, 16, v1
	s_delay_alu instid0(VALU_DEP_1) | instskip(SKIP_1) | instid1(VALU_DEP_1)
	v_cmp_gt_i32_e32 vcc_lo, 32, v4
	v_cndmask_b32_e32 v4, v1, v4, vcc_lo
	v_lshlrev_b32_e32 v5, 2, v4
	ds_bpermute_b32 v4, v5, v8
	ds_bpermute_b32 v5, v5, v9
	s_wait_dscnt 0x0
	v_add_f64_e32 v[4:5], v[8:9], v[4:5]
	v_xor_b32_e32 v8, 8, v1
	s_delay_alu instid0(VALU_DEP_1) | instskip(SKIP_1) | instid1(VALU_DEP_1)
	v_cmp_gt_i32_e32 vcc_lo, 32, v8
	v_cndmask_b32_e32 v8, v1, v8, vcc_lo
	v_lshlrev_b32_e32 v9, 2, v8
	ds_bpermute_b32 v8, v9, v4
	ds_bpermute_b32 v9, v9, v5
	s_wait_dscnt 0x0
	v_add_f64_e32 v[4:5], v[4:5], v[8:9]
	;; [unrolled: 9-line block ×4, first 2 shown]
	v_xor_b32_e32 v8, 1, v1
	s_delay_alu instid0(VALU_DEP_1) | instskip(SKIP_2) | instid1(VALU_DEP_2)
	v_cmp_gt_i32_e32 vcc_lo, 32, v8
	v_cndmask_b32_e32 v1, v1, v8, vcc_lo
	v_cmp_eq_u32_e32 vcc_lo, 31, v0
	v_lshlrev_b32_e32 v1, 2, v1
	ds_bpermute_b32 v8, v1, v4
	ds_bpermute_b32 v9, v1, v5
	s_and_b32 exec_lo, exec_lo, vcc_lo
	s_cbranch_execz .LBB178_14
; %bb.11:
	s_wait_dscnt 0x0
	v_add_f64_e32 v[0:1], v[4:5], v[8:9]
	s_wait_kmcnt 0x0
	v_lshl_add_u64 v[4:5], v[6:7], 3, s[0:1]
	s_mov_b32 s0, exec_lo
	v_cmpx_neq_f64_e32 0, v[2:3]
	s_cbranch_execz .LBB178_13
; %bb.12:
	global_load_b64 v[6:7], v[4:5], off
	s_wait_loadcnt 0x0
	v_fmac_f64_e32 v[0:1], v[2:3], v[6:7]
.LBB178_13:
	s_or_b32 exec_lo, exec_lo, s0
	global_store_b64 v[4:5], v[0:1], off
.LBB178_14:
	s_endpgm
	.section	.rodata,"a",@progbits
	.p2align	6, 0x0
	.amdhsa_kernel _ZN9rocsparseL41csrmvn_lrb_medium_rows_warp_reduce_kernelILj256ELj32ElifdddEEvbT1_lPT2_S3_jNS_24const_host_device_scalarIT6_EEPKS1_PKS2_PKT3_PKT4_S6_PT5_21rocsparse_index_base_b
		.amdhsa_group_segment_fixed_size 0
		.amdhsa_private_segment_fixed_size 0
		.amdhsa_kernarg_size 112
		.amdhsa_user_sgpr_count 2
		.amdhsa_user_sgpr_dispatch_ptr 0
		.amdhsa_user_sgpr_queue_ptr 0
		.amdhsa_user_sgpr_kernarg_segment_ptr 1
		.amdhsa_user_sgpr_dispatch_id 0
		.amdhsa_user_sgpr_kernarg_preload_length 0
		.amdhsa_user_sgpr_kernarg_preload_offset 0
		.amdhsa_user_sgpr_private_segment_size 0
		.amdhsa_wavefront_size32 1
		.amdhsa_uses_dynamic_stack 0
		.amdhsa_enable_private_segment 0
		.amdhsa_system_sgpr_workgroup_id_x 1
		.amdhsa_system_sgpr_workgroup_id_y 0
		.amdhsa_system_sgpr_workgroup_id_z 0
		.amdhsa_system_sgpr_workgroup_info 0
		.amdhsa_system_vgpr_workitem_id 0
		.amdhsa_next_free_vgpr 22
		.amdhsa_next_free_sgpr 12
		.amdhsa_named_barrier_count 0
		.amdhsa_reserve_vcc 1
		.amdhsa_float_round_mode_32 0
		.amdhsa_float_round_mode_16_64 0
		.amdhsa_float_denorm_mode_32 3
		.amdhsa_float_denorm_mode_16_64 3
		.amdhsa_fp16_overflow 0
		.amdhsa_memory_ordered 1
		.amdhsa_forward_progress 1
		.amdhsa_inst_pref_size 7
		.amdhsa_round_robin_scheduling 0
		.amdhsa_exception_fp_ieee_invalid_op 0
		.amdhsa_exception_fp_denorm_src 0
		.amdhsa_exception_fp_ieee_div_zero 0
		.amdhsa_exception_fp_ieee_overflow 0
		.amdhsa_exception_fp_ieee_underflow 0
		.amdhsa_exception_fp_ieee_inexact 0
		.amdhsa_exception_int_div_zero 0
	.end_amdhsa_kernel
	.section	.text._ZN9rocsparseL41csrmvn_lrb_medium_rows_warp_reduce_kernelILj256ELj32ElifdddEEvbT1_lPT2_S3_jNS_24const_host_device_scalarIT6_EEPKS1_PKS2_PKT3_PKT4_S6_PT5_21rocsparse_index_base_b,"axG",@progbits,_ZN9rocsparseL41csrmvn_lrb_medium_rows_warp_reduce_kernelILj256ELj32ElifdddEEvbT1_lPT2_S3_jNS_24const_host_device_scalarIT6_EEPKS1_PKS2_PKT3_PKT4_S6_PT5_21rocsparse_index_base_b,comdat
.Lfunc_end178:
	.size	_ZN9rocsparseL41csrmvn_lrb_medium_rows_warp_reduce_kernelILj256ELj32ElifdddEEvbT1_lPT2_S3_jNS_24const_host_device_scalarIT6_EEPKS1_PKS2_PKT3_PKT4_S6_PT5_21rocsparse_index_base_b, .Lfunc_end178-_ZN9rocsparseL41csrmvn_lrb_medium_rows_warp_reduce_kernelILj256ELj32ElifdddEEvbT1_lPT2_S3_jNS_24const_host_device_scalarIT6_EEPKS1_PKS2_PKT3_PKT4_S6_PT5_21rocsparse_index_base_b
                                        ; -- End function
	.set _ZN9rocsparseL41csrmvn_lrb_medium_rows_warp_reduce_kernelILj256ELj32ElifdddEEvbT1_lPT2_S3_jNS_24const_host_device_scalarIT6_EEPKS1_PKS2_PKT3_PKT4_S6_PT5_21rocsparse_index_base_b.num_vgpr, 22
	.set _ZN9rocsparseL41csrmvn_lrb_medium_rows_warp_reduce_kernelILj256ELj32ElifdddEEvbT1_lPT2_S3_jNS_24const_host_device_scalarIT6_EEPKS1_PKS2_PKT3_PKT4_S6_PT5_21rocsparse_index_base_b.num_agpr, 0
	.set _ZN9rocsparseL41csrmvn_lrb_medium_rows_warp_reduce_kernelILj256ELj32ElifdddEEvbT1_lPT2_S3_jNS_24const_host_device_scalarIT6_EEPKS1_PKS2_PKT3_PKT4_S6_PT5_21rocsparse_index_base_b.numbered_sgpr, 12
	.set _ZN9rocsparseL41csrmvn_lrb_medium_rows_warp_reduce_kernelILj256ELj32ElifdddEEvbT1_lPT2_S3_jNS_24const_host_device_scalarIT6_EEPKS1_PKS2_PKT3_PKT4_S6_PT5_21rocsparse_index_base_b.num_named_barrier, 0
	.set _ZN9rocsparseL41csrmvn_lrb_medium_rows_warp_reduce_kernelILj256ELj32ElifdddEEvbT1_lPT2_S3_jNS_24const_host_device_scalarIT6_EEPKS1_PKS2_PKT3_PKT4_S6_PT5_21rocsparse_index_base_b.private_seg_size, 0
	.set _ZN9rocsparseL41csrmvn_lrb_medium_rows_warp_reduce_kernelILj256ELj32ElifdddEEvbT1_lPT2_S3_jNS_24const_host_device_scalarIT6_EEPKS1_PKS2_PKT3_PKT4_S6_PT5_21rocsparse_index_base_b.uses_vcc, 1
	.set _ZN9rocsparseL41csrmvn_lrb_medium_rows_warp_reduce_kernelILj256ELj32ElifdddEEvbT1_lPT2_S3_jNS_24const_host_device_scalarIT6_EEPKS1_PKS2_PKT3_PKT4_S6_PT5_21rocsparse_index_base_b.uses_flat_scratch, 0
	.set _ZN9rocsparseL41csrmvn_lrb_medium_rows_warp_reduce_kernelILj256ELj32ElifdddEEvbT1_lPT2_S3_jNS_24const_host_device_scalarIT6_EEPKS1_PKS2_PKT3_PKT4_S6_PT5_21rocsparse_index_base_b.has_dyn_sized_stack, 0
	.set _ZN9rocsparseL41csrmvn_lrb_medium_rows_warp_reduce_kernelILj256ELj32ElifdddEEvbT1_lPT2_S3_jNS_24const_host_device_scalarIT6_EEPKS1_PKS2_PKT3_PKT4_S6_PT5_21rocsparse_index_base_b.has_recursion, 0
	.set _ZN9rocsparseL41csrmvn_lrb_medium_rows_warp_reduce_kernelILj256ELj32ElifdddEEvbT1_lPT2_S3_jNS_24const_host_device_scalarIT6_EEPKS1_PKS2_PKT3_PKT4_S6_PT5_21rocsparse_index_base_b.has_indirect_call, 0
	.section	.AMDGPU.csdata,"",@progbits
; Kernel info:
; codeLenInByte = 868
; TotalNumSgprs: 14
; NumVgprs: 22
; ScratchSize: 0
; MemoryBound: 0
; FloatMode: 240
; IeeeMode: 1
; LDSByteSize: 0 bytes/workgroup (compile time only)
; SGPRBlocks: 0
; VGPRBlocks: 1
; NumSGPRsForWavesPerEU: 14
; NumVGPRsForWavesPerEU: 22
; NamedBarCnt: 0
; Occupancy: 16
; WaveLimiterHint : 1
; COMPUTE_PGM_RSRC2:SCRATCH_EN: 0
; COMPUTE_PGM_RSRC2:USER_SGPR: 2
; COMPUTE_PGM_RSRC2:TRAP_HANDLER: 0
; COMPUTE_PGM_RSRC2:TGID_X_EN: 1
; COMPUTE_PGM_RSRC2:TGID_Y_EN: 0
; COMPUTE_PGM_RSRC2:TGID_Z_EN: 0
; COMPUTE_PGM_RSRC2:TIDIG_COMP_CNT: 0
	.section	.text._ZN9rocsparseL41csrmvn_lrb_medium_rows_warp_reduce_kernelILj256ELj64ElifdddEEvbT1_lPT2_S3_jNS_24const_host_device_scalarIT6_EEPKS1_PKS2_PKT3_PKT4_S6_PT5_21rocsparse_index_base_b,"axG",@progbits,_ZN9rocsparseL41csrmvn_lrb_medium_rows_warp_reduce_kernelILj256ELj64ElifdddEEvbT1_lPT2_S3_jNS_24const_host_device_scalarIT6_EEPKS1_PKS2_PKT3_PKT4_S6_PT5_21rocsparse_index_base_b,comdat
	.globl	_ZN9rocsparseL41csrmvn_lrb_medium_rows_warp_reduce_kernelILj256ELj64ElifdddEEvbT1_lPT2_S3_jNS_24const_host_device_scalarIT6_EEPKS1_PKS2_PKT3_PKT4_S6_PT5_21rocsparse_index_base_b ; -- Begin function _ZN9rocsparseL41csrmvn_lrb_medium_rows_warp_reduce_kernelILj256ELj64ElifdddEEvbT1_lPT2_S3_jNS_24const_host_device_scalarIT6_EEPKS1_PKS2_PKT3_PKT4_S6_PT5_21rocsparse_index_base_b
	.p2align	8
	.type	_ZN9rocsparseL41csrmvn_lrb_medium_rows_warp_reduce_kernelILj256ELj64ElifdddEEvbT1_lPT2_S3_jNS_24const_host_device_scalarIT6_EEPKS1_PKS2_PKT3_PKT4_S6_PT5_21rocsparse_index_base_b,@function
_ZN9rocsparseL41csrmvn_lrb_medium_rows_warp_reduce_kernelILj256ELj64ElifdddEEvbT1_lPT2_S3_jNS_24const_host_device_scalarIT6_EEPKS1_PKS2_PKT3_PKT4_S6_PT5_21rocsparse_index_base_b: ; @_ZN9rocsparseL41csrmvn_lrb_medium_rows_warp_reduce_kernelILj256ELj64ElifdddEEvbT1_lPT2_S3_jNS_24const_host_device_scalarIT6_EEPKS1_PKS2_PKT3_PKT4_S6_PT5_21rocsparse_index_base_b
; %bb.0:
	s_clause 0x2
	s_load_b64 s[4:5], s[0:1], 0x68
	s_load_b64 s[6:7], s[0:1], 0x30
	;; [unrolled: 1-line block ×3, first 2 shown]
	s_wait_kmcnt 0x0
	s_bitcmp1_b32 s5, 0
	v_mov_b64_e32 v[6:7], s[6:7]
	s_cselect_b32 s5, -1, 0
	s_delay_alu instid0(SALU_CYCLE_1)
	s_and_b32 vcc_lo, exec_lo, s5
	s_xor_b32 s5, s5, -1
	s_cbranch_vccnz .LBB179_2
; %bb.1:
	v_mov_b32_e32 v1, 0
	flat_load_b64 v[6:7], v1, s[6:7]
.LBB179_2:
	v_mov_b64_e32 v[2:3], s[2:3]
	s_and_not1_b32 vcc_lo, exec_lo, s5
	s_cbranch_vccnz .LBB179_4
; %bb.3:
	s_wait_xcnt 0x0
	v_mov_b32_e32 v1, 0
	flat_load_b64 v[2:3], v1, s[2:3]
.LBB179_4:
	s_wait_loadcnt_dscnt 0x0
	v_cmp_neq_f64_e32 vcc_lo, 0, v[6:7]
	s_delay_alu instid0(VALU_DEP_2) | instskip(SKIP_1) | instid1(SALU_CYCLE_1)
	v_cmp_neq_f64_e64 s2, 1.0, v[2:3]
	s_or_b32 s2, vcc_lo, s2
	s_and_saveexec_b32 s3, s2
	s_cbranch_execz .LBB179_14
; %bb.5:
	s_bfe_u32 s5, ttmp6, 0x4000c
	s_load_b64 s[2:3], s[0:1], 0x10
	s_add_co_i32 s5, s5, 1
	s_and_b32 s6, ttmp6, 15
	s_mul_i32 s5, ttmp9, s5
	s_getreg_b32 s7, hwreg(HW_REG_IB_STS2, 6, 4)
	v_lshrrev_b32_e32 v1, 6, v0
	s_add_co_i32 s6, s6, s5
	s_cmp_eq_u32 s7, 0
	s_cselect_b32 s5, ttmp9, s6
	s_delay_alu instid0(VALU_DEP_1) | instid1(SALU_CYCLE_1)
	v_lshl_or_b32 v4, s5, 2, v1
	s_mov_b32 s5, 0
	s_delay_alu instid0(VALU_DEP_1) | instskip(SKIP_1) | instid1(VALU_DEP_1)
	v_ashrrev_i32_e32 v5, 31, v4
	s_wait_kmcnt 0x0
	v_cmp_gt_i64_e32 vcc_lo, s[2:3], v[4:5]
	s_and_b32 exec_lo, exec_lo, vcc_lo
	s_cbranch_execz .LBB179_14
; %bb.6:
	s_clause 0x1
	s_load_b128 s[8:11], s[0:1], 0x18
	s_load_b32 s2, s[0:1], 0x28
	v_and_b32_e32 v0, 63, v0
	s_wait_kmcnt 0x0
	s_load_b32 s2, s[10:11], s2 offset:0x0 scale_offset
	s_wait_kmcnt 0x0
	v_add_nc_u32_e32 v1, s2, v4
	s_load_b64 s[2:3], s[0:1], 0x38
	global_load_b32 v4, v1, s[8:9] scale_offset
	s_wait_xcnt 0x0
	v_mov_b32_e32 v1, 0
	s_delay_alu instid0(VALU_DEP_1) | instskip(SKIP_3) | instid1(VALU_DEP_1)
	v_sub_nc_u64_e64 v[12:13], v[0:1], s[4:5]
	s_wait_loadcnt 0x0
	v_ashrrev_i32_e32 v5, 31, v4
	s_wait_kmcnt 0x0
	v_lshl_add_u64 v[8:9], v[4:5], 3, s[2:3]
	global_load_b128 v[8:11], v[8:9], off
	s_wait_loadcnt 0x0
	v_sub_nc_u64_e64 v[10:11], v[10:11], s[4:5]
	v_add_nc_u64_e32 v[12:13], v[8:9], v[12:13]
	v_mov_b64_e32 v[8:9], 0
	s_mov_b32 s5, exec_lo
	s_delay_alu instid0(VALU_DEP_2)
	v_cmpx_lt_i64_e64 v[12:13], v[10:11]
	s_cbranch_execz .LBB179_10
; %bb.7:
	s_clause 0x1
	s_load_b128 s[8:11], s[0:1], 0x40
	s_load_b64 s[2:3], s[0:1], 0x50
	v_lshlrev_b64_e32 v[8:9], 2, v[12:13]
	s_mov_b32 s6, 0
	s_wait_kmcnt 0x0
	s_delay_alu instid0(VALU_DEP_1)
	v_add_nc_u64_e32 v[14:15], s[10:11], v[8:9]
	v_add_nc_u64_e32 v[16:17], s[8:9], v[8:9]
	v_mov_b64_e32 v[8:9], 0
.LBB179_8:                              ; =>This Inner Loop Header: Depth=1
	global_load_b32 v1, v[16:17], off
	global_load_b32 v20, v[14:15], off
	v_add_nc_u64_e32 v[12:13], 64, v[12:13]
	s_wait_xcnt 0x0
	v_add_nc_u64_e32 v[14:15], 0x100, v[14:15]
	v_add_nc_u64_e32 v[16:17], 0x100, v[16:17]
	s_delay_alu instid0(VALU_DEP_3)
	v_cmp_ge_i64_e32 vcc_lo, v[12:13], v[10:11]
	s_or_b32 s6, vcc_lo, s6
	s_wait_loadcnt 0x1
	v_subrev_nc_u32_e32 v1, s4, v1
	s_wait_loadcnt 0x0
	v_cvt_f64_f32_e32 v[20:21], v20
	global_load_b64 v[18:19], v1, s[2:3] scale_offset
	v_mul_f64_e32 v[20:21], v[6:7], v[20:21]
	s_wait_loadcnt 0x0
	s_delay_alu instid0(VALU_DEP_1)
	v_fmac_f64_e32 v[8:9], v[20:21], v[18:19]
	s_and_not1_b32 exec_lo, exec_lo, s6
	s_cbranch_execnz .LBB179_8
; %bb.9:
	s_or_b32 exec_lo, exec_lo, s6
.LBB179_10:
	s_delay_alu instid0(SALU_CYCLE_1) | instskip(SKIP_2) | instid1(VALU_DEP_1)
	s_or_b32 exec_lo, exec_lo, s5
	v_mbcnt_lo_u32_b32 v1, -1, 0
	s_load_b64 s[0:1], s[0:1], 0x60
	v_or_b32_e32 v6, 32, v1
	s_delay_alu instid0(VALU_DEP_1) | instskip(SKIP_1) | instid1(VALU_DEP_1)
	v_cmp_gt_i32_e32 vcc_lo, 32, v6
	v_cndmask_b32_e32 v6, v1, v6, vcc_lo
	v_lshlrev_b32_e32 v7, 2, v6
	ds_bpermute_b32 v6, v7, v8
	ds_bpermute_b32 v7, v7, v9
	s_wait_dscnt 0x0
	v_dual_add_f64 v[6:7], v[8:9], v[6:7] :: v_dual_bitop2_b32 v8, 16, v1 bitop3:0x14
	s_delay_alu instid0(VALU_DEP_1) | instskip(SKIP_1) | instid1(VALU_DEP_1)
	v_cmp_gt_i32_e32 vcc_lo, 32, v8
	v_cndmask_b32_e32 v8, v1, v8, vcc_lo
	v_lshlrev_b32_e32 v9, 2, v8
	ds_bpermute_b32 v8, v9, v6
	ds_bpermute_b32 v9, v9, v7
	s_wait_dscnt 0x0
	v_add_f64_e32 v[6:7], v[6:7], v[8:9]
	v_xor_b32_e32 v8, 8, v1
	s_delay_alu instid0(VALU_DEP_1) | instskip(SKIP_1) | instid1(VALU_DEP_1)
	v_cmp_gt_i32_e32 vcc_lo, 32, v8
	v_cndmask_b32_e32 v8, v1, v8, vcc_lo
	v_lshlrev_b32_e32 v9, 2, v8
	ds_bpermute_b32 v8, v9, v6
	ds_bpermute_b32 v9, v9, v7
	s_wait_dscnt 0x0
	v_add_f64_e32 v[6:7], v[6:7], v[8:9]
	v_xor_b32_e32 v8, 4, v1
	;; [unrolled: 9-line block ×4, first 2 shown]
	s_delay_alu instid0(VALU_DEP_1) | instskip(SKIP_2) | instid1(VALU_DEP_2)
	v_cmp_gt_i32_e32 vcc_lo, 32, v8
	v_cndmask_b32_e32 v1, v1, v8, vcc_lo
	v_cmp_eq_u32_e32 vcc_lo, 63, v0
	v_lshlrev_b32_e32 v1, 2, v1
	ds_bpermute_b32 v8, v1, v6
	ds_bpermute_b32 v9, v1, v7
	s_and_b32 exec_lo, exec_lo, vcc_lo
	s_cbranch_execz .LBB179_14
; %bb.11:
	s_wait_dscnt 0x0
	v_add_f64_e32 v[0:1], v[6:7], v[8:9]
	s_wait_kmcnt 0x0
	v_lshl_add_u64 v[4:5], v[4:5], 3, s[0:1]
	s_mov_b32 s0, exec_lo
	v_cmpx_neq_f64_e32 0, v[2:3]
	s_cbranch_execz .LBB179_13
; %bb.12:
	global_load_b64 v[6:7], v[4:5], off
	s_wait_loadcnt 0x0
	v_fmac_f64_e32 v[0:1], v[2:3], v[6:7]
.LBB179_13:
	s_or_b32 exec_lo, exec_lo, s0
	global_store_b64 v[4:5], v[0:1], off
.LBB179_14:
	s_endpgm
	.section	.rodata,"a",@progbits
	.p2align	6, 0x0
	.amdhsa_kernel _ZN9rocsparseL41csrmvn_lrb_medium_rows_warp_reduce_kernelILj256ELj64ElifdddEEvbT1_lPT2_S3_jNS_24const_host_device_scalarIT6_EEPKS1_PKS2_PKT3_PKT4_S6_PT5_21rocsparse_index_base_b
		.amdhsa_group_segment_fixed_size 0
		.amdhsa_private_segment_fixed_size 0
		.amdhsa_kernarg_size 112
		.amdhsa_user_sgpr_count 2
		.amdhsa_user_sgpr_dispatch_ptr 0
		.amdhsa_user_sgpr_queue_ptr 0
		.amdhsa_user_sgpr_kernarg_segment_ptr 1
		.amdhsa_user_sgpr_dispatch_id 0
		.amdhsa_user_sgpr_kernarg_preload_length 0
		.amdhsa_user_sgpr_kernarg_preload_offset 0
		.amdhsa_user_sgpr_private_segment_size 0
		.amdhsa_wavefront_size32 1
		.amdhsa_uses_dynamic_stack 0
		.amdhsa_enable_private_segment 0
		.amdhsa_system_sgpr_workgroup_id_x 1
		.amdhsa_system_sgpr_workgroup_id_y 0
		.amdhsa_system_sgpr_workgroup_id_z 0
		.amdhsa_system_sgpr_workgroup_info 0
		.amdhsa_system_vgpr_workitem_id 0
		.amdhsa_next_free_vgpr 22
		.amdhsa_next_free_sgpr 12
		.amdhsa_named_barrier_count 0
		.amdhsa_reserve_vcc 1
		.amdhsa_float_round_mode_32 0
		.amdhsa_float_round_mode_16_64 0
		.amdhsa_float_denorm_mode_32 3
		.amdhsa_float_denorm_mode_16_64 3
		.amdhsa_fp16_overflow 0
		.amdhsa_memory_ordered 1
		.amdhsa_forward_progress 1
		.amdhsa_inst_pref_size 8
		.amdhsa_round_robin_scheduling 0
		.amdhsa_exception_fp_ieee_invalid_op 0
		.amdhsa_exception_fp_denorm_src 0
		.amdhsa_exception_fp_ieee_div_zero 0
		.amdhsa_exception_fp_ieee_overflow 0
		.amdhsa_exception_fp_ieee_underflow 0
		.amdhsa_exception_fp_ieee_inexact 0
		.amdhsa_exception_int_div_zero 0
	.end_amdhsa_kernel
	.section	.text._ZN9rocsparseL41csrmvn_lrb_medium_rows_warp_reduce_kernelILj256ELj64ElifdddEEvbT1_lPT2_S3_jNS_24const_host_device_scalarIT6_EEPKS1_PKS2_PKT3_PKT4_S6_PT5_21rocsparse_index_base_b,"axG",@progbits,_ZN9rocsparseL41csrmvn_lrb_medium_rows_warp_reduce_kernelILj256ELj64ElifdddEEvbT1_lPT2_S3_jNS_24const_host_device_scalarIT6_EEPKS1_PKS2_PKT3_PKT4_S6_PT5_21rocsparse_index_base_b,comdat
.Lfunc_end179:
	.size	_ZN9rocsparseL41csrmvn_lrb_medium_rows_warp_reduce_kernelILj256ELj64ElifdddEEvbT1_lPT2_S3_jNS_24const_host_device_scalarIT6_EEPKS1_PKS2_PKT3_PKT4_S6_PT5_21rocsparse_index_base_b, .Lfunc_end179-_ZN9rocsparseL41csrmvn_lrb_medium_rows_warp_reduce_kernelILj256ELj64ElifdddEEvbT1_lPT2_S3_jNS_24const_host_device_scalarIT6_EEPKS1_PKS2_PKT3_PKT4_S6_PT5_21rocsparse_index_base_b
                                        ; -- End function
	.set _ZN9rocsparseL41csrmvn_lrb_medium_rows_warp_reduce_kernelILj256ELj64ElifdddEEvbT1_lPT2_S3_jNS_24const_host_device_scalarIT6_EEPKS1_PKS2_PKT3_PKT4_S6_PT5_21rocsparse_index_base_b.num_vgpr, 22
	.set _ZN9rocsparseL41csrmvn_lrb_medium_rows_warp_reduce_kernelILj256ELj64ElifdddEEvbT1_lPT2_S3_jNS_24const_host_device_scalarIT6_EEPKS1_PKS2_PKT3_PKT4_S6_PT5_21rocsparse_index_base_b.num_agpr, 0
	.set _ZN9rocsparseL41csrmvn_lrb_medium_rows_warp_reduce_kernelILj256ELj64ElifdddEEvbT1_lPT2_S3_jNS_24const_host_device_scalarIT6_EEPKS1_PKS2_PKT3_PKT4_S6_PT5_21rocsparse_index_base_b.numbered_sgpr, 12
	.set _ZN9rocsparseL41csrmvn_lrb_medium_rows_warp_reduce_kernelILj256ELj64ElifdddEEvbT1_lPT2_S3_jNS_24const_host_device_scalarIT6_EEPKS1_PKS2_PKT3_PKT4_S6_PT5_21rocsparse_index_base_b.num_named_barrier, 0
	.set _ZN9rocsparseL41csrmvn_lrb_medium_rows_warp_reduce_kernelILj256ELj64ElifdddEEvbT1_lPT2_S3_jNS_24const_host_device_scalarIT6_EEPKS1_PKS2_PKT3_PKT4_S6_PT5_21rocsparse_index_base_b.private_seg_size, 0
	.set _ZN9rocsparseL41csrmvn_lrb_medium_rows_warp_reduce_kernelILj256ELj64ElifdddEEvbT1_lPT2_S3_jNS_24const_host_device_scalarIT6_EEPKS1_PKS2_PKT3_PKT4_S6_PT5_21rocsparse_index_base_b.uses_vcc, 1
	.set _ZN9rocsparseL41csrmvn_lrb_medium_rows_warp_reduce_kernelILj256ELj64ElifdddEEvbT1_lPT2_S3_jNS_24const_host_device_scalarIT6_EEPKS1_PKS2_PKT3_PKT4_S6_PT5_21rocsparse_index_base_b.uses_flat_scratch, 0
	.set _ZN9rocsparseL41csrmvn_lrb_medium_rows_warp_reduce_kernelILj256ELj64ElifdddEEvbT1_lPT2_S3_jNS_24const_host_device_scalarIT6_EEPKS1_PKS2_PKT3_PKT4_S6_PT5_21rocsparse_index_base_b.has_dyn_sized_stack, 0
	.set _ZN9rocsparseL41csrmvn_lrb_medium_rows_warp_reduce_kernelILj256ELj64ElifdddEEvbT1_lPT2_S3_jNS_24const_host_device_scalarIT6_EEPKS1_PKS2_PKT3_PKT4_S6_PT5_21rocsparse_index_base_b.has_recursion, 0
	.set _ZN9rocsparseL41csrmvn_lrb_medium_rows_warp_reduce_kernelILj256ELj64ElifdddEEvbT1_lPT2_S3_jNS_24const_host_device_scalarIT6_EEPKS1_PKS2_PKT3_PKT4_S6_PT5_21rocsparse_index_base_b.has_indirect_call, 0
	.section	.AMDGPU.csdata,"",@progbits
; Kernel info:
; codeLenInByte = 916
; TotalNumSgprs: 14
; NumVgprs: 22
; ScratchSize: 0
; MemoryBound: 0
; FloatMode: 240
; IeeeMode: 1
; LDSByteSize: 0 bytes/workgroup (compile time only)
; SGPRBlocks: 0
; VGPRBlocks: 1
; NumSGPRsForWavesPerEU: 14
; NumVGPRsForWavesPerEU: 22
; NamedBarCnt: 0
; Occupancy: 16
; WaveLimiterHint : 1
; COMPUTE_PGM_RSRC2:SCRATCH_EN: 0
; COMPUTE_PGM_RSRC2:USER_SGPR: 2
; COMPUTE_PGM_RSRC2:TRAP_HANDLER: 0
; COMPUTE_PGM_RSRC2:TGID_X_EN: 1
; COMPUTE_PGM_RSRC2:TGID_Y_EN: 0
; COMPUTE_PGM_RSRC2:TGID_Z_EN: 0
; COMPUTE_PGM_RSRC2:TIDIG_COMP_CNT: 0
	.section	.text._ZN9rocsparseL29csrmvn_lrb_medium_rows_kernelILj256ElifdddEEvbT0_PT1_S3_jNS_24const_host_device_scalarIT5_EEPKS1_PKS2_PKT2_PKT3_S6_PT4_21rocsparse_index_base_b,"axG",@progbits,_ZN9rocsparseL29csrmvn_lrb_medium_rows_kernelILj256ElifdddEEvbT0_PT1_S3_jNS_24const_host_device_scalarIT5_EEPKS1_PKS2_PKT2_PKT3_S6_PT4_21rocsparse_index_base_b,comdat
	.globl	_ZN9rocsparseL29csrmvn_lrb_medium_rows_kernelILj256ElifdddEEvbT0_PT1_S3_jNS_24const_host_device_scalarIT5_EEPKS1_PKS2_PKT2_PKT3_S6_PT4_21rocsparse_index_base_b ; -- Begin function _ZN9rocsparseL29csrmvn_lrb_medium_rows_kernelILj256ElifdddEEvbT0_PT1_S3_jNS_24const_host_device_scalarIT5_EEPKS1_PKS2_PKT2_PKT3_S6_PT4_21rocsparse_index_base_b
	.p2align	8
	.type	_ZN9rocsparseL29csrmvn_lrb_medium_rows_kernelILj256ElifdddEEvbT0_PT1_S3_jNS_24const_host_device_scalarIT5_EEPKS1_PKS2_PKT2_PKT3_S6_PT4_21rocsparse_index_base_b,@function
_ZN9rocsparseL29csrmvn_lrb_medium_rows_kernelILj256ElifdddEEvbT0_PT1_S3_jNS_24const_host_device_scalarIT5_EEPKS1_PKS2_PKT2_PKT3_S6_PT4_21rocsparse_index_base_b: ; @_ZN9rocsparseL29csrmvn_lrb_medium_rows_kernelILj256ElifdddEEvbT0_PT1_S3_jNS_24const_host_device_scalarIT5_EEPKS1_PKS2_PKT2_PKT3_S6_PT4_21rocsparse_index_base_b
; %bb.0:
	s_clause 0x2
	s_load_b64 s[4:5], s[0:1], 0x60
	s_load_b64 s[6:7], s[0:1], 0x28
	;; [unrolled: 1-line block ×3, first 2 shown]
	s_wait_kmcnt 0x0
	s_bitcmp1_b32 s5, 0
	v_mov_b64_e32 v[4:5], s[6:7]
	s_cselect_b32 s5, -1, 0
	s_delay_alu instid0(SALU_CYCLE_1)
	s_and_b32 vcc_lo, exec_lo, s5
	s_xor_b32 s5, s5, -1
	s_cbranch_vccnz .LBB180_2
; %bb.1:
	v_mov_b32_e32 v1, 0
	flat_load_b64 v[4:5], v1, s[6:7]
.LBB180_2:
	v_mov_b64_e32 v[2:3], s[2:3]
	s_and_not1_b32 vcc_lo, exec_lo, s5
	s_cbranch_vccnz .LBB180_4
; %bb.3:
	s_wait_xcnt 0x0
	v_mov_b32_e32 v1, 0
	flat_load_b64 v[2:3], v1, s[2:3]
.LBB180_4:
	s_wait_loadcnt_dscnt 0x0
	v_cmp_neq_f64_e32 vcc_lo, 0, v[4:5]
	s_delay_alu instid0(VALU_DEP_2) | instskip(SKIP_1) | instid1(SALU_CYCLE_1)
	v_cmp_neq_f64_e64 s2, 1.0, v[2:3]
	s_or_b32 s2, vcc_lo, s2
	s_and_saveexec_b32 s3, s2
	s_cbranch_execz .LBB180_29
; %bb.5:
	s_clause 0x1
	s_load_b128 s[8:11], s[0:1], 0x10
	s_load_b32 s2, s[0:1], 0x20
	s_bfe_u32 s3, ttmp6, 0x4000c
	s_and_b32 s5, ttmp6, 15
	s_add_co_i32 s3, s3, 1
	s_getreg_b32 s6, hwreg(HW_REG_IB_STS2, 6, 4)
	s_mul_i32 s3, ttmp9, s3
	v_mov_b32_e32 v1, 0
	s_add_co_i32 s5, s5, s3
	s_cmp_eq_u32 s6, 0
	s_cselect_b32 s3, ttmp9, s5
	s_mov_b32 s5, 0
	s_delay_alu instid0(SALU_CYCLE_1) | instskip(SKIP_4) | instid1(SALU_CYCLE_1)
	v_sub_nc_u64_e64 v[6:7], v[0:1], s[4:5]
	s_wait_kmcnt 0x0
	s_load_b32 s2, s[10:11], s2 offset:0x0 scale_offset
	s_wait_kmcnt 0x0
	s_add_co_i32 s2, s2, s3
	s_ashr_i32 s3, s2, 31
	s_delay_alu instid0(SALU_CYCLE_1) | instskip(NEXT) | instid1(SALU_CYCLE_1)
	s_lshl_b64 s[2:3], s[2:3], 2
	s_add_nc_u64 s[2:3], s[8:9], s[2:3]
	s_load_b32 s6, s[2:3], 0x0
	s_load_b64 s[8:9], s[0:1], 0x30
	s_wait_kmcnt 0x0
	s_ashr_i32 s7, s6, 31
	s_delay_alu instid0(SALU_CYCLE_1) | instskip(NEXT) | instid1(SALU_CYCLE_1)
	s_lshl_b64 s[2:3], s[6:7], 3
	s_add_nc_u64 s[6:7], s[8:9], s[2:3]
	s_load_b128 s[8:11], s[6:7], 0x0
	s_wait_kmcnt 0x0
	v_add_nc_u64_e32 v[8:9], s[8:9], v[6:7]
	v_mov_b64_e32 v[6:7], 0
	s_sub_nc_u64 s[6:7], s[10:11], s[4:5]
	s_mov_b32 s10, exec_lo
	s_delay_alu instid0(VALU_DEP_2)
	v_cmpx_gt_i64_e64 s[6:7], v[8:9]
	s_cbranch_execz .LBB180_9
; %bb.6:
	s_clause 0x1
	s_load_b128 s[12:15], s[0:1], 0x38
	s_load_b64 s[8:9], s[0:1], 0x48
	v_lshlrev_b64_e32 v[6:7], 2, v[8:9]
	s_wait_kmcnt 0x0
	s_delay_alu instid0(VALU_DEP_1)
	v_add_nc_u64_e32 v[10:11], s[14:15], v[6:7]
	v_add_nc_u64_e32 v[12:13], s[12:13], v[6:7]
	v_mov_b64_e32 v[6:7], 0
.LBB180_7:                              ; =>This Inner Loop Header: Depth=1
	global_load_b32 v1, v[12:13], off
	global_load_b32 v16, v[10:11], off
	v_add_nc_u64_e32 v[8:9], 0x100, v[8:9]
	s_wait_xcnt 0x0
	v_add_nc_u64_e32 v[10:11], 0x400, v[10:11]
	v_add_nc_u64_e32 v[12:13], 0x400, v[12:13]
	s_delay_alu instid0(VALU_DEP_3)
	v_cmp_le_i64_e32 vcc_lo, s[6:7], v[8:9]
	s_or_b32 s5, vcc_lo, s5
	s_wait_loadcnt 0x1
	v_subrev_nc_u32_e32 v1, s4, v1
	s_wait_loadcnt 0x0
	v_cvt_f64_f32_e32 v[16:17], v16
	global_load_b64 v[14:15], v1, s[8:9] scale_offset
	v_mul_f64_e32 v[16:17], v[4:5], v[16:17]
	s_wait_loadcnt 0x0
	s_delay_alu instid0(VALU_DEP_1)
	v_fmac_f64_e32 v[6:7], v[16:17], v[14:15]
	s_and_not1_b32 exec_lo, exec_lo, s5
	s_cbranch_execnz .LBB180_7
; %bb.8:
	s_or_b32 exec_lo, exec_lo, s5
.LBB180_9:
	s_delay_alu instid0(SALU_CYCLE_1)
	s_or_b32 exec_lo, exec_lo, s10
	s_load_b64 s[0:1], s[0:1], 0x58
	v_lshlrev_b32_e32 v1, 3, v0
	s_mov_b32 s4, exec_lo
	ds_store_b64 v1, v[6:7]
	s_wait_dscnt 0x0
	s_barrier_signal -1
	s_barrier_wait -1
	v_cmpx_gt_u32_e32 0x80, v0
	s_cbranch_execz .LBB180_11
; %bb.10:
	ds_load_2addr_stride64_b64 v[4:7], v1 offset1:2
	s_wait_dscnt 0x0
	v_add_f64_e32 v[4:5], v[4:5], v[6:7]
	ds_store_b64 v1, v[4:5]
.LBB180_11:
	s_or_b32 exec_lo, exec_lo, s4
	s_delay_alu instid0(SALU_CYCLE_1)
	s_mov_b32 s4, exec_lo
	s_wait_dscnt 0x0
	s_barrier_signal -1
	s_barrier_wait -1
	v_cmpx_gt_u32_e32 64, v0
	s_cbranch_execz .LBB180_13
; %bb.12:
	ds_load_2addr_stride64_b64 v[4:7], v1 offset1:1
	s_wait_dscnt 0x0
	v_add_f64_e32 v[4:5], v[4:5], v[6:7]
	ds_store_b64 v1, v[4:5]
.LBB180_13:
	s_or_b32 exec_lo, exec_lo, s4
	s_delay_alu instid0(SALU_CYCLE_1)
	s_mov_b32 s4, exec_lo
	s_wait_dscnt 0x0
	s_barrier_signal -1
	s_barrier_wait -1
	v_cmpx_gt_u32_e32 32, v0
	s_cbranch_execz .LBB180_15
; %bb.14:
	ds_load_2addr_b64 v[4:7], v1 offset1:32
	s_wait_dscnt 0x0
	v_add_f64_e32 v[4:5], v[4:5], v[6:7]
	ds_store_b64 v1, v[4:5]
.LBB180_15:
	s_or_b32 exec_lo, exec_lo, s4
	s_delay_alu instid0(SALU_CYCLE_1)
	s_mov_b32 s4, exec_lo
	s_wait_dscnt 0x0
	s_barrier_signal -1
	s_barrier_wait -1
	v_cmpx_gt_u32_e32 16, v0
	s_cbranch_execz .LBB180_17
; %bb.16:
	ds_load_2addr_b64 v[4:7], v1 offset1:16
	s_wait_dscnt 0x0
	v_add_f64_e32 v[4:5], v[4:5], v[6:7]
	ds_store_b64 v1, v[4:5]
.LBB180_17:
	;; [unrolled: 14-line block ×5, first 2 shown]
	s_or_b32 exec_lo, exec_lo, s4
	v_cmp_eq_u32_e32 vcc_lo, 0, v0
	s_wait_dscnt 0x0
	s_barrier_signal -1
	s_barrier_wait -1
	s_and_saveexec_b32 s4, vcc_lo
	s_cbranch_execz .LBB180_25
; %bb.24:
	v_mov_b32_e32 v8, 0
	ds_load_b128 v[4:7], v8
	s_wait_dscnt 0x0
	v_add_f64_e32 v[0:1], v[4:5], v[6:7]
	ds_store_b64 v8, v[0:1]
.LBB180_25:
	s_or_b32 exec_lo, exec_lo, s4
	s_wait_dscnt 0x0
	s_barrier_signal -1
	s_barrier_wait -1
	s_and_b32 exec_lo, exec_lo, vcc_lo
	s_cbranch_execz .LBB180_29
; %bb.26:
	v_mov_b32_e32 v4, 0
	s_mov_b32 s4, exec_lo
	ds_load_b64 v[0:1], v4
	v_cmpx_neq_f64_e32 0, v[2:3]
	s_cbranch_execz .LBB180_28
; %bb.27:
	s_wait_kmcnt 0x0
	s_add_nc_u64 s[6:7], s[0:1], s[2:3]
	s_load_b64 s[6:7], s[6:7], 0x0
	s_wait_dscnt 0x0
	s_wait_kmcnt 0x0
	v_fmac_f64_e32 v[0:1], s[6:7], v[2:3]
.LBB180_28:
	s_or_b32 exec_lo, exec_lo, s4
	s_wait_kmcnt 0x0
	s_add_nc_u64 s[0:1], s[0:1], s[2:3]
	s_wait_dscnt 0x0
	global_store_b64 v4, v[0:1], s[0:1]
.LBB180_29:
	s_endpgm
	.section	.rodata,"a",@progbits
	.p2align	6, 0x0
	.amdhsa_kernel _ZN9rocsparseL29csrmvn_lrb_medium_rows_kernelILj256ElifdddEEvbT0_PT1_S3_jNS_24const_host_device_scalarIT5_EEPKS1_PKS2_PKT2_PKT3_S6_PT4_21rocsparse_index_base_b
		.amdhsa_group_segment_fixed_size 2048
		.amdhsa_private_segment_fixed_size 0
		.amdhsa_kernarg_size 104
		.amdhsa_user_sgpr_count 2
		.amdhsa_user_sgpr_dispatch_ptr 0
		.amdhsa_user_sgpr_queue_ptr 0
		.amdhsa_user_sgpr_kernarg_segment_ptr 1
		.amdhsa_user_sgpr_dispatch_id 0
		.amdhsa_user_sgpr_kernarg_preload_length 0
		.amdhsa_user_sgpr_kernarg_preload_offset 0
		.amdhsa_user_sgpr_private_segment_size 0
		.amdhsa_wavefront_size32 1
		.amdhsa_uses_dynamic_stack 0
		.amdhsa_enable_private_segment 0
		.amdhsa_system_sgpr_workgroup_id_x 1
		.amdhsa_system_sgpr_workgroup_id_y 0
		.amdhsa_system_sgpr_workgroup_id_z 0
		.amdhsa_system_sgpr_workgroup_info 0
		.amdhsa_system_vgpr_workitem_id 0
		.amdhsa_next_free_vgpr 18
		.amdhsa_next_free_sgpr 16
		.amdhsa_named_barrier_count 0
		.amdhsa_reserve_vcc 1
		.amdhsa_float_round_mode_32 0
		.amdhsa_float_round_mode_16_64 0
		.amdhsa_float_denorm_mode_32 3
		.amdhsa_float_denorm_mode_16_64 3
		.amdhsa_fp16_overflow 0
		.amdhsa_memory_ordered 1
		.amdhsa_forward_progress 1
		.amdhsa_inst_pref_size 9
		.amdhsa_round_robin_scheduling 0
		.amdhsa_exception_fp_ieee_invalid_op 0
		.amdhsa_exception_fp_denorm_src 0
		.amdhsa_exception_fp_ieee_div_zero 0
		.amdhsa_exception_fp_ieee_overflow 0
		.amdhsa_exception_fp_ieee_underflow 0
		.amdhsa_exception_fp_ieee_inexact 0
		.amdhsa_exception_int_div_zero 0
	.end_amdhsa_kernel
	.section	.text._ZN9rocsparseL29csrmvn_lrb_medium_rows_kernelILj256ElifdddEEvbT0_PT1_S3_jNS_24const_host_device_scalarIT5_EEPKS1_PKS2_PKT2_PKT3_S6_PT4_21rocsparse_index_base_b,"axG",@progbits,_ZN9rocsparseL29csrmvn_lrb_medium_rows_kernelILj256ElifdddEEvbT0_PT1_S3_jNS_24const_host_device_scalarIT5_EEPKS1_PKS2_PKT2_PKT3_S6_PT4_21rocsparse_index_base_b,comdat
.Lfunc_end180:
	.size	_ZN9rocsparseL29csrmvn_lrb_medium_rows_kernelILj256ElifdddEEvbT0_PT1_S3_jNS_24const_host_device_scalarIT5_EEPKS1_PKS2_PKT2_PKT3_S6_PT4_21rocsparse_index_base_b, .Lfunc_end180-_ZN9rocsparseL29csrmvn_lrb_medium_rows_kernelILj256ElifdddEEvbT0_PT1_S3_jNS_24const_host_device_scalarIT5_EEPKS1_PKS2_PKT2_PKT3_S6_PT4_21rocsparse_index_base_b
                                        ; -- End function
	.set _ZN9rocsparseL29csrmvn_lrb_medium_rows_kernelILj256ElifdddEEvbT0_PT1_S3_jNS_24const_host_device_scalarIT5_EEPKS1_PKS2_PKT2_PKT3_S6_PT4_21rocsparse_index_base_b.num_vgpr, 18
	.set _ZN9rocsparseL29csrmvn_lrb_medium_rows_kernelILj256ElifdddEEvbT0_PT1_S3_jNS_24const_host_device_scalarIT5_EEPKS1_PKS2_PKT2_PKT3_S6_PT4_21rocsparse_index_base_b.num_agpr, 0
	.set _ZN9rocsparseL29csrmvn_lrb_medium_rows_kernelILj256ElifdddEEvbT0_PT1_S3_jNS_24const_host_device_scalarIT5_EEPKS1_PKS2_PKT2_PKT3_S6_PT4_21rocsparse_index_base_b.numbered_sgpr, 16
	.set _ZN9rocsparseL29csrmvn_lrb_medium_rows_kernelILj256ElifdddEEvbT0_PT1_S3_jNS_24const_host_device_scalarIT5_EEPKS1_PKS2_PKT2_PKT3_S6_PT4_21rocsparse_index_base_b.num_named_barrier, 0
	.set _ZN9rocsparseL29csrmvn_lrb_medium_rows_kernelILj256ElifdddEEvbT0_PT1_S3_jNS_24const_host_device_scalarIT5_EEPKS1_PKS2_PKT2_PKT3_S6_PT4_21rocsparse_index_base_b.private_seg_size, 0
	.set _ZN9rocsparseL29csrmvn_lrb_medium_rows_kernelILj256ElifdddEEvbT0_PT1_S3_jNS_24const_host_device_scalarIT5_EEPKS1_PKS2_PKT2_PKT3_S6_PT4_21rocsparse_index_base_b.uses_vcc, 1
	.set _ZN9rocsparseL29csrmvn_lrb_medium_rows_kernelILj256ElifdddEEvbT0_PT1_S3_jNS_24const_host_device_scalarIT5_EEPKS1_PKS2_PKT2_PKT3_S6_PT4_21rocsparse_index_base_b.uses_flat_scratch, 0
	.set _ZN9rocsparseL29csrmvn_lrb_medium_rows_kernelILj256ElifdddEEvbT0_PT1_S3_jNS_24const_host_device_scalarIT5_EEPKS1_PKS2_PKT2_PKT3_S6_PT4_21rocsparse_index_base_b.has_dyn_sized_stack, 0
	.set _ZN9rocsparseL29csrmvn_lrb_medium_rows_kernelILj256ElifdddEEvbT0_PT1_S3_jNS_24const_host_device_scalarIT5_EEPKS1_PKS2_PKT2_PKT3_S6_PT4_21rocsparse_index_base_b.has_recursion, 0
	.set _ZN9rocsparseL29csrmvn_lrb_medium_rows_kernelILj256ElifdddEEvbT0_PT1_S3_jNS_24const_host_device_scalarIT5_EEPKS1_PKS2_PKT2_PKT3_S6_PT4_21rocsparse_index_base_b.has_indirect_call, 0
	.section	.AMDGPU.csdata,"",@progbits
; Kernel info:
; codeLenInByte = 1076
; TotalNumSgprs: 18
; NumVgprs: 18
; ScratchSize: 0
; MemoryBound: 0
; FloatMode: 240
; IeeeMode: 1
; LDSByteSize: 2048 bytes/workgroup (compile time only)
; SGPRBlocks: 0
; VGPRBlocks: 1
; NumSGPRsForWavesPerEU: 18
; NumVGPRsForWavesPerEU: 18
; NamedBarCnt: 0
; Occupancy: 16
; WaveLimiterHint : 1
; COMPUTE_PGM_RSRC2:SCRATCH_EN: 0
; COMPUTE_PGM_RSRC2:USER_SGPR: 2
; COMPUTE_PGM_RSRC2:TRAP_HANDLER: 0
; COMPUTE_PGM_RSRC2:TGID_X_EN: 1
; COMPUTE_PGM_RSRC2:TGID_Y_EN: 0
; COMPUTE_PGM_RSRC2:TGID_Z_EN: 0
; COMPUTE_PGM_RSRC2:TIDIG_COMP_CNT: 0
	.section	.text._ZN9rocsparseL27csrmvn_lrb_long_rows_kernelIlifdddEEvbT_PjPT0_S4_jNS_24const_host_device_scalarIT4_EEPKS1_PKS3_PKT1_PKT2_S7_PT3_21rocsparse_index_base_b,"axG",@progbits,_ZN9rocsparseL27csrmvn_lrb_long_rows_kernelIlifdddEEvbT_PjPT0_S4_jNS_24const_host_device_scalarIT4_EEPKS1_PKS3_PKT1_PKT2_S7_PT3_21rocsparse_index_base_b,comdat
	.globl	_ZN9rocsparseL27csrmvn_lrb_long_rows_kernelIlifdddEEvbT_PjPT0_S4_jNS_24const_host_device_scalarIT4_EEPKS1_PKS3_PKT1_PKT2_S7_PT3_21rocsparse_index_base_b ; -- Begin function _ZN9rocsparseL27csrmvn_lrb_long_rows_kernelIlifdddEEvbT_PjPT0_S4_jNS_24const_host_device_scalarIT4_EEPKS1_PKS3_PKT1_PKT2_S7_PT3_21rocsparse_index_base_b
	.p2align	8
	.type	_ZN9rocsparseL27csrmvn_lrb_long_rows_kernelIlifdddEEvbT_PjPT0_S4_jNS_24const_host_device_scalarIT4_EEPKS1_PKS3_PKT1_PKT2_S7_PT3_21rocsparse_index_base_b,@function
_ZN9rocsparseL27csrmvn_lrb_long_rows_kernelIlifdddEEvbT_PjPT0_S4_jNS_24const_host_device_scalarIT4_EEPKS1_PKS3_PKT1_PKT2_S7_PT3_21rocsparse_index_base_b: ; @_ZN9rocsparseL27csrmvn_lrb_long_rows_kernelIlifdddEEvbT_PjPT0_S4_jNS_24const_host_device_scalarIT4_EEPKS1_PKS3_PKT1_PKT2_S7_PT3_21rocsparse_index_base_b
; %bb.0:
	s_clause 0x2
	s_load_b64 s[16:17], s[0:1], 0x68
	s_load_b64 s[4:5], s[0:1], 0x30
	;; [unrolled: 1-line block ×3, first 2 shown]
	s_wait_kmcnt 0x0
	s_bitcmp1_b32 s17, 0
	v_mov_b64_e32 v[2:3], s[4:5]
	s_cselect_b32 s6, -1, 0
	s_delay_alu instid0(SALU_CYCLE_1)
	s_and_b32 vcc_lo, exec_lo, s6
	s_xor_b32 s6, s6, -1
	s_cbranch_vccnz .LBB181_2
; %bb.1:
	v_mov_b32_e32 v1, 0
	flat_load_b64 v[2:3], v1, s[4:5]
.LBB181_2:
	v_mov_b64_e32 v[4:5], s[2:3]
	s_and_not1_b32 vcc_lo, exec_lo, s6
	s_cbranch_vccnz .LBB181_4
; %bb.3:
	s_wait_xcnt 0x0
	v_mov_b32_e32 v1, 0
	flat_load_b64 v[4:5], v1, s[2:3]
.LBB181_4:
	s_wait_loadcnt_dscnt 0x0
	v_cmp_neq_f64_e32 vcc_lo, 0, v[2:3]
	s_delay_alu instid0(VALU_DEP_2) | instskip(SKIP_1) | instid1(SALU_CYCLE_1)
	v_cmp_neq_f64_e64 s2, 1.0, v[4:5]
	s_or_b32 s2, vcc_lo, s2
	s_and_saveexec_b32 s3, s2
	s_cbranch_execz .LBB181_38
; %bb.5:
	s_load_b96 s[4:6], s[0:1], 0x20
	s_bfe_u32 s8, ttmp6, 0x4000c
	s_and_b32 s7, ttmp6, 15
	s_add_co_i32 s8, s8, 1
	s_getreg_b32 s9, hwreg(HW_REG_IB_STS2, 6, 4)
	s_mul_i32 s8, ttmp9, s8
	v_mov_b64_e32 v[6:7], 0
	s_add_co_i32 s7, s7, s8
	s_wait_kmcnt 0x0
	s_lshl_b32 s2, -1, s6
	s_load_b32 s8, s[4:5], s6 offset:0x0 scale_offset
	s_not_b32 s2, s2
	s_delay_alu instid0(SALU_CYCLE_1) | instskip(NEXT) | instid1(SALU_CYCLE_1)
	s_mul_hi_u32 s2, s2, 0x2aaaaaab
	s_lshr_b32 s2, s2, 7
	s_delay_alu instid0(SALU_CYCLE_1) | instskip(SKIP_2) | instid1(SALU_CYCLE_3)
	s_add_co_i32 s17, s2, 1
	s_not_b32 s2, s2
	s_cvt_f32_u32 s3, s17
	v_rcp_iflag_f32_e32 v1, s3
	v_nop
	s_delay_alu instid0(TRANS32_DEP_1) | instskip(SKIP_1) | instid1(SALU_CYCLE_3)
	v_readfirstlane_b32 s3, v1
	s_mul_f32 s3, s3, 0x4f7ffffe
	s_cvt_u32_f32 s3, s3
	s_delay_alu instid0(SALU_CYCLE_3) | instskip(NEXT) | instid1(SALU_CYCLE_1)
	s_mul_i32 s2, s2, s3
	s_mul_hi_u32 s2, s3, s2
	s_delay_alu instid0(SALU_CYCLE_1)
	s_add_co_i32 s3, s3, s2
	s_cmp_eq_u32 s9, 0
	s_cselect_b32 s18, ttmp9, s7
	s_wait_xcnt 0x0
	s_load_b128 s[4:7], s[0:1], 0x10
	s_mul_hi_u32 s2, s18, s3
	s_delay_alu instid0(SALU_CYCLE_1) | instskip(SKIP_2) | instid1(SALU_CYCLE_1)
	s_mul_i32 s3, s2, s17
	s_add_co_i32 s9, s2, 1
	s_sub_co_i32 s3, s18, s3
	s_sub_co_i32 s10, s3, s17
	s_cmp_ge_u32 s3, s17
	s_cselect_b32 s2, s9, s2
	s_cselect_b32 s3, s10, s3
	s_add_co_i32 s9, s2, 1
	s_cmp_ge_u32 s3, s17
	s_cselect_b32 s20, s9, s2
	s_ashr_i32 s19, s18, 31
	s_wait_kmcnt 0x0
	s_add_co_i32 s2, s20, s8
	s_delay_alu instid0(SALU_CYCLE_1) | instskip(NEXT) | instid1(SALU_CYCLE_1)
	s_ashr_i32 s3, s2, 31
	s_lshl_b64 s[2:3], s[2:3], 2
	s_delay_alu instid0(SALU_CYCLE_1)
	s_add_nc_u64 s[6:7], s[6:7], s[2:3]
	s_load_b32 s8, s[6:7], 0x0
	s_clause 0x1
	s_load_b64 s[10:11], s[0:1], 0x38
	s_load_b64 s[2:3], s[0:1], 0x60
	s_wait_kmcnt 0x0
	s_ashr_i32 s9, s8, 31
	s_delay_alu instid0(SALU_CYCLE_1)
	s_lshl_b64 s[6:7], s[8:9], 3
	s_lshl_b64 s[8:9], s[18:19], 2
	s_add_nc_u64 s[14:15], s[10:11], s[6:7]
	s_add_nc_u64 s[12:13], s[4:5], s[8:9]
	s_load_b128 s[8:11], s[14:15], 0x0
	s_load_b32 s22, s[12:13], 0x0
	s_wait_xcnt 0x0
	s_mul_i32 s14, s20, s17
	s_mov_b32 s19, 0
	s_sub_co_i32 s15, s18, s14
	s_mov_b32 s17, exec_lo
	v_or_b32_e32 v1, s15, v0
	s_delay_alu instid0(VALU_DEP_1)
	v_cmpx_eq_u32_e32 0, v1
	s_cbranch_execz .LBB181_9
; %bb.6:
	v_add_f64_e32 v[4:5], -1.0, v[4:5]
	s_add_nc_u64 s[20:21], s[2:3], s[6:7]
	s_mov_b32 s18, exec_lo
	s_load_b64 s[20:21], s[20:21], 0x0
	v_mbcnt_lo_u32_b32 v1, s18, 0
	s_mov_b32 s23, exec_lo
	global_wb scope:SCOPE_DEV
	s_wait_storecnt 0x0
	global_inv scope:SCOPE_DEV
	v_cmpx_eq_u32_e32 0, v1
	s_cbranch_execz .LBB181_8
; %bb.7:
	s_bcnt1_i32_b32 s18, s18
	s_delay_alu instid0(SALU_CYCLE_1) | instskip(NEXT) | instid1(SALU_CYCLE_1)
	s_and_b32 s18, s18, 1
	v_dual_mov_b32 v1, s14 :: v_dual_mov_b32 v6, s18
	s_wait_xcnt 0x0
	global_atomic_xor_b32 v1, v6, s[4:5] scale_offset scope:SCOPE_DEV
.LBB181_8:
	s_wait_xcnt 0x0
	s_or_b32 exec_lo, exec_lo, s23
	s_wait_kmcnt 0x0
	v_mul_f64_e32 v[6:7], s[20:21], v[4:5]
.LBB181_9:
	s_or_b32 exec_lo, exec_lo, s17
	s_mul_i32 s18, s15, 3
	s_mov_b32 s17, s19
	s_lshl_b64 s[18:19], s[18:19], 8
	s_wait_kmcnt 0x0
	s_sub_nc_u64 s[8:9], s[8:9], s[16:17]
	s_sub_nc_u64 s[10:11], s[10:11], s[16:17]
	s_add_nc_u64 s[8:9], s[8:9], s[18:19]
	v_mov_b32_e32 v1, 0
	s_add_nc_u64 s[18:19], s[8:9], 0x300
	s_delay_alu instid0(SALU_CYCLE_1) | instskip(SKIP_1) | instid1(VALU_DEP_2)
	v_min_i64 v[4:5], s[18:19], s[10:11]
	s_mov_b32 s10, exec_lo
	v_add_nc_u64_e32 v[8:9], s[8:9], v[0:1]
	s_delay_alu instid0(VALU_DEP_1)
	v_cmpx_lt_i64_e64 v[8:9], v[4:5]
	s_cbranch_execz .LBB181_13
; %bb.10:
	s_clause 0x1
	s_load_b128 s[24:27], s[0:1], 0x40
	s_load_b64 s[8:9], s[0:1], 0x50
	v_lshlrev_b64_e32 v[12:13], 2, v[8:9]
	s_wait_xcnt 0x0
	s_mov_b32 s0, 0
	s_wait_kmcnt 0x0
	s_delay_alu instid0(VALU_DEP_1)
	v_add_nc_u64_e32 v[10:11], s[26:27], v[12:13]
	v_add_nc_u64_e32 v[12:13], s[24:25], v[12:13]
.LBB181_11:                             ; =>This Inner Loop Header: Depth=1
	global_load_b32 v1, v[12:13], off
	global_load_b32 v16, v[10:11], off
	v_add_nc_u64_e32 v[8:9], 0x100, v[8:9]
	s_wait_xcnt 0x0
	v_add_nc_u64_e32 v[10:11], 0x400, v[10:11]
	v_add_nc_u64_e32 v[12:13], 0x400, v[12:13]
	s_delay_alu instid0(VALU_DEP_3)
	v_cmp_ge_i64_e32 vcc_lo, v[8:9], v[4:5]
	s_or_b32 s0, vcc_lo, s0
	s_wait_loadcnt 0x1
	v_subrev_nc_u32_e32 v1, s16, v1
	s_wait_loadcnt 0x0
	v_cvt_f64_f32_e32 v[16:17], v16
	global_load_b64 v[14:15], v1, s[8:9] scale_offset
	v_mul_f64_e32 v[16:17], v[2:3], v[16:17]
	s_wait_loadcnt 0x0
	s_delay_alu instid0(VALU_DEP_1)
	v_fmac_f64_e32 v[6:7], v[16:17], v[14:15]
	s_wait_xcnt 0x0
	s_and_not1_b32 exec_lo, exec_lo, s0
	s_cbranch_execnz .LBB181_11
; %bb.12:
	s_or_b32 exec_lo, exec_lo, s0
.LBB181_13:
	s_delay_alu instid0(SALU_CYCLE_1)
	s_or_b32 exec_lo, exec_lo, s10
	v_lshlrev_b32_e32 v1, 3, v0
	s_mov_b32 s0, exec_lo
	ds_store_b64 v1, v[6:7]
	s_wait_storecnt 0x0
	s_wait_loadcnt_dscnt 0x0
	s_barrier_signal -1
	s_barrier_wait -1
	v_cmpx_gt_u32_e32 0x80, v0
	s_cbranch_execz .LBB181_15
; %bb.14:
	ds_load_2addr_stride64_b64 v[2:5], v1 offset1:2
	s_wait_dscnt 0x0
	v_add_f64_e32 v[2:3], v[2:3], v[4:5]
	ds_store_b64 v1, v[2:3]
.LBB181_15:
	s_or_b32 exec_lo, exec_lo, s0
	s_delay_alu instid0(SALU_CYCLE_1)
	s_mov_b32 s0, exec_lo
	s_wait_dscnt 0x0
	s_barrier_signal -1
	s_barrier_wait -1
	v_cmpx_gt_u32_e32 64, v0
	s_cbranch_execz .LBB181_17
; %bb.16:
	ds_load_2addr_stride64_b64 v[2:5], v1 offset1:1
	s_wait_dscnt 0x0
	v_add_f64_e32 v[2:3], v[2:3], v[4:5]
	ds_store_b64 v1, v[2:3]
.LBB181_17:
	s_or_b32 exec_lo, exec_lo, s0
	s_delay_alu instid0(SALU_CYCLE_1)
	s_mov_b32 s0, exec_lo
	s_wait_dscnt 0x0
	s_barrier_signal -1
	s_barrier_wait -1
	v_cmpx_gt_u32_e32 32, v0
	s_cbranch_execz .LBB181_19
; %bb.18:
	ds_load_2addr_b64 v[2:5], v1 offset1:32
	s_wait_dscnt 0x0
	v_add_f64_e32 v[2:3], v[2:3], v[4:5]
	ds_store_b64 v1, v[2:3]
.LBB181_19:
	s_or_b32 exec_lo, exec_lo, s0
	s_delay_alu instid0(SALU_CYCLE_1)
	s_mov_b32 s0, exec_lo
	s_wait_dscnt 0x0
	s_barrier_signal -1
	s_barrier_wait -1
	v_cmpx_gt_u32_e32 16, v0
	s_cbranch_execz .LBB181_21
; %bb.20:
	ds_load_2addr_b64 v[2:5], v1 offset1:16
	s_wait_dscnt 0x0
	v_add_f64_e32 v[2:3], v[2:3], v[4:5]
	ds_store_b64 v1, v[2:3]
.LBB181_21:
	;; [unrolled: 14-line block ×5, first 2 shown]
	s_or_b32 exec_lo, exec_lo, s0
	v_cmp_eq_u32_e32 vcc_lo, 0, v0
	s_wait_dscnt 0x0
	s_barrier_signal -1
	s_barrier_wait -1
	s_and_saveexec_b32 s0, vcc_lo
	s_cbranch_execz .LBB181_29
; %bb.28:
	v_mov_b32_e32 v4, 0
	ds_load_b128 v[0:3], v4
	s_wait_dscnt 0x0
	v_add_f64_e32 v[0:1], v[0:1], v[2:3]
	ds_store_b64 v4, v[0:1]
.LBB181_29:
	s_or_b32 exec_lo, exec_lo, s0
	s_wait_dscnt 0x0
	s_barrier_signal -1
	s_barrier_wait -1
	s_and_b32 exec_lo, exec_lo, vcc_lo
	s_cbranch_execz .LBB181_38
; %bb.30:
	s_cmp_eq_u32 s15, 0
	s_cbranch_scc1 .LBB181_36
; %bb.31:
	s_ashr_i32 s15, s14, 31
	v_mov_b32_e32 v0, 0
	s_lshl_b64 s[0:1], s[14:15], 2
	s_delay_alu instid0(SALU_CYCLE_1)
	s_add_nc_u64 s[0:1], s[4:5], s[0:1]
	s_branch .LBB181_33
.LBB181_32:                             ;   in Loop: Header=BB181_33 Depth=1
	s_wait_xcnt 0x0
	s_or_b32 exec_lo, exec_lo, s4
	s_wait_loadcnt 0x0
	v_readfirstlane_b32 s4, v1
	s_cmp_eq_u32 s4, s22
	s_cbranch_scc0 .LBB181_35
.LBB181_33:                             ; =>This Inner Loop Header: Depth=1
	v_mbcnt_lo_u32_b32 v1, exec_lo, 0
	s_delay_alu instid0(VALU_DEP_1)
	v_cmp_eq_u32_e32 vcc_lo, 0, v1
                                        ; implicit-def: $vgpr1
	s_and_saveexec_b32 s4, vcc_lo
	s_cbranch_execz .LBB181_32
; %bb.34:                               ;   in Loop: Header=BB181_33 Depth=1
	global_load_b32 v1, v0, s[0:1] scope:SCOPE_DEV
	s_branch .LBB181_32
.LBB181_35:
	v_mov_b32_e32 v0, 0
	global_load_u16 v1, v0, s[12:13]
	s_wait_loadcnt 0x0
	v_xor_b32_e32 v1, 1, v1
	global_store_b16 v0, v1, s[12:13]
.LBB181_36:
	s_mov_b32 s0, exec_lo
	s_wait_xcnt 0x0
	v_mbcnt_lo_u32_b32 v0, s0, 0
	s_delay_alu instid0(VALU_DEP_1) | instskip(SKIP_1) | instid1(SALU_CYCLE_1)
	v_cmp_eq_u32_e32 vcc_lo, 0, v0
	s_and_b32 s1, exec_lo, vcc_lo
	s_mov_b32 exec_lo, s1
	s_cbranch_execz .LBB181_38
; %bb.37:
	s_bcnt1_i32_b32 s0, s0
	s_delay_alu instid0(SALU_CYCLE_1)
	v_cvt_f64_u32_e32 v[0:1], s0
	v_mov_b32_e32 v4, 0
	s_add_nc_u64 s[0:1], s[2:3], s[6:7]
	ds_load_b64 v[2:3], v4
	s_wait_dscnt 0x0
	v_mul_f64_e32 v[0:1], v[2:3], v[0:1]
	global_atomic_add_f64 v4, v[0:1], s[0:1] scope:SCOPE_DEV
.LBB181_38:
	s_endpgm
	.section	.rodata,"a",@progbits
	.p2align	6, 0x0
	.amdhsa_kernel _ZN9rocsparseL27csrmvn_lrb_long_rows_kernelIlifdddEEvbT_PjPT0_S4_jNS_24const_host_device_scalarIT4_EEPKS1_PKS3_PKT1_PKT2_S7_PT3_21rocsparse_index_base_b
		.amdhsa_group_segment_fixed_size 2048
		.amdhsa_private_segment_fixed_size 0
		.amdhsa_kernarg_size 112
		.amdhsa_user_sgpr_count 2
		.amdhsa_user_sgpr_dispatch_ptr 0
		.amdhsa_user_sgpr_queue_ptr 0
		.amdhsa_user_sgpr_kernarg_segment_ptr 1
		.amdhsa_user_sgpr_dispatch_id 0
		.amdhsa_user_sgpr_kernarg_preload_length 0
		.amdhsa_user_sgpr_kernarg_preload_offset 0
		.amdhsa_user_sgpr_private_segment_size 0
		.amdhsa_wavefront_size32 1
		.amdhsa_uses_dynamic_stack 0
		.amdhsa_enable_private_segment 0
		.amdhsa_system_sgpr_workgroup_id_x 1
		.amdhsa_system_sgpr_workgroup_id_y 0
		.amdhsa_system_sgpr_workgroup_id_z 0
		.amdhsa_system_sgpr_workgroup_info 0
		.amdhsa_system_vgpr_workitem_id 0
		.amdhsa_next_free_vgpr 18
		.amdhsa_next_free_sgpr 28
		.amdhsa_named_barrier_count 0
		.amdhsa_reserve_vcc 1
		.amdhsa_float_round_mode_32 0
		.amdhsa_float_round_mode_16_64 0
		.amdhsa_float_denorm_mode_32 3
		.amdhsa_float_denorm_mode_16_64 3
		.amdhsa_fp16_overflow 0
		.amdhsa_memory_ordered 1
		.amdhsa_forward_progress 1
		.amdhsa_inst_pref_size 13
		.amdhsa_round_robin_scheduling 0
		.amdhsa_exception_fp_ieee_invalid_op 0
		.amdhsa_exception_fp_denorm_src 0
		.amdhsa_exception_fp_ieee_div_zero 0
		.amdhsa_exception_fp_ieee_overflow 0
		.amdhsa_exception_fp_ieee_underflow 0
		.amdhsa_exception_fp_ieee_inexact 0
		.amdhsa_exception_int_div_zero 0
	.end_amdhsa_kernel
	.section	.text._ZN9rocsparseL27csrmvn_lrb_long_rows_kernelIlifdddEEvbT_PjPT0_S4_jNS_24const_host_device_scalarIT4_EEPKS1_PKS3_PKT1_PKT2_S7_PT3_21rocsparse_index_base_b,"axG",@progbits,_ZN9rocsparseL27csrmvn_lrb_long_rows_kernelIlifdddEEvbT_PjPT0_S4_jNS_24const_host_device_scalarIT4_EEPKS1_PKS3_PKT1_PKT2_S7_PT3_21rocsparse_index_base_b,comdat
.Lfunc_end181:
	.size	_ZN9rocsparseL27csrmvn_lrb_long_rows_kernelIlifdddEEvbT_PjPT0_S4_jNS_24const_host_device_scalarIT4_EEPKS1_PKS3_PKT1_PKT2_S7_PT3_21rocsparse_index_base_b, .Lfunc_end181-_ZN9rocsparseL27csrmvn_lrb_long_rows_kernelIlifdddEEvbT_PjPT0_S4_jNS_24const_host_device_scalarIT4_EEPKS1_PKS3_PKT1_PKT2_S7_PT3_21rocsparse_index_base_b
                                        ; -- End function
	.set _ZN9rocsparseL27csrmvn_lrb_long_rows_kernelIlifdddEEvbT_PjPT0_S4_jNS_24const_host_device_scalarIT4_EEPKS1_PKS3_PKT1_PKT2_S7_PT3_21rocsparse_index_base_b.num_vgpr, 18
	.set _ZN9rocsparseL27csrmvn_lrb_long_rows_kernelIlifdddEEvbT_PjPT0_S4_jNS_24const_host_device_scalarIT4_EEPKS1_PKS3_PKT1_PKT2_S7_PT3_21rocsparse_index_base_b.num_agpr, 0
	.set _ZN9rocsparseL27csrmvn_lrb_long_rows_kernelIlifdddEEvbT_PjPT0_S4_jNS_24const_host_device_scalarIT4_EEPKS1_PKS3_PKT1_PKT2_S7_PT3_21rocsparse_index_base_b.numbered_sgpr, 28
	.set _ZN9rocsparseL27csrmvn_lrb_long_rows_kernelIlifdddEEvbT_PjPT0_S4_jNS_24const_host_device_scalarIT4_EEPKS1_PKS3_PKT1_PKT2_S7_PT3_21rocsparse_index_base_b.num_named_barrier, 0
	.set _ZN9rocsparseL27csrmvn_lrb_long_rows_kernelIlifdddEEvbT_PjPT0_S4_jNS_24const_host_device_scalarIT4_EEPKS1_PKS3_PKT1_PKT2_S7_PT3_21rocsparse_index_base_b.private_seg_size, 0
	.set _ZN9rocsparseL27csrmvn_lrb_long_rows_kernelIlifdddEEvbT_PjPT0_S4_jNS_24const_host_device_scalarIT4_EEPKS1_PKS3_PKT1_PKT2_S7_PT3_21rocsparse_index_base_b.uses_vcc, 1
	.set _ZN9rocsparseL27csrmvn_lrb_long_rows_kernelIlifdddEEvbT_PjPT0_S4_jNS_24const_host_device_scalarIT4_EEPKS1_PKS3_PKT1_PKT2_S7_PT3_21rocsparse_index_base_b.uses_flat_scratch, 0
	.set _ZN9rocsparseL27csrmvn_lrb_long_rows_kernelIlifdddEEvbT_PjPT0_S4_jNS_24const_host_device_scalarIT4_EEPKS1_PKS3_PKT1_PKT2_S7_PT3_21rocsparse_index_base_b.has_dyn_sized_stack, 0
	.set _ZN9rocsparseL27csrmvn_lrb_long_rows_kernelIlifdddEEvbT_PjPT0_S4_jNS_24const_host_device_scalarIT4_EEPKS1_PKS3_PKT1_PKT2_S7_PT3_21rocsparse_index_base_b.has_recursion, 0
	.set _ZN9rocsparseL27csrmvn_lrb_long_rows_kernelIlifdddEEvbT_PjPT0_S4_jNS_24const_host_device_scalarIT4_EEPKS1_PKS3_PKT1_PKT2_S7_PT3_21rocsparse_index_base_b.has_indirect_call, 0
	.section	.AMDGPU.csdata,"",@progbits
; Kernel info:
; codeLenInByte = 1572
; TotalNumSgprs: 30
; NumVgprs: 18
; ScratchSize: 0
; MemoryBound: 0
; FloatMode: 240
; IeeeMode: 1
; LDSByteSize: 2048 bytes/workgroup (compile time only)
; SGPRBlocks: 0
; VGPRBlocks: 1
; NumSGPRsForWavesPerEU: 30
; NumVGPRsForWavesPerEU: 18
; NamedBarCnt: 0
; Occupancy: 16
; WaveLimiterHint : 1
; COMPUTE_PGM_RSRC2:SCRATCH_EN: 0
; COMPUTE_PGM_RSRC2:USER_SGPR: 2
; COMPUTE_PGM_RSRC2:TRAP_HANDLER: 0
; COMPUTE_PGM_RSRC2:TGID_X_EN: 1
; COMPUTE_PGM_RSRC2:TGID_Y_EN: 0
; COMPUTE_PGM_RSRC2:TGID_Z_EN: 0
; COMPUTE_PGM_RSRC2:TIDIG_COMP_CNT: 0
	.section	.text._ZN9rocsparseL28csrmvn_lrb_short_rows_kernelIllfdddEEvbT_PT0_S3_jNS_24const_host_device_scalarIT4_EEPKS1_PKS2_PKT1_PKT2_S6_PT3_21rocsparse_index_base_b,"axG",@progbits,_ZN9rocsparseL28csrmvn_lrb_short_rows_kernelIllfdddEEvbT_PT0_S3_jNS_24const_host_device_scalarIT4_EEPKS1_PKS2_PKT1_PKT2_S6_PT3_21rocsparse_index_base_b,comdat
	.globl	_ZN9rocsparseL28csrmvn_lrb_short_rows_kernelIllfdddEEvbT_PT0_S3_jNS_24const_host_device_scalarIT4_EEPKS1_PKS2_PKT1_PKT2_S6_PT3_21rocsparse_index_base_b ; -- Begin function _ZN9rocsparseL28csrmvn_lrb_short_rows_kernelIllfdddEEvbT_PT0_S3_jNS_24const_host_device_scalarIT4_EEPKS1_PKS2_PKT1_PKT2_S6_PT3_21rocsparse_index_base_b
	.p2align	8
	.type	_ZN9rocsparseL28csrmvn_lrb_short_rows_kernelIllfdddEEvbT_PT0_S3_jNS_24const_host_device_scalarIT4_EEPKS1_PKS2_PKT1_PKT2_S6_PT3_21rocsparse_index_base_b,@function
_ZN9rocsparseL28csrmvn_lrb_short_rows_kernelIllfdddEEvbT_PT0_S3_jNS_24const_host_device_scalarIT4_EEPKS1_PKS2_PKT1_PKT2_S6_PT3_21rocsparse_index_base_b: ; @_ZN9rocsparseL28csrmvn_lrb_short_rows_kernelIllfdddEEvbT_PT0_S3_jNS_24const_host_device_scalarIT4_EEPKS1_PKS2_PKT1_PKT2_S6_PT3_21rocsparse_index_base_b
; %bb.0:
	s_clause 0x2
	s_load_b64 s[16:17], s[0:1], 0x60
	s_load_b64 s[4:5], s[0:1], 0x28
	;; [unrolled: 1-line block ×3, first 2 shown]
	s_wait_kmcnt 0x0
	s_bitcmp1_b32 s17, 0
	v_mov_b64_e32 v[8:9], s[4:5]
	s_cselect_b32 s6, -1, 0
	s_delay_alu instid0(SALU_CYCLE_1)
	s_and_b32 vcc_lo, exec_lo, s6
	s_xor_b32 s6, s6, -1
	s_cbranch_vccnz .LBB182_2
; %bb.1:
	v_mov_b32_e32 v1, 0
	flat_load_b64 v[8:9], v1, s[4:5]
.LBB182_2:
	v_mov_b64_e32 v[6:7], s[2:3]
	s_and_not1_b32 vcc_lo, exec_lo, s6
	s_cbranch_vccnz .LBB182_4
; %bb.3:
	s_wait_xcnt 0x0
	v_mov_b32_e32 v1, 0
	flat_load_b64 v[6:7], v1, s[2:3]
.LBB182_4:
	s_wait_loadcnt_dscnt 0x0
	v_cmp_neq_f64_e32 vcc_lo, 0, v[8:9]
	s_delay_alu instid0(VALU_DEP_2) | instskip(SKIP_1) | instid1(SALU_CYCLE_1)
	v_cmp_neq_f64_e64 s2, 1.0, v[6:7]
	s_or_b32 s2, vcc_lo, s2
	s_and_saveexec_b32 s3, s2
	s_cbranch_execz .LBB182_18
; %bb.5:
	s_clause 0x1
	s_load_b32 s20, s[0:1], 0x20
	s_load_b128 s[12:15], s[0:1], 0x10
	s_mov_b32 s17, 0
	s_getreg_b32 s7, hwreg(HW_REG_IB_STS2, 6, 4)
	s_mov_b32 s3, s17
	s_wait_kmcnt 0x0
	s_add_co_i32 s2, s20, 1
	s_delay_alu instid0(SALU_CYCLE_1) | instskip(NEXT) | instid1(SALU_CYCLE_1)
	s_lshl_b64 s[2:3], s[2:3], 3
	s_add_nc_u64 s[4:5], s[14:15], s[2:3]
	s_clause 0x1
	s_load_b64 s[2:3], s[14:15], s20 offset:0x0 scale_offset
	s_load_b32 s6, s[4:5], 0x0
	s_wait_xcnt 0x0
	s_bfe_u32 s4, ttmp6, 0x4000c
	s_and_b32 s5, ttmp6, 15
	s_add_co_i32 s4, s4, 1
	s_delay_alu instid0(SALU_CYCLE_1) | instskip(NEXT) | instid1(SALU_CYCLE_1)
	s_mul_i32 s4, ttmp9, s4
	s_add_co_i32 s5, s5, s4
	s_wait_kmcnt 0x0
	s_sub_co_i32 s6, s6, s2
	s_cmp_eq_u32 s7, 0
	s_cselect_b32 s4, ttmp9, s5
	s_delay_alu instid0(SALU_CYCLE_1) | instskip(NEXT) | instid1(SALU_CYCLE_1)
	s_lshl_b32 s14, s4, 8
	s_add_co_i32 s4, s14, 0x100
	s_delay_alu instid0(SALU_CYCLE_1)
	s_min_u32 s15, s6, s4
	s_cmp_gt_u32 s20, 23
	s_cbranch_scc1 .LBB182_12
; %bb.6:
	s_load_b256 s[4:11], s[0:1], 0x30
	v_bfe_u32 v10, v0, 0, s20
	v_mov_b32_e32 v11, 0
	v_lshl_add_u32 v1, v0, 3, 0
	s_lshl_b64 s[18:19], s[2:3], 3
	s_lshl_b32 s21, 0x100, s20
	s_add_nc_u64 s[18:19], s[12:13], s[18:19]
	s_mov_b32 s22, s17
	s_branch .LBB182_9
.LBB182_7:                              ;   in Loop: Header=BB182_9 Depth=1
	s_wait_xcnt 0x0
	s_or_b32 exec_lo, exec_lo, s24
	ds_store_b64 v1, v[4:5]
.LBB182_8:                              ;   in Loop: Header=BB182_9 Depth=1
	s_or_b32 exec_lo, exec_lo, s23
	v_add_nc_u32_e32 v1, 0x800, v1
	s_addk_co_i32 s22, 0x100
	s_delay_alu instid0(SALU_CYCLE_1)
	s_cmp_ge_u32 s22, s21
	s_cbranch_scc1 .LBB182_12
.LBB182_9:                              ; =>This Inner Loop Header: Depth=1
	v_add_nc_u32_e32 v2, s22, v0
	s_mov_b32 s23, exec_lo
	s_delay_alu instid0(VALU_DEP_1) | instskip(NEXT) | instid1(VALU_DEP_1)
	v_lshrrev_b32_e32 v2, s20, v2
	v_add_nc_u32_e32 v2, s14, v2
	s_delay_alu instid0(VALU_DEP_1)
	v_cmpx_gt_u32_e64 s15, v2
	s_cbranch_execz .LBB182_8
; %bb.10:                               ;   in Loop: Header=BB182_9 Depth=1
	global_load_b64 v[2:3], v2, s[18:19] scale_offset
	s_wait_loadcnt 0x0
	s_wait_kmcnt 0x0
	s_wait_xcnt 0x0
	v_lshl_add_u64 v[2:3], v[2:3], 3, s[4:5]
	global_load_b128 v[2:5], v[2:3], off
	s_wait_loadcnt 0x0
	v_sub_nc_u64_e32 v[4:5], v[4:5], v[2:3]
	s_delay_alu instid0(VALU_DEP_1)
	v_cmp_gt_i64_e32 vcc_lo, v[4:5], v[10:11]
	v_mov_b64_e32 v[4:5], 0
	s_wait_xcnt 0x0
	s_and_saveexec_b32 s24, vcc_lo
	s_cbranch_execz .LBB182_7
; %bb.11:                               ;   in Loop: Header=BB182_9 Depth=1
	v_sub_nc_u64_e64 v[2:3], v[2:3], s[16:17]
	s_delay_alu instid0(VALU_DEP_1) | instskip(NEXT) | instid1(VALU_DEP_1)
	v_add_nc_u64_e32 v[2:3], v[2:3], v[10:11]
	v_lshl_add_u64 v[4:5], v[2:3], 3, s[6:7]
	v_lshl_add_u64 v[2:3], v[2:3], 2, s[8:9]
	global_load_b64 v[4:5], v[4:5], off
	global_load_b32 v12, v[2:3], off
	s_wait_loadcnt 0x1
	s_wait_xcnt 0x0
	v_sub_nc_u64_e64 v[2:3], v[4:5], s[16:17]
	s_wait_loadcnt 0x0
	v_cvt_f64_f32_e32 v[4:5], v12
	s_delay_alu instid0(VALU_DEP_2) | instskip(SKIP_3) | instid1(VALU_DEP_1)
	v_lshl_add_u64 v[2:3], v[2:3], 3, s[10:11]
	global_load_b64 v[2:3], v[2:3], off
	v_mul_f64_e32 v[4:5], v[8:9], v[4:5]
	s_wait_loadcnt 0x0
	v_mul_f64_e32 v[4:5], v[4:5], v[2:3]
	s_branch .LBB182_7
.LBB182_12:
	s_wait_kmcnt 0x0
	s_sub_co_i32 s4, s15, s14
	s_wait_dscnt 0x0
	v_cmp_gt_u32_e32 vcc_lo, s4, v0
	s_barrier_signal -1
	s_barrier_wait -1
	s_and_b32 exec_lo, exec_lo, vcc_lo
	s_cbranch_execz .LBB182_18
; %bb.13:
	s_lshl_b64 s[2:3], s[2:3], 3
	s_mov_b32 s15, 0
	s_add_nc_u64 s[2:3], s[12:13], s[2:3]
	s_lshl_b64 s[4:5], s[14:15], 3
	s_load_b64 s[0:1], s[0:1], 0x58
	s_add_nc_u64 s[2:3], s[2:3], s[4:5]
	v_lshlrev_b32_e32 v4, s20, v0
	global_load_b64 v[2:3], v0, s[2:3] scale_offset
	s_wait_xcnt 0x0
	v_mov_b64_e32 v[0:1], 0
	s_mov_b32 s2, 1
	v_lshl_add_u32 v4, v4, 3, 0
.LBB182_14:                             ; =>This Inner Loop Header: Depth=1
	ds_load_b64 v[8:9], v4
	v_add_nc_u32_e32 v4, 8, v4
	s_lshr_b32 s3, s2, s20
	s_add_co_i32 s2, s2, 1
	s_cmp_lg_u32 s3, 0
	s_wait_dscnt 0x0
	v_add_f64_e32 v[0:1], v[0:1], v[8:9]
	s_cbranch_scc0 .LBB182_14
; %bb.15:
	s_wait_loadcnt 0x0
	s_wait_kmcnt 0x0
	v_lshl_add_u64 v[2:3], v[2:3], 3, s[0:1]
	s_mov_b32 s0, exec_lo
	v_cmpx_neq_f64_e32 0, v[6:7]
	s_cbranch_execz .LBB182_17
; %bb.16:
	global_load_b64 v[4:5], v[2:3], off
	s_wait_loadcnt 0x0
	v_fmac_f64_e32 v[0:1], v[6:7], v[4:5]
.LBB182_17:
	s_or_b32 exec_lo, exec_lo, s0
	global_store_b64 v[2:3], v[0:1], off
.LBB182_18:
	s_endpgm
	.section	.rodata,"a",@progbits
	.p2align	6, 0x0
	.amdhsa_kernel _ZN9rocsparseL28csrmvn_lrb_short_rows_kernelIllfdddEEvbT_PT0_S3_jNS_24const_host_device_scalarIT4_EEPKS1_PKS2_PKT1_PKT2_S6_PT3_21rocsparse_index_base_b
		.amdhsa_group_segment_fixed_size 0
		.amdhsa_private_segment_fixed_size 0
		.amdhsa_kernarg_size 104
		.amdhsa_user_sgpr_count 2
		.amdhsa_user_sgpr_dispatch_ptr 0
		.amdhsa_user_sgpr_queue_ptr 0
		.amdhsa_user_sgpr_kernarg_segment_ptr 1
		.amdhsa_user_sgpr_dispatch_id 0
		.amdhsa_user_sgpr_kernarg_preload_length 0
		.amdhsa_user_sgpr_kernarg_preload_offset 0
		.amdhsa_user_sgpr_private_segment_size 0
		.amdhsa_wavefront_size32 1
		.amdhsa_uses_dynamic_stack 0
		.amdhsa_enable_private_segment 0
		.amdhsa_system_sgpr_workgroup_id_x 1
		.amdhsa_system_sgpr_workgroup_id_y 0
		.amdhsa_system_sgpr_workgroup_id_z 0
		.amdhsa_system_sgpr_workgroup_info 0
		.amdhsa_system_vgpr_workitem_id 0
		.amdhsa_next_free_vgpr 13
		.amdhsa_next_free_sgpr 25
		.amdhsa_named_barrier_count 0
		.amdhsa_reserve_vcc 1
		.amdhsa_float_round_mode_32 0
		.amdhsa_float_round_mode_16_64 0
		.amdhsa_float_denorm_mode_32 3
		.amdhsa_float_denorm_mode_16_64 3
		.amdhsa_fp16_overflow 0
		.amdhsa_memory_ordered 1
		.amdhsa_forward_progress 1
		.amdhsa_inst_pref_size 7
		.amdhsa_round_robin_scheduling 0
		.amdhsa_exception_fp_ieee_invalid_op 0
		.amdhsa_exception_fp_denorm_src 0
		.amdhsa_exception_fp_ieee_div_zero 0
		.amdhsa_exception_fp_ieee_overflow 0
		.amdhsa_exception_fp_ieee_underflow 0
		.amdhsa_exception_fp_ieee_inexact 0
		.amdhsa_exception_int_div_zero 0
	.end_amdhsa_kernel
	.section	.text._ZN9rocsparseL28csrmvn_lrb_short_rows_kernelIllfdddEEvbT_PT0_S3_jNS_24const_host_device_scalarIT4_EEPKS1_PKS2_PKT1_PKT2_S6_PT3_21rocsparse_index_base_b,"axG",@progbits,_ZN9rocsparseL28csrmvn_lrb_short_rows_kernelIllfdddEEvbT_PT0_S3_jNS_24const_host_device_scalarIT4_EEPKS1_PKS2_PKT1_PKT2_S6_PT3_21rocsparse_index_base_b,comdat
.Lfunc_end182:
	.size	_ZN9rocsparseL28csrmvn_lrb_short_rows_kernelIllfdddEEvbT_PT0_S3_jNS_24const_host_device_scalarIT4_EEPKS1_PKS2_PKT1_PKT2_S6_PT3_21rocsparse_index_base_b, .Lfunc_end182-_ZN9rocsparseL28csrmvn_lrb_short_rows_kernelIllfdddEEvbT_PT0_S3_jNS_24const_host_device_scalarIT4_EEPKS1_PKS2_PKT1_PKT2_S6_PT3_21rocsparse_index_base_b
                                        ; -- End function
	.set _ZN9rocsparseL28csrmvn_lrb_short_rows_kernelIllfdddEEvbT_PT0_S3_jNS_24const_host_device_scalarIT4_EEPKS1_PKS2_PKT1_PKT2_S6_PT3_21rocsparse_index_base_b.num_vgpr, 13
	.set _ZN9rocsparseL28csrmvn_lrb_short_rows_kernelIllfdddEEvbT_PT0_S3_jNS_24const_host_device_scalarIT4_EEPKS1_PKS2_PKT1_PKT2_S6_PT3_21rocsparse_index_base_b.num_agpr, 0
	.set _ZN9rocsparseL28csrmvn_lrb_short_rows_kernelIllfdddEEvbT_PT0_S3_jNS_24const_host_device_scalarIT4_EEPKS1_PKS2_PKT1_PKT2_S6_PT3_21rocsparse_index_base_b.numbered_sgpr, 25
	.set _ZN9rocsparseL28csrmvn_lrb_short_rows_kernelIllfdddEEvbT_PT0_S3_jNS_24const_host_device_scalarIT4_EEPKS1_PKS2_PKT1_PKT2_S6_PT3_21rocsparse_index_base_b.num_named_barrier, 0
	.set _ZN9rocsparseL28csrmvn_lrb_short_rows_kernelIllfdddEEvbT_PT0_S3_jNS_24const_host_device_scalarIT4_EEPKS1_PKS2_PKT1_PKT2_S6_PT3_21rocsparse_index_base_b.private_seg_size, 0
	.set _ZN9rocsparseL28csrmvn_lrb_short_rows_kernelIllfdddEEvbT_PT0_S3_jNS_24const_host_device_scalarIT4_EEPKS1_PKS2_PKT1_PKT2_S6_PT3_21rocsparse_index_base_b.uses_vcc, 1
	.set _ZN9rocsparseL28csrmvn_lrb_short_rows_kernelIllfdddEEvbT_PT0_S3_jNS_24const_host_device_scalarIT4_EEPKS1_PKS2_PKT1_PKT2_S6_PT3_21rocsparse_index_base_b.uses_flat_scratch, 0
	.set _ZN9rocsparseL28csrmvn_lrb_short_rows_kernelIllfdddEEvbT_PT0_S3_jNS_24const_host_device_scalarIT4_EEPKS1_PKS2_PKT1_PKT2_S6_PT3_21rocsparse_index_base_b.has_dyn_sized_stack, 0
	.set _ZN9rocsparseL28csrmvn_lrb_short_rows_kernelIllfdddEEvbT_PT0_S3_jNS_24const_host_device_scalarIT4_EEPKS1_PKS2_PKT1_PKT2_S6_PT3_21rocsparse_index_base_b.has_recursion, 0
	.set _ZN9rocsparseL28csrmvn_lrb_short_rows_kernelIllfdddEEvbT_PT0_S3_jNS_24const_host_device_scalarIT4_EEPKS1_PKS2_PKT1_PKT2_S6_PT3_21rocsparse_index_base_b.has_indirect_call, 0
	.section	.AMDGPU.csdata,"",@progbits
; Kernel info:
; codeLenInByte = 820
; TotalNumSgprs: 27
; NumVgprs: 13
; ScratchSize: 0
; MemoryBound: 0
; FloatMode: 240
; IeeeMode: 1
; LDSByteSize: 0 bytes/workgroup (compile time only)
; SGPRBlocks: 0
; VGPRBlocks: 0
; NumSGPRsForWavesPerEU: 27
; NumVGPRsForWavesPerEU: 13
; NamedBarCnt: 0
; Occupancy: 16
; WaveLimiterHint : 1
; COMPUTE_PGM_RSRC2:SCRATCH_EN: 0
; COMPUTE_PGM_RSRC2:USER_SGPR: 2
; COMPUTE_PGM_RSRC2:TRAP_HANDLER: 0
; COMPUTE_PGM_RSRC2:TGID_X_EN: 1
; COMPUTE_PGM_RSRC2:TGID_Y_EN: 0
; COMPUTE_PGM_RSRC2:TGID_Z_EN: 0
; COMPUTE_PGM_RSRC2:TIDIG_COMP_CNT: 0
	.section	.text._ZN9rocsparseL30csrmvn_lrb_short_rows_2_kernelIllfdddEEvbT_PT0_S3_jNS_24const_host_device_scalarIT4_EEPKS1_PKS2_PKT1_PKT2_S6_PT3_21rocsparse_index_base_b,"axG",@progbits,_ZN9rocsparseL30csrmvn_lrb_short_rows_2_kernelIllfdddEEvbT_PT0_S3_jNS_24const_host_device_scalarIT4_EEPKS1_PKS2_PKT1_PKT2_S6_PT3_21rocsparse_index_base_b,comdat
	.globl	_ZN9rocsparseL30csrmvn_lrb_short_rows_2_kernelIllfdddEEvbT_PT0_S3_jNS_24const_host_device_scalarIT4_EEPKS1_PKS2_PKT1_PKT2_S6_PT3_21rocsparse_index_base_b ; -- Begin function _ZN9rocsparseL30csrmvn_lrb_short_rows_2_kernelIllfdddEEvbT_PT0_S3_jNS_24const_host_device_scalarIT4_EEPKS1_PKS2_PKT1_PKT2_S6_PT3_21rocsparse_index_base_b
	.p2align	8
	.type	_ZN9rocsparseL30csrmvn_lrb_short_rows_2_kernelIllfdddEEvbT_PT0_S3_jNS_24const_host_device_scalarIT4_EEPKS1_PKS2_PKT1_PKT2_S6_PT3_21rocsparse_index_base_b,@function
_ZN9rocsparseL30csrmvn_lrb_short_rows_2_kernelIllfdddEEvbT_PT0_S3_jNS_24const_host_device_scalarIT4_EEPKS1_PKS2_PKT1_PKT2_S6_PT3_21rocsparse_index_base_b: ; @_ZN9rocsparseL30csrmvn_lrb_short_rows_2_kernelIllfdddEEvbT_PT0_S3_jNS_24const_host_device_scalarIT4_EEPKS1_PKS2_PKT1_PKT2_S6_PT3_21rocsparse_index_base_b
; %bb.0:
	s_clause 0x2
	s_load_b64 s[12:13], s[0:1], 0x60
	s_load_b64 s[4:5], s[0:1], 0x28
	;; [unrolled: 1-line block ×3, first 2 shown]
	s_wait_kmcnt 0x0
	s_bitcmp1_b32 s13, 0
	v_mov_b64_e32 v[8:9], s[4:5]
	s_cselect_b32 s6, -1, 0
	s_delay_alu instid0(SALU_CYCLE_1)
	s_and_b32 vcc_lo, exec_lo, s6
	s_xor_b32 s6, s6, -1
	s_cbranch_vccnz .LBB183_2
; %bb.1:
	v_mov_b32_e32 v1, 0
	flat_load_b64 v[8:9], v1, s[4:5]
.LBB183_2:
	v_mov_b64_e32 v[6:7], s[2:3]
	s_and_not1_b32 vcc_lo, exec_lo, s6
	s_cbranch_vccnz .LBB183_4
; %bb.3:
	s_wait_xcnt 0x0
	v_mov_b32_e32 v1, 0
	flat_load_b64 v[6:7], v1, s[2:3]
.LBB183_4:
	s_wait_loadcnt_dscnt 0x0
	v_cmp_neq_f64_e32 vcc_lo, 0, v[8:9]
	s_delay_alu instid0(VALU_DEP_2) | instskip(SKIP_1) | instid1(SALU_CYCLE_1)
	v_cmp_neq_f64_e64 s2, 1.0, v[6:7]
	s_or_b32 s2, vcc_lo, s2
	s_and_saveexec_b32 s3, s2
	s_cbranch_execz .LBB183_30
; %bb.5:
	s_clause 0x1
	s_load_b32 s18, s[0:1], 0x20
	s_load_b128 s[24:27], s[0:1], 0x10
	s_mov_b32 s3, 0
	s_bfe_u32 s13, ttmp6, 0x4000c
	s_and_b32 s16, ttmp6, 15
	s_add_co_i32 s13, s13, 1
	s_getreg_b32 s17, hwreg(HW_REG_IB_STS2, 6, 4)
	s_mul_i32 s13, ttmp9, s13
	v_mov_b32_e32 v11, 0
	s_add_co_i32 s16, s16, s13
	s_wait_kmcnt 0x0
	s_add_co_i32 s2, s18, 1
	s_lshr_b32 s19, 0x400, s18
	s_lshl_b64 s[4:5], s[2:3], 3
	v_lshrrev_b32_e32 v1, s18, v0
	s_add_nc_u64 s[4:5], s[26:27], s[4:5]
	s_clause 0x1
	s_load_b64 s[14:15], s[26:27], s18 offset:0x0 scale_offset
	s_load_b32 s2, s[4:5], 0x0
	v_bfe_u32 v10, v0, 0, s18
	s_wait_xcnt 0x0
	s_load_b256 s[4:11], s[0:1], 0x30
	s_wait_kmcnt 0x0
	s_sub_co_i32 s13, s2, s14
	s_cmp_eq_u32 s17, 0
	s_cselect_b32 s2, ttmp9, s16
	s_lshl_b64 s[14:15], s[14:15], 3
	s_mul_i32 s2, s19, s2
	s_delay_alu instid0(SALU_CYCLE_1) | instskip(SKIP_1) | instid1(SALU_CYCLE_1)
	v_add_nc_u32_e32 v1, s2, v1
	s_add_co_i32 s16, s2, s19
	s_min_u32 s20, s13, s16
	s_add_nc_u64 s[16:17], s[24:25], s[14:15]
	s_mov_b32 s13, s3
	s_mov_b32 s3, exec_lo
	v_cmpx_gt_u32_e64 s20, v1
	s_cbranch_execz .LBB183_9
; %bb.6:
	global_load_b64 v[2:3], v1, s[16:17] scale_offset
	s_wait_loadcnt 0x0
	v_lshl_add_u64 v[2:3], v[2:3], 3, s[4:5]
	global_load_b128 v[2:5], v[2:3], off
	s_wait_loadcnt 0x0
	v_sub_nc_u64_e32 v[4:5], v[4:5], v[2:3]
	s_delay_alu instid0(VALU_DEP_1)
	v_cmp_gt_i64_e32 vcc_lo, v[4:5], v[10:11]
	v_mov_b64_e32 v[4:5], 0
	s_and_saveexec_b32 s14, vcc_lo
	s_cbranch_execz .LBB183_8
; %bb.7:
	v_sub_nc_u64_e64 v[2:3], v[2:3], s[12:13]
	s_delay_alu instid0(VALU_DEP_1) | instskip(NEXT) | instid1(VALU_DEP_1)
	v_add_nc_u64_e32 v[2:3], v[2:3], v[10:11]
	v_lshl_add_u64 v[4:5], v[2:3], 3, s[6:7]
	v_lshl_add_u64 v[2:3], v[2:3], 2, s[8:9]
	global_load_b64 v[4:5], v[4:5], off
	global_load_b32 v1, v[2:3], off
	s_wait_loadcnt 0x1
	s_wait_xcnt 0x0
	v_sub_nc_u64_e64 v[2:3], v[4:5], s[12:13]
	s_wait_loadcnt 0x0
	v_cvt_f64_f32_e32 v[4:5], v1
	s_delay_alu instid0(VALU_DEP_2) | instskip(SKIP_3) | instid1(VALU_DEP_1)
	v_lshl_add_u64 v[2:3], v[2:3], 3, s[10:11]
	global_load_b64 v[2:3], v[2:3], off
	v_mul_f64_e32 v[4:5], v[8:9], v[4:5]
	s_wait_loadcnt 0x0
	v_mul_f64_e32 v[4:5], v[4:5], v[2:3]
.LBB183_8:
	s_or_b32 exec_lo, exec_lo, s14
	v_lshlrev_b32_e32 v1, 3, v0
	ds_store_b64 v1, v[4:5]
.LBB183_9:
	s_or_b32 exec_lo, exec_lo, s3
	s_load_b64 s[14:15], s[0:1], 0x58
	v_or_b32_e32 v1, 0x100, v0
	s_wait_xcnt 0x0
	s_mov_b32 s0, exec_lo
	s_delay_alu instid0(VALU_DEP_1) | instskip(NEXT) | instid1(VALU_DEP_1)
	v_lshrrev_b32_e32 v1, s18, v1
	v_add_nc_u32_e32 v1, s2, v1
	s_delay_alu instid0(VALU_DEP_1)
	v_cmpx_gt_u32_e64 s20, v1
	s_cbranch_execz .LBB183_13
; %bb.10:
	global_load_b64 v[2:3], v1, s[16:17] scale_offset
	s_wait_loadcnt 0x0
	v_lshl_add_u64 v[2:3], v[2:3], 3, s[4:5]
	global_load_b128 v[2:5], v[2:3], off
	s_wait_loadcnt 0x0
	v_sub_nc_u64_e32 v[4:5], v[4:5], v[2:3]
	s_delay_alu instid0(VALU_DEP_1)
	v_cmp_gt_i64_e32 vcc_lo, v[4:5], v[10:11]
	v_mov_b64_e32 v[4:5], 0
	s_and_saveexec_b32 s1, vcc_lo
	s_cbranch_execz .LBB183_12
; %bb.11:
	v_sub_nc_u64_e64 v[2:3], v[2:3], s[12:13]
	s_delay_alu instid0(VALU_DEP_1) | instskip(NEXT) | instid1(VALU_DEP_1)
	v_add_nc_u64_e32 v[2:3], v[2:3], v[10:11]
	v_lshl_add_u64 v[4:5], v[2:3], 3, s[6:7]
	v_lshl_add_u64 v[2:3], v[2:3], 2, s[8:9]
	global_load_b64 v[4:5], v[4:5], off
	global_load_b32 v1, v[2:3], off
	s_wait_loadcnt 0x1
	s_wait_xcnt 0x0
	v_sub_nc_u64_e64 v[2:3], v[4:5], s[12:13]
	s_wait_loadcnt 0x0
	v_cvt_f64_f32_e32 v[4:5], v1
	s_delay_alu instid0(VALU_DEP_2) | instskip(SKIP_3) | instid1(VALU_DEP_1)
	v_lshl_add_u64 v[2:3], v[2:3], 3, s[10:11]
	global_load_b64 v[2:3], v[2:3], off
	v_mul_f64_e32 v[4:5], v[8:9], v[4:5]
	s_wait_loadcnt 0x0
	v_mul_f64_e32 v[4:5], v[4:5], v[2:3]
.LBB183_12:
	s_or_b32 exec_lo, exec_lo, s1
	v_lshlrev_b32_e32 v1, 3, v0
	ds_store_b64 v1, v[4:5] offset:2048
.LBB183_13:
	s_or_b32 exec_lo, exec_lo, s0
	v_or_b32_e32 v1, 0x200, v0
	s_mov_b32 s0, exec_lo
	s_delay_alu instid0(VALU_DEP_1) | instskip(NEXT) | instid1(VALU_DEP_1)
	v_lshrrev_b32_e32 v1, s18, v1
	v_add_nc_u32_e32 v1, s2, v1
	s_delay_alu instid0(VALU_DEP_1)
	v_cmpx_gt_u32_e64 s20, v1
	s_cbranch_execz .LBB183_17
; %bb.14:
	global_load_b64 v[2:3], v1, s[16:17] scale_offset
	s_wait_loadcnt 0x0
	v_lshl_add_u64 v[2:3], v[2:3], 3, s[4:5]
	global_load_b128 v[2:5], v[2:3], off
	s_wait_loadcnt 0x0
	v_sub_nc_u64_e32 v[4:5], v[4:5], v[2:3]
	s_delay_alu instid0(VALU_DEP_1)
	v_cmp_gt_i64_e32 vcc_lo, v[4:5], v[10:11]
	v_mov_b64_e32 v[4:5], 0
	s_and_saveexec_b32 s1, vcc_lo
	s_cbranch_execz .LBB183_16
; %bb.15:
	v_sub_nc_u64_e64 v[2:3], v[2:3], s[12:13]
	s_delay_alu instid0(VALU_DEP_1) | instskip(NEXT) | instid1(VALU_DEP_1)
	v_add_nc_u64_e32 v[2:3], v[2:3], v[10:11]
	v_lshl_add_u64 v[4:5], v[2:3], 3, s[6:7]
	v_lshl_add_u64 v[2:3], v[2:3], 2, s[8:9]
	global_load_b64 v[4:5], v[4:5], off
	global_load_b32 v1, v[2:3], off
	s_wait_loadcnt 0x1
	s_wait_xcnt 0x0
	v_sub_nc_u64_e64 v[2:3], v[4:5], s[12:13]
	s_wait_loadcnt 0x0
	v_cvt_f64_f32_e32 v[4:5], v1
	s_delay_alu instid0(VALU_DEP_2) | instskip(SKIP_3) | instid1(VALU_DEP_1)
	v_lshl_add_u64 v[2:3], v[2:3], 3, s[10:11]
	global_load_b64 v[2:3], v[2:3], off
	v_mul_f64_e32 v[4:5], v[8:9], v[4:5]
	s_wait_loadcnt 0x0
	v_mul_f64_e32 v[4:5], v[4:5], v[2:3]
.LBB183_16:
	s_or_b32 exec_lo, exec_lo, s1
	v_lshlrev_b32_e32 v1, 3, v0
	ds_store_b64 v1, v[4:5] offset:4096
.LBB183_17:
	s_or_b32 exec_lo, exec_lo, s0
	v_or_b32_e32 v1, 0x300, v0
	s_mov_b32 s0, exec_lo
	s_delay_alu instid0(VALU_DEP_1) | instskip(NEXT) | instid1(VALU_DEP_1)
	v_lshrrev_b32_e32 v1, s18, v1
	v_add_nc_u32_e32 v1, s2, v1
	s_delay_alu instid0(VALU_DEP_1)
	v_cmpx_gt_u32_e64 s20, v1
	s_cbranch_execz .LBB183_21
; %bb.18:
	global_load_b64 v[2:3], v1, s[16:17] scale_offset
	s_wait_loadcnt 0x0
	v_lshl_add_u64 v[2:3], v[2:3], 3, s[4:5]
	global_load_b128 v[2:5], v[2:3], off
	s_wait_loadcnt 0x0
	v_sub_nc_u64_e32 v[4:5], v[4:5], v[2:3]
	s_delay_alu instid0(VALU_DEP_1)
	v_cmp_gt_i64_e32 vcc_lo, v[4:5], v[10:11]
	v_mov_b64_e32 v[4:5], 0
	s_and_saveexec_b32 s1, vcc_lo
	s_cbranch_execz .LBB183_20
; %bb.19:
	v_sub_nc_u64_e64 v[2:3], v[2:3], s[12:13]
	s_delay_alu instid0(VALU_DEP_1) | instskip(NEXT) | instid1(VALU_DEP_1)
	v_add_nc_u64_e32 v[2:3], v[2:3], v[10:11]
	v_lshl_add_u64 v[4:5], v[2:3], 3, s[6:7]
	v_lshl_add_u64 v[2:3], v[2:3], 2, s[8:9]
	global_load_b64 v[4:5], v[4:5], off
	global_load_b32 v1, v[2:3], off
	s_wait_loadcnt 0x1
	s_wait_xcnt 0x0
	v_sub_nc_u64_e64 v[2:3], v[4:5], s[12:13]
	s_wait_loadcnt 0x0
	v_cvt_f64_f32_e32 v[4:5], v1
	s_delay_alu instid0(VALU_DEP_2) | instskip(SKIP_3) | instid1(VALU_DEP_1)
	v_lshl_add_u64 v[2:3], v[2:3], 3, s[10:11]
	global_load_b64 v[2:3], v[2:3], off
	v_mul_f64_e32 v[4:5], v[8:9], v[4:5]
	s_wait_loadcnt 0x0
	v_mul_f64_e32 v[4:5], v[4:5], v[2:3]
.LBB183_20:
	s_or_b32 exec_lo, exec_lo, s1
	v_lshlrev_b32_e32 v1, 3, v0
	ds_store_b64 v1, v[4:5] offset:6144
.LBB183_21:
	s_or_b32 exec_lo, exec_lo, s0
	s_cmp_lt_u32 s18, 11
	s_wait_dscnt 0x0
	s_barrier_signal -1
	s_barrier_wait -1
	s_cbranch_scc0 .LBB183_30
; %bb.22:
	s_mov_b32 s3, 0
	s_sub_co_i32 s1, s20, s2
	s_lshl_b64 s[4:5], s[2:3], 3
	v_cmp_neq_f64_e32 vcc_lo, 0, v[6:7]
	s_add_nc_u64 s[4:5], s[16:17], s[4:5]
	s_branch .LBB183_25
.LBB183_23:                             ;   in Loop: Header=BB183_25 Depth=1
	s_wait_xcnt 0x0
	s_or_b32 exec_lo, exec_lo, s0
	global_store_b64 v[4:5], v[2:3], off
.LBB183_24:                             ;   in Loop: Header=BB183_25 Depth=1
	s_wait_xcnt 0x0
	s_or_b32 exec_lo, exec_lo, s2
	s_addk_co_i32 s3, 0x100
	s_delay_alu instid0(SALU_CYCLE_1)
	s_cmp_lt_u32 s3, s19
	s_cbranch_scc0 .LBB183_30
.LBB183_25:                             ; =>This Loop Header: Depth=1
                                        ;     Child Loop BB183_27 Depth 2
	v_add_nc_u32_e32 v1, s3, v0
	s_mov_b32 s2, exec_lo
	s_delay_alu instid0(VALU_DEP_1)
	v_cmpx_gt_u32_e64 s1, v1
	s_cbranch_execz .LBB183_24
; %bb.26:                               ;   in Loop: Header=BB183_25 Depth=1
	global_load_b64 v[4:5], v1, s[4:5] scale_offset
	s_wait_xcnt 0x0
	v_lshlrev_b32_e32 v1, s18, v1
	v_mov_b64_e32 v[2:3], 0
	s_mov_b32 s0, 1
	s_delay_alu instid0(VALU_DEP_2)
	v_lshlrev_b32_e32 v1, 3, v1
.LBB183_27:                             ;   Parent Loop BB183_25 Depth=1
                                        ; =>  This Inner Loop Header: Depth=2
	ds_load_b64 v[8:9], v1
	v_add_nc_u32_e32 v1, 8, v1
	s_lshr_b32 s6, s0, s18
	s_add_co_i32 s0, s0, 1
	s_cmp_lg_u32 s6, 0
	s_wait_dscnt 0x0
	v_add_f64_e32 v[2:3], v[2:3], v[8:9]
	s_cbranch_scc0 .LBB183_27
; %bb.28:                               ;   in Loop: Header=BB183_25 Depth=1
	s_wait_loadcnt 0x0
	s_wait_kmcnt 0x0
	v_lshl_add_u64 v[4:5], v[4:5], 3, s[14:15]
	s_and_saveexec_b32 s0, vcc_lo
	s_cbranch_execz .LBB183_23
; %bb.29:                               ;   in Loop: Header=BB183_25 Depth=1
	global_load_b64 v[8:9], v[4:5], off
	s_wait_loadcnt 0x0
	v_fmac_f64_e32 v[2:3], v[6:7], v[8:9]
	s_branch .LBB183_23
.LBB183_30:
	s_endpgm
	.section	.rodata,"a",@progbits
	.p2align	6, 0x0
	.amdhsa_kernel _ZN9rocsparseL30csrmvn_lrb_short_rows_2_kernelIllfdddEEvbT_PT0_S3_jNS_24const_host_device_scalarIT4_EEPKS1_PKS2_PKT1_PKT2_S6_PT3_21rocsparse_index_base_b
		.amdhsa_group_segment_fixed_size 8192
		.amdhsa_private_segment_fixed_size 0
		.amdhsa_kernarg_size 104
		.amdhsa_user_sgpr_count 2
		.amdhsa_user_sgpr_dispatch_ptr 0
		.amdhsa_user_sgpr_queue_ptr 0
		.amdhsa_user_sgpr_kernarg_segment_ptr 1
		.amdhsa_user_sgpr_dispatch_id 0
		.amdhsa_user_sgpr_kernarg_preload_length 0
		.amdhsa_user_sgpr_kernarg_preload_offset 0
		.amdhsa_user_sgpr_private_segment_size 0
		.amdhsa_wavefront_size32 1
		.amdhsa_uses_dynamic_stack 0
		.amdhsa_enable_private_segment 0
		.amdhsa_system_sgpr_workgroup_id_x 1
		.amdhsa_system_sgpr_workgroup_id_y 0
		.amdhsa_system_sgpr_workgroup_id_z 0
		.amdhsa_system_sgpr_workgroup_info 0
		.amdhsa_system_vgpr_workitem_id 0
		.amdhsa_next_free_vgpr 12
		.amdhsa_next_free_sgpr 28
		.amdhsa_named_barrier_count 0
		.amdhsa_reserve_vcc 1
		.amdhsa_float_round_mode_32 0
		.amdhsa_float_round_mode_16_64 0
		.amdhsa_float_denorm_mode_32 3
		.amdhsa_float_denorm_mode_16_64 3
		.amdhsa_fp16_overflow 0
		.amdhsa_memory_ordered 1
		.amdhsa_forward_progress 1
		.amdhsa_inst_pref_size 12
		.amdhsa_round_robin_scheduling 0
		.amdhsa_exception_fp_ieee_invalid_op 0
		.amdhsa_exception_fp_denorm_src 0
		.amdhsa_exception_fp_ieee_div_zero 0
		.amdhsa_exception_fp_ieee_overflow 0
		.amdhsa_exception_fp_ieee_underflow 0
		.amdhsa_exception_fp_ieee_inexact 0
		.amdhsa_exception_int_div_zero 0
	.end_amdhsa_kernel
	.section	.text._ZN9rocsparseL30csrmvn_lrb_short_rows_2_kernelIllfdddEEvbT_PT0_S3_jNS_24const_host_device_scalarIT4_EEPKS1_PKS2_PKT1_PKT2_S6_PT3_21rocsparse_index_base_b,"axG",@progbits,_ZN9rocsparseL30csrmvn_lrb_short_rows_2_kernelIllfdddEEvbT_PT0_S3_jNS_24const_host_device_scalarIT4_EEPKS1_PKS2_PKT1_PKT2_S6_PT3_21rocsparse_index_base_b,comdat
.Lfunc_end183:
	.size	_ZN9rocsparseL30csrmvn_lrb_short_rows_2_kernelIllfdddEEvbT_PT0_S3_jNS_24const_host_device_scalarIT4_EEPKS1_PKS2_PKT1_PKT2_S6_PT3_21rocsparse_index_base_b, .Lfunc_end183-_ZN9rocsparseL30csrmvn_lrb_short_rows_2_kernelIllfdddEEvbT_PT0_S3_jNS_24const_host_device_scalarIT4_EEPKS1_PKS2_PKT1_PKT2_S6_PT3_21rocsparse_index_base_b
                                        ; -- End function
	.set _ZN9rocsparseL30csrmvn_lrb_short_rows_2_kernelIllfdddEEvbT_PT0_S3_jNS_24const_host_device_scalarIT4_EEPKS1_PKS2_PKT1_PKT2_S6_PT3_21rocsparse_index_base_b.num_vgpr, 12
	.set _ZN9rocsparseL30csrmvn_lrb_short_rows_2_kernelIllfdddEEvbT_PT0_S3_jNS_24const_host_device_scalarIT4_EEPKS1_PKS2_PKT1_PKT2_S6_PT3_21rocsparse_index_base_b.num_agpr, 0
	.set _ZN9rocsparseL30csrmvn_lrb_short_rows_2_kernelIllfdddEEvbT_PT0_S3_jNS_24const_host_device_scalarIT4_EEPKS1_PKS2_PKT1_PKT2_S6_PT3_21rocsparse_index_base_b.numbered_sgpr, 28
	.set _ZN9rocsparseL30csrmvn_lrb_short_rows_2_kernelIllfdddEEvbT_PT0_S3_jNS_24const_host_device_scalarIT4_EEPKS1_PKS2_PKT1_PKT2_S6_PT3_21rocsparse_index_base_b.num_named_barrier, 0
	.set _ZN9rocsparseL30csrmvn_lrb_short_rows_2_kernelIllfdddEEvbT_PT0_S3_jNS_24const_host_device_scalarIT4_EEPKS1_PKS2_PKT1_PKT2_S6_PT3_21rocsparse_index_base_b.private_seg_size, 0
	.set _ZN9rocsparseL30csrmvn_lrb_short_rows_2_kernelIllfdddEEvbT_PT0_S3_jNS_24const_host_device_scalarIT4_EEPKS1_PKS2_PKT1_PKT2_S6_PT3_21rocsparse_index_base_b.uses_vcc, 1
	.set _ZN9rocsparseL30csrmvn_lrb_short_rows_2_kernelIllfdddEEvbT_PT0_S3_jNS_24const_host_device_scalarIT4_EEPKS1_PKS2_PKT1_PKT2_S6_PT3_21rocsparse_index_base_b.uses_flat_scratch, 0
	.set _ZN9rocsparseL30csrmvn_lrb_short_rows_2_kernelIllfdddEEvbT_PT0_S3_jNS_24const_host_device_scalarIT4_EEPKS1_PKS2_PKT1_PKT2_S6_PT3_21rocsparse_index_base_b.has_dyn_sized_stack, 0
	.set _ZN9rocsparseL30csrmvn_lrb_short_rows_2_kernelIllfdddEEvbT_PT0_S3_jNS_24const_host_device_scalarIT4_EEPKS1_PKS2_PKT1_PKT2_S6_PT3_21rocsparse_index_base_b.has_recursion, 0
	.set _ZN9rocsparseL30csrmvn_lrb_short_rows_2_kernelIllfdddEEvbT_PT0_S3_jNS_24const_host_device_scalarIT4_EEPKS1_PKS2_PKT1_PKT2_S6_PT3_21rocsparse_index_base_b.has_indirect_call, 0
	.section	.AMDGPU.csdata,"",@progbits
; Kernel info:
; codeLenInByte = 1496
; TotalNumSgprs: 30
; NumVgprs: 12
; ScratchSize: 0
; MemoryBound: 0
; FloatMode: 240
; IeeeMode: 1
; LDSByteSize: 8192 bytes/workgroup (compile time only)
; SGPRBlocks: 0
; VGPRBlocks: 0
; NumSGPRsForWavesPerEU: 30
; NumVGPRsForWavesPerEU: 12
; NamedBarCnt: 0
; Occupancy: 16
; WaveLimiterHint : 1
; COMPUTE_PGM_RSRC2:SCRATCH_EN: 0
; COMPUTE_PGM_RSRC2:USER_SGPR: 2
; COMPUTE_PGM_RSRC2:TRAP_HANDLER: 0
; COMPUTE_PGM_RSRC2:TGID_X_EN: 1
; COMPUTE_PGM_RSRC2:TGID_Y_EN: 0
; COMPUTE_PGM_RSRC2:TGID_Z_EN: 0
; COMPUTE_PGM_RSRC2:TIDIG_COMP_CNT: 0
	.section	.text._ZN9rocsparseL41csrmvn_lrb_medium_rows_warp_reduce_kernelILj256ELj32EllfdddEEvbT1_lPT2_S3_jNS_24const_host_device_scalarIT6_EEPKS1_PKS2_PKT3_PKT4_S6_PT5_21rocsparse_index_base_b,"axG",@progbits,_ZN9rocsparseL41csrmvn_lrb_medium_rows_warp_reduce_kernelILj256ELj32EllfdddEEvbT1_lPT2_S3_jNS_24const_host_device_scalarIT6_EEPKS1_PKS2_PKT3_PKT4_S6_PT5_21rocsparse_index_base_b,comdat
	.globl	_ZN9rocsparseL41csrmvn_lrb_medium_rows_warp_reduce_kernelILj256ELj32EllfdddEEvbT1_lPT2_S3_jNS_24const_host_device_scalarIT6_EEPKS1_PKS2_PKT3_PKT4_S6_PT5_21rocsparse_index_base_b ; -- Begin function _ZN9rocsparseL41csrmvn_lrb_medium_rows_warp_reduce_kernelILj256ELj32EllfdddEEvbT1_lPT2_S3_jNS_24const_host_device_scalarIT6_EEPKS1_PKS2_PKT3_PKT4_S6_PT5_21rocsparse_index_base_b
	.p2align	8
	.type	_ZN9rocsparseL41csrmvn_lrb_medium_rows_warp_reduce_kernelILj256ELj32EllfdddEEvbT1_lPT2_S3_jNS_24const_host_device_scalarIT6_EEPKS1_PKS2_PKT3_PKT4_S6_PT5_21rocsparse_index_base_b,@function
_ZN9rocsparseL41csrmvn_lrb_medium_rows_warp_reduce_kernelILj256ELj32EllfdddEEvbT1_lPT2_S3_jNS_24const_host_device_scalarIT6_EEPKS1_PKS2_PKT3_PKT4_S6_PT5_21rocsparse_index_base_b: ; @_ZN9rocsparseL41csrmvn_lrb_medium_rows_warp_reduce_kernelILj256ELj32EllfdddEEvbT1_lPT2_S3_jNS_24const_host_device_scalarIT6_EEPKS1_PKS2_PKT3_PKT4_S6_PT5_21rocsparse_index_base_b
; %bb.0:
	s_clause 0x2
	s_load_b64 s[4:5], s[0:1], 0x68
	s_load_b64 s[6:7], s[0:1], 0x30
	;; [unrolled: 1-line block ×3, first 2 shown]
	s_wait_kmcnt 0x0
	s_bitcmp1_b32 s5, 0
	v_mov_b64_e32 v[4:5], s[6:7]
	s_cselect_b32 s5, -1, 0
	s_delay_alu instid0(SALU_CYCLE_1)
	s_and_b32 vcc_lo, exec_lo, s5
	s_xor_b32 s5, s5, -1
	s_cbranch_vccnz .LBB184_2
; %bb.1:
	v_mov_b32_e32 v1, 0
	flat_load_b64 v[4:5], v1, s[6:7]
.LBB184_2:
	v_mov_b64_e32 v[2:3], s[2:3]
	s_and_not1_b32 vcc_lo, exec_lo, s5
	s_cbranch_vccnz .LBB184_4
; %bb.3:
	s_wait_xcnt 0x0
	v_mov_b32_e32 v1, 0
	flat_load_b64 v[2:3], v1, s[2:3]
.LBB184_4:
	s_wait_loadcnt_dscnt 0x0
	v_cmp_neq_f64_e32 vcc_lo, 0, v[4:5]
	s_delay_alu instid0(VALU_DEP_2) | instskip(SKIP_1) | instid1(SALU_CYCLE_1)
	v_cmp_neq_f64_e64 s2, 1.0, v[2:3]
	s_or_b32 s2, vcc_lo, s2
	s_and_saveexec_b32 s3, s2
	s_cbranch_execz .LBB184_14
; %bb.5:
	s_bfe_u32 s5, ttmp6, 0x4000c
	s_load_b64 s[2:3], s[0:1], 0x10
	s_add_co_i32 s5, s5, 1
	s_and_b32 s6, ttmp6, 15
	s_mul_i32 s5, ttmp9, s5
	s_getreg_b32 s7, hwreg(HW_REG_IB_STS2, 6, 4)
	v_lshrrev_b32_e32 v1, 5, v0
	s_add_co_i32 s6, s6, s5
	s_cmp_eq_u32 s7, 0
	s_cselect_b32 s5, ttmp9, s6
	s_delay_alu instid0(VALU_DEP_1) | instid1(SALU_CYCLE_1)
	v_lshl_or_b32 v6, s5, 3, v1
	s_mov_b32 s5, 0
	s_delay_alu instid0(VALU_DEP_1) | instskip(SKIP_1) | instid1(VALU_DEP_1)
	v_ashrrev_i32_e32 v7, 31, v6
	s_wait_kmcnt 0x0
	v_cmp_gt_i64_e32 vcc_lo, s[2:3], v[6:7]
	s_and_b32 exec_lo, exec_lo, vcc_lo
	s_cbranch_execz .LBB184_14
; %bb.6:
	s_clause 0x1
	s_load_b128 s[8:11], s[0:1], 0x18
	s_load_b32 s2, s[0:1], 0x28
	v_dual_mov_b32 v1, 0 :: v_dual_bitop2_b32 v0, 31, v0 bitop3:0x40
	s_mov_b32 s6, exec_lo
	s_delay_alu instid0(VALU_DEP_1) | instskip(SKIP_4) | instid1(SALU_CYCLE_1)
	v_sub_nc_u64_e64 v[12:13], v[0:1], s[4:5]
	s_wait_kmcnt 0x0
	s_load_b64 s[2:3], s[10:11], s2 offset:0x0 scale_offset
	s_wait_kmcnt 0x0
	s_lshl_b64 s[2:3], s[2:3], 3
	s_add_nc_u64 s[2:3], s[8:9], s[2:3]
	s_delay_alu instid0(SALU_CYCLE_1)
	v_lshl_add_u64 v[6:7], v[6:7], 3, s[2:3]
	s_load_b64 s[2:3], s[0:1], 0x38
	global_load_b64 v[6:7], v[6:7], off
	s_wait_loadcnt 0x0
	s_wait_kmcnt 0x0
	v_lshl_add_u64 v[8:9], v[6:7], 3, s[2:3]
	global_load_b128 v[8:11], v[8:9], off
	s_wait_loadcnt 0x0
	v_sub_nc_u64_e64 v[10:11], v[10:11], s[4:5]
	v_add_nc_u64_e32 v[12:13], v[8:9], v[12:13]
	v_mov_b64_e32 v[8:9], 0
	s_delay_alu instid0(VALU_DEP_2)
	v_cmpx_lt_i64_e64 v[12:13], v[10:11]
	s_cbranch_execz .LBB184_10
; %bb.7:
	s_clause 0x1
	s_load_b128 s[8:11], s[0:1], 0x40
	s_load_b64 s[2:3], s[0:1], 0x50
	v_mov_b64_e32 v[8:9], 0
	s_mov_b32 s7, 0
	s_wait_kmcnt 0x0
	v_lshl_add_u64 v[14:15], v[12:13], 2, s[10:11]
	v_lshl_add_u64 v[16:17], v[12:13], 3, s[8:9]
.LBB184_8:                              ; =>This Inner Loop Header: Depth=1
	global_load_b64 v[18:19], v[16:17], off
	global_load_b32 v1, v[14:15], off
	v_add_nc_u64_e32 v[12:13], 32, v[12:13]
	s_wait_xcnt 0x0
	v_add_nc_u64_e32 v[14:15], 0x80, v[14:15]
	v_add_nc_u64_e32 v[16:17], 0x100, v[16:17]
	s_delay_alu instid0(VALU_DEP_3)
	v_cmp_ge_i64_e32 vcc_lo, v[12:13], v[10:11]
	s_or_b32 s7, vcc_lo, s7
	s_wait_loadcnt 0x1
	v_sub_nc_u64_e64 v[18:19], v[18:19], s[4:5]
	s_wait_loadcnt 0x0
	v_cvt_f64_f32_e32 v[20:21], v1
	s_delay_alu instid0(VALU_DEP_2) | instskip(SKIP_3) | instid1(VALU_DEP_1)
	v_lshl_add_u64 v[18:19], v[18:19], 3, s[2:3]
	global_load_b64 v[18:19], v[18:19], off
	v_mul_f64_e32 v[20:21], v[4:5], v[20:21]
	s_wait_loadcnt 0x0
	v_fmac_f64_e32 v[8:9], v[20:21], v[18:19]
	s_and_not1_b32 exec_lo, exec_lo, s7
	s_cbranch_execnz .LBB184_8
; %bb.9:
	s_or_b32 exec_lo, exec_lo, s7
.LBB184_10:
	s_delay_alu instid0(SALU_CYCLE_1) | instskip(SKIP_2) | instid1(VALU_DEP_1)
	s_or_b32 exec_lo, exec_lo, s6
	v_mbcnt_lo_u32_b32 v1, -1, 0
	s_load_b64 s[0:1], s[0:1], 0x60
	v_xor_b32_e32 v4, 16, v1
	s_delay_alu instid0(VALU_DEP_1) | instskip(SKIP_1) | instid1(VALU_DEP_1)
	v_cmp_gt_i32_e32 vcc_lo, 32, v4
	v_cndmask_b32_e32 v4, v1, v4, vcc_lo
	v_lshlrev_b32_e32 v5, 2, v4
	ds_bpermute_b32 v4, v5, v8
	ds_bpermute_b32 v5, v5, v9
	s_wait_dscnt 0x0
	v_add_f64_e32 v[4:5], v[8:9], v[4:5]
	v_xor_b32_e32 v8, 8, v1
	s_delay_alu instid0(VALU_DEP_1) | instskip(SKIP_1) | instid1(VALU_DEP_1)
	v_cmp_gt_i32_e32 vcc_lo, 32, v8
	v_cndmask_b32_e32 v8, v1, v8, vcc_lo
	v_lshlrev_b32_e32 v9, 2, v8
	ds_bpermute_b32 v8, v9, v4
	ds_bpermute_b32 v9, v9, v5
	s_wait_dscnt 0x0
	v_add_f64_e32 v[4:5], v[4:5], v[8:9]
	;; [unrolled: 9-line block ×4, first 2 shown]
	v_xor_b32_e32 v8, 1, v1
	s_delay_alu instid0(VALU_DEP_1) | instskip(SKIP_2) | instid1(VALU_DEP_2)
	v_cmp_gt_i32_e32 vcc_lo, 32, v8
	v_cndmask_b32_e32 v1, v1, v8, vcc_lo
	v_cmp_eq_u32_e32 vcc_lo, 31, v0
	v_lshlrev_b32_e32 v1, 2, v1
	ds_bpermute_b32 v8, v1, v4
	ds_bpermute_b32 v9, v1, v5
	s_and_b32 exec_lo, exec_lo, vcc_lo
	s_cbranch_execz .LBB184_14
; %bb.11:
	s_wait_dscnt 0x0
	v_add_f64_e32 v[0:1], v[4:5], v[8:9]
	s_wait_kmcnt 0x0
	v_lshl_add_u64 v[4:5], v[6:7], 3, s[0:1]
	s_mov_b32 s0, exec_lo
	v_cmpx_neq_f64_e32 0, v[2:3]
	s_cbranch_execz .LBB184_13
; %bb.12:
	global_load_b64 v[6:7], v[4:5], off
	s_wait_loadcnt 0x0
	v_fmac_f64_e32 v[0:1], v[2:3], v[6:7]
.LBB184_13:
	s_or_b32 exec_lo, exec_lo, s0
	global_store_b64 v[4:5], v[0:1], off
.LBB184_14:
	s_endpgm
	.section	.rodata,"a",@progbits
	.p2align	6, 0x0
	.amdhsa_kernel _ZN9rocsparseL41csrmvn_lrb_medium_rows_warp_reduce_kernelILj256ELj32EllfdddEEvbT1_lPT2_S3_jNS_24const_host_device_scalarIT6_EEPKS1_PKS2_PKT3_PKT4_S6_PT5_21rocsparse_index_base_b
		.amdhsa_group_segment_fixed_size 0
		.amdhsa_private_segment_fixed_size 0
		.amdhsa_kernarg_size 112
		.amdhsa_user_sgpr_count 2
		.amdhsa_user_sgpr_dispatch_ptr 0
		.amdhsa_user_sgpr_queue_ptr 0
		.amdhsa_user_sgpr_kernarg_segment_ptr 1
		.amdhsa_user_sgpr_dispatch_id 0
		.amdhsa_user_sgpr_kernarg_preload_length 0
		.amdhsa_user_sgpr_kernarg_preload_offset 0
		.amdhsa_user_sgpr_private_segment_size 0
		.amdhsa_wavefront_size32 1
		.amdhsa_uses_dynamic_stack 0
		.amdhsa_enable_private_segment 0
		.amdhsa_system_sgpr_workgroup_id_x 1
		.amdhsa_system_sgpr_workgroup_id_y 0
		.amdhsa_system_sgpr_workgroup_id_z 0
		.amdhsa_system_sgpr_workgroup_info 0
		.amdhsa_system_vgpr_workitem_id 0
		.amdhsa_next_free_vgpr 22
		.amdhsa_next_free_sgpr 12
		.amdhsa_named_barrier_count 0
		.amdhsa_reserve_vcc 1
		.amdhsa_float_round_mode_32 0
		.amdhsa_float_round_mode_16_64 0
		.amdhsa_float_denorm_mode_32 3
		.amdhsa_float_denorm_mode_16_64 3
		.amdhsa_fp16_overflow 0
		.amdhsa_memory_ordered 1
		.amdhsa_forward_progress 1
		.amdhsa_inst_pref_size 7
		.amdhsa_round_robin_scheduling 0
		.amdhsa_exception_fp_ieee_invalid_op 0
		.amdhsa_exception_fp_denorm_src 0
		.amdhsa_exception_fp_ieee_div_zero 0
		.amdhsa_exception_fp_ieee_overflow 0
		.amdhsa_exception_fp_ieee_underflow 0
		.amdhsa_exception_fp_ieee_inexact 0
		.amdhsa_exception_int_div_zero 0
	.end_amdhsa_kernel
	.section	.text._ZN9rocsparseL41csrmvn_lrb_medium_rows_warp_reduce_kernelILj256ELj32EllfdddEEvbT1_lPT2_S3_jNS_24const_host_device_scalarIT6_EEPKS1_PKS2_PKT3_PKT4_S6_PT5_21rocsparse_index_base_b,"axG",@progbits,_ZN9rocsparseL41csrmvn_lrb_medium_rows_warp_reduce_kernelILj256ELj32EllfdddEEvbT1_lPT2_S3_jNS_24const_host_device_scalarIT6_EEPKS1_PKS2_PKT3_PKT4_S6_PT5_21rocsparse_index_base_b,comdat
.Lfunc_end184:
	.size	_ZN9rocsparseL41csrmvn_lrb_medium_rows_warp_reduce_kernelILj256ELj32EllfdddEEvbT1_lPT2_S3_jNS_24const_host_device_scalarIT6_EEPKS1_PKS2_PKT3_PKT4_S6_PT5_21rocsparse_index_base_b, .Lfunc_end184-_ZN9rocsparseL41csrmvn_lrb_medium_rows_warp_reduce_kernelILj256ELj32EllfdddEEvbT1_lPT2_S3_jNS_24const_host_device_scalarIT6_EEPKS1_PKS2_PKT3_PKT4_S6_PT5_21rocsparse_index_base_b
                                        ; -- End function
	.set _ZN9rocsparseL41csrmvn_lrb_medium_rows_warp_reduce_kernelILj256ELj32EllfdddEEvbT1_lPT2_S3_jNS_24const_host_device_scalarIT6_EEPKS1_PKS2_PKT3_PKT4_S6_PT5_21rocsparse_index_base_b.num_vgpr, 22
	.set _ZN9rocsparseL41csrmvn_lrb_medium_rows_warp_reduce_kernelILj256ELj32EllfdddEEvbT1_lPT2_S3_jNS_24const_host_device_scalarIT6_EEPKS1_PKS2_PKT3_PKT4_S6_PT5_21rocsparse_index_base_b.num_agpr, 0
	.set _ZN9rocsparseL41csrmvn_lrb_medium_rows_warp_reduce_kernelILj256ELj32EllfdddEEvbT1_lPT2_S3_jNS_24const_host_device_scalarIT6_EEPKS1_PKS2_PKT3_PKT4_S6_PT5_21rocsparse_index_base_b.numbered_sgpr, 12
	.set _ZN9rocsparseL41csrmvn_lrb_medium_rows_warp_reduce_kernelILj256ELj32EllfdddEEvbT1_lPT2_S3_jNS_24const_host_device_scalarIT6_EEPKS1_PKS2_PKT3_PKT4_S6_PT5_21rocsparse_index_base_b.num_named_barrier, 0
	.set _ZN9rocsparseL41csrmvn_lrb_medium_rows_warp_reduce_kernelILj256ELj32EllfdddEEvbT1_lPT2_S3_jNS_24const_host_device_scalarIT6_EEPKS1_PKS2_PKT3_PKT4_S6_PT5_21rocsparse_index_base_b.private_seg_size, 0
	.set _ZN9rocsparseL41csrmvn_lrb_medium_rows_warp_reduce_kernelILj256ELj32EllfdddEEvbT1_lPT2_S3_jNS_24const_host_device_scalarIT6_EEPKS1_PKS2_PKT3_PKT4_S6_PT5_21rocsparse_index_base_b.uses_vcc, 1
	.set _ZN9rocsparseL41csrmvn_lrb_medium_rows_warp_reduce_kernelILj256ELj32EllfdddEEvbT1_lPT2_S3_jNS_24const_host_device_scalarIT6_EEPKS1_PKS2_PKT3_PKT4_S6_PT5_21rocsparse_index_base_b.uses_flat_scratch, 0
	.set _ZN9rocsparseL41csrmvn_lrb_medium_rows_warp_reduce_kernelILj256ELj32EllfdddEEvbT1_lPT2_S3_jNS_24const_host_device_scalarIT6_EEPKS1_PKS2_PKT3_PKT4_S6_PT5_21rocsparse_index_base_b.has_dyn_sized_stack, 0
	.set _ZN9rocsparseL41csrmvn_lrb_medium_rows_warp_reduce_kernelILj256ELj32EllfdddEEvbT1_lPT2_S3_jNS_24const_host_device_scalarIT6_EEPKS1_PKS2_PKT3_PKT4_S6_PT5_21rocsparse_index_base_b.has_recursion, 0
	.set _ZN9rocsparseL41csrmvn_lrb_medium_rows_warp_reduce_kernelILj256ELj32EllfdddEEvbT1_lPT2_S3_jNS_24const_host_device_scalarIT6_EEPKS1_PKS2_PKT3_PKT4_S6_PT5_21rocsparse_index_base_b.has_indirect_call, 0
	.section	.AMDGPU.csdata,"",@progbits
; Kernel info:
; codeLenInByte = 892
; TotalNumSgprs: 14
; NumVgprs: 22
; ScratchSize: 0
; MemoryBound: 0
; FloatMode: 240
; IeeeMode: 1
; LDSByteSize: 0 bytes/workgroup (compile time only)
; SGPRBlocks: 0
; VGPRBlocks: 1
; NumSGPRsForWavesPerEU: 14
; NumVGPRsForWavesPerEU: 22
; NamedBarCnt: 0
; Occupancy: 16
; WaveLimiterHint : 1
; COMPUTE_PGM_RSRC2:SCRATCH_EN: 0
; COMPUTE_PGM_RSRC2:USER_SGPR: 2
; COMPUTE_PGM_RSRC2:TRAP_HANDLER: 0
; COMPUTE_PGM_RSRC2:TGID_X_EN: 1
; COMPUTE_PGM_RSRC2:TGID_Y_EN: 0
; COMPUTE_PGM_RSRC2:TGID_Z_EN: 0
; COMPUTE_PGM_RSRC2:TIDIG_COMP_CNT: 0
	.section	.text._ZN9rocsparseL41csrmvn_lrb_medium_rows_warp_reduce_kernelILj256ELj64EllfdddEEvbT1_lPT2_S3_jNS_24const_host_device_scalarIT6_EEPKS1_PKS2_PKT3_PKT4_S6_PT5_21rocsparse_index_base_b,"axG",@progbits,_ZN9rocsparseL41csrmvn_lrb_medium_rows_warp_reduce_kernelILj256ELj64EllfdddEEvbT1_lPT2_S3_jNS_24const_host_device_scalarIT6_EEPKS1_PKS2_PKT3_PKT4_S6_PT5_21rocsparse_index_base_b,comdat
	.globl	_ZN9rocsparseL41csrmvn_lrb_medium_rows_warp_reduce_kernelILj256ELj64EllfdddEEvbT1_lPT2_S3_jNS_24const_host_device_scalarIT6_EEPKS1_PKS2_PKT3_PKT4_S6_PT5_21rocsparse_index_base_b ; -- Begin function _ZN9rocsparseL41csrmvn_lrb_medium_rows_warp_reduce_kernelILj256ELj64EllfdddEEvbT1_lPT2_S3_jNS_24const_host_device_scalarIT6_EEPKS1_PKS2_PKT3_PKT4_S6_PT5_21rocsparse_index_base_b
	.p2align	8
	.type	_ZN9rocsparseL41csrmvn_lrb_medium_rows_warp_reduce_kernelILj256ELj64EllfdddEEvbT1_lPT2_S3_jNS_24const_host_device_scalarIT6_EEPKS1_PKS2_PKT3_PKT4_S6_PT5_21rocsparse_index_base_b,@function
_ZN9rocsparseL41csrmvn_lrb_medium_rows_warp_reduce_kernelILj256ELj64EllfdddEEvbT1_lPT2_S3_jNS_24const_host_device_scalarIT6_EEPKS1_PKS2_PKT3_PKT4_S6_PT5_21rocsparse_index_base_b: ; @_ZN9rocsparseL41csrmvn_lrb_medium_rows_warp_reduce_kernelILj256ELj64EllfdddEEvbT1_lPT2_S3_jNS_24const_host_device_scalarIT6_EEPKS1_PKS2_PKT3_PKT4_S6_PT5_21rocsparse_index_base_b
; %bb.0:
	s_clause 0x2
	s_load_b64 s[4:5], s[0:1], 0x68
	s_load_b64 s[6:7], s[0:1], 0x30
	;; [unrolled: 1-line block ×3, first 2 shown]
	s_wait_kmcnt 0x0
	s_bitcmp1_b32 s5, 0
	v_mov_b64_e32 v[6:7], s[6:7]
	s_cselect_b32 s5, -1, 0
	s_delay_alu instid0(SALU_CYCLE_1)
	s_and_b32 vcc_lo, exec_lo, s5
	s_xor_b32 s5, s5, -1
	s_cbranch_vccnz .LBB185_2
; %bb.1:
	v_mov_b32_e32 v1, 0
	flat_load_b64 v[6:7], v1, s[6:7]
.LBB185_2:
	v_mov_b64_e32 v[2:3], s[2:3]
	s_and_not1_b32 vcc_lo, exec_lo, s5
	s_cbranch_vccnz .LBB185_4
; %bb.3:
	s_wait_xcnt 0x0
	v_mov_b32_e32 v1, 0
	flat_load_b64 v[2:3], v1, s[2:3]
.LBB185_4:
	s_wait_loadcnt_dscnt 0x0
	v_cmp_neq_f64_e32 vcc_lo, 0, v[6:7]
	s_delay_alu instid0(VALU_DEP_2) | instskip(SKIP_1) | instid1(SALU_CYCLE_1)
	v_cmp_neq_f64_e64 s2, 1.0, v[2:3]
	s_or_b32 s2, vcc_lo, s2
	s_and_saveexec_b32 s3, s2
	s_cbranch_execz .LBB185_14
; %bb.5:
	s_bfe_u32 s5, ttmp6, 0x4000c
	s_load_b64 s[2:3], s[0:1], 0x10
	s_add_co_i32 s5, s5, 1
	s_and_b32 s6, ttmp6, 15
	s_mul_i32 s5, ttmp9, s5
	s_getreg_b32 s7, hwreg(HW_REG_IB_STS2, 6, 4)
	v_lshrrev_b32_e32 v1, 6, v0
	s_add_co_i32 s6, s6, s5
	s_cmp_eq_u32 s7, 0
	s_cselect_b32 s5, ttmp9, s6
	s_delay_alu instid0(VALU_DEP_1) | instid1(SALU_CYCLE_1)
	v_lshl_or_b32 v4, s5, 2, v1
	s_mov_b32 s5, 0
	s_delay_alu instid0(VALU_DEP_1) | instskip(SKIP_1) | instid1(VALU_DEP_1)
	v_ashrrev_i32_e32 v5, 31, v4
	s_wait_kmcnt 0x0
	v_cmp_gt_i64_e32 vcc_lo, s[2:3], v[4:5]
	s_and_b32 exec_lo, exec_lo, vcc_lo
	s_cbranch_execz .LBB185_14
; %bb.6:
	s_clause 0x1
	s_load_b128 s[8:11], s[0:1], 0x18
	s_load_b32 s2, s[0:1], 0x28
	v_dual_mov_b32 v1, 0 :: v_dual_bitop2_b32 v0, 63, v0 bitop3:0x40
	s_mov_b32 s6, exec_lo
	s_delay_alu instid0(VALU_DEP_1) | instskip(SKIP_4) | instid1(SALU_CYCLE_1)
	v_sub_nc_u64_e64 v[12:13], v[0:1], s[4:5]
	s_wait_kmcnt 0x0
	s_load_b64 s[2:3], s[10:11], s2 offset:0x0 scale_offset
	s_wait_kmcnt 0x0
	s_lshl_b64 s[2:3], s[2:3], 3
	s_add_nc_u64 s[2:3], s[8:9], s[2:3]
	s_delay_alu instid0(SALU_CYCLE_1)
	v_lshl_add_u64 v[4:5], v[4:5], 3, s[2:3]
	s_load_b64 s[2:3], s[0:1], 0x38
	global_load_b64 v[4:5], v[4:5], off
	s_wait_loadcnt 0x0
	s_wait_kmcnt 0x0
	v_lshl_add_u64 v[8:9], v[4:5], 3, s[2:3]
	global_load_b128 v[8:11], v[8:9], off
	s_wait_loadcnt 0x0
	v_sub_nc_u64_e64 v[10:11], v[10:11], s[4:5]
	v_add_nc_u64_e32 v[12:13], v[8:9], v[12:13]
	v_mov_b64_e32 v[8:9], 0
	s_delay_alu instid0(VALU_DEP_2)
	v_cmpx_lt_i64_e64 v[12:13], v[10:11]
	s_cbranch_execz .LBB185_10
; %bb.7:
	s_clause 0x1
	s_load_b128 s[8:11], s[0:1], 0x40
	s_load_b64 s[2:3], s[0:1], 0x50
	v_mov_b64_e32 v[8:9], 0
	s_mov_b32 s7, 0
	s_wait_kmcnt 0x0
	v_lshl_add_u64 v[14:15], v[12:13], 2, s[10:11]
	v_lshl_add_u64 v[16:17], v[12:13], 3, s[8:9]
.LBB185_8:                              ; =>This Inner Loop Header: Depth=1
	global_load_b64 v[18:19], v[16:17], off
	global_load_b32 v1, v[14:15], off
	v_add_nc_u64_e32 v[12:13], 64, v[12:13]
	s_wait_xcnt 0x0
	v_add_nc_u64_e32 v[14:15], 0x100, v[14:15]
	v_add_nc_u64_e32 v[16:17], 0x200, v[16:17]
	s_delay_alu instid0(VALU_DEP_3)
	v_cmp_ge_i64_e32 vcc_lo, v[12:13], v[10:11]
	s_or_b32 s7, vcc_lo, s7
	s_wait_loadcnt 0x1
	v_sub_nc_u64_e64 v[18:19], v[18:19], s[4:5]
	s_wait_loadcnt 0x0
	v_cvt_f64_f32_e32 v[20:21], v1
	s_delay_alu instid0(VALU_DEP_2) | instskip(SKIP_3) | instid1(VALU_DEP_1)
	v_lshl_add_u64 v[18:19], v[18:19], 3, s[2:3]
	global_load_b64 v[18:19], v[18:19], off
	v_mul_f64_e32 v[20:21], v[6:7], v[20:21]
	s_wait_loadcnt 0x0
	v_fmac_f64_e32 v[8:9], v[20:21], v[18:19]
	s_and_not1_b32 exec_lo, exec_lo, s7
	s_cbranch_execnz .LBB185_8
; %bb.9:
	s_or_b32 exec_lo, exec_lo, s7
.LBB185_10:
	s_delay_alu instid0(SALU_CYCLE_1) | instskip(SKIP_2) | instid1(VALU_DEP_1)
	s_or_b32 exec_lo, exec_lo, s6
	v_mbcnt_lo_u32_b32 v1, -1, 0
	s_load_b64 s[0:1], s[0:1], 0x60
	v_or_b32_e32 v6, 32, v1
	s_delay_alu instid0(VALU_DEP_1) | instskip(SKIP_1) | instid1(VALU_DEP_1)
	v_cmp_gt_i32_e32 vcc_lo, 32, v6
	v_cndmask_b32_e32 v6, v1, v6, vcc_lo
	v_lshlrev_b32_e32 v7, 2, v6
	ds_bpermute_b32 v6, v7, v8
	ds_bpermute_b32 v7, v7, v9
	s_wait_dscnt 0x0
	v_dual_add_f64 v[6:7], v[8:9], v[6:7] :: v_dual_bitop2_b32 v8, 16, v1 bitop3:0x14
	s_delay_alu instid0(VALU_DEP_1) | instskip(SKIP_1) | instid1(VALU_DEP_1)
	v_cmp_gt_i32_e32 vcc_lo, 32, v8
	v_cndmask_b32_e32 v8, v1, v8, vcc_lo
	v_lshlrev_b32_e32 v9, 2, v8
	ds_bpermute_b32 v8, v9, v6
	ds_bpermute_b32 v9, v9, v7
	s_wait_dscnt 0x0
	v_add_f64_e32 v[6:7], v[6:7], v[8:9]
	v_xor_b32_e32 v8, 8, v1
	s_delay_alu instid0(VALU_DEP_1) | instskip(SKIP_1) | instid1(VALU_DEP_1)
	v_cmp_gt_i32_e32 vcc_lo, 32, v8
	v_cndmask_b32_e32 v8, v1, v8, vcc_lo
	v_lshlrev_b32_e32 v9, 2, v8
	ds_bpermute_b32 v8, v9, v6
	ds_bpermute_b32 v9, v9, v7
	s_wait_dscnt 0x0
	v_add_f64_e32 v[6:7], v[6:7], v[8:9]
	v_xor_b32_e32 v8, 4, v1
	;; [unrolled: 9-line block ×4, first 2 shown]
	s_delay_alu instid0(VALU_DEP_1) | instskip(SKIP_2) | instid1(VALU_DEP_2)
	v_cmp_gt_i32_e32 vcc_lo, 32, v8
	v_cndmask_b32_e32 v1, v1, v8, vcc_lo
	v_cmp_eq_u32_e32 vcc_lo, 63, v0
	v_lshlrev_b32_e32 v1, 2, v1
	ds_bpermute_b32 v8, v1, v6
	ds_bpermute_b32 v9, v1, v7
	s_and_b32 exec_lo, exec_lo, vcc_lo
	s_cbranch_execz .LBB185_14
; %bb.11:
	s_wait_dscnt 0x0
	v_add_f64_e32 v[0:1], v[6:7], v[8:9]
	s_wait_kmcnt 0x0
	v_lshl_add_u64 v[4:5], v[4:5], 3, s[0:1]
	s_mov_b32 s0, exec_lo
	v_cmpx_neq_f64_e32 0, v[2:3]
	s_cbranch_execz .LBB185_13
; %bb.12:
	global_load_b64 v[6:7], v[4:5], off
	s_wait_loadcnt 0x0
	v_fmac_f64_e32 v[0:1], v[2:3], v[6:7]
.LBB185_13:
	s_or_b32 exec_lo, exec_lo, s0
	global_store_b64 v[4:5], v[0:1], off
.LBB185_14:
	s_endpgm
	.section	.rodata,"a",@progbits
	.p2align	6, 0x0
	.amdhsa_kernel _ZN9rocsparseL41csrmvn_lrb_medium_rows_warp_reduce_kernelILj256ELj64EllfdddEEvbT1_lPT2_S3_jNS_24const_host_device_scalarIT6_EEPKS1_PKS2_PKT3_PKT4_S6_PT5_21rocsparse_index_base_b
		.amdhsa_group_segment_fixed_size 0
		.amdhsa_private_segment_fixed_size 0
		.amdhsa_kernarg_size 112
		.amdhsa_user_sgpr_count 2
		.amdhsa_user_sgpr_dispatch_ptr 0
		.amdhsa_user_sgpr_queue_ptr 0
		.amdhsa_user_sgpr_kernarg_segment_ptr 1
		.amdhsa_user_sgpr_dispatch_id 0
		.amdhsa_user_sgpr_kernarg_preload_length 0
		.amdhsa_user_sgpr_kernarg_preload_offset 0
		.amdhsa_user_sgpr_private_segment_size 0
		.amdhsa_wavefront_size32 1
		.amdhsa_uses_dynamic_stack 0
		.amdhsa_enable_private_segment 0
		.amdhsa_system_sgpr_workgroup_id_x 1
		.amdhsa_system_sgpr_workgroup_id_y 0
		.amdhsa_system_sgpr_workgroup_id_z 0
		.amdhsa_system_sgpr_workgroup_info 0
		.amdhsa_system_vgpr_workitem_id 0
		.amdhsa_next_free_vgpr 22
		.amdhsa_next_free_sgpr 12
		.amdhsa_named_barrier_count 0
		.amdhsa_reserve_vcc 1
		.amdhsa_float_round_mode_32 0
		.amdhsa_float_round_mode_16_64 0
		.amdhsa_float_denorm_mode_32 3
		.amdhsa_float_denorm_mode_16_64 3
		.amdhsa_fp16_overflow 0
		.amdhsa_memory_ordered 1
		.amdhsa_forward_progress 1
		.amdhsa_inst_pref_size 8
		.amdhsa_round_robin_scheduling 0
		.amdhsa_exception_fp_ieee_invalid_op 0
		.amdhsa_exception_fp_denorm_src 0
		.amdhsa_exception_fp_ieee_div_zero 0
		.amdhsa_exception_fp_ieee_overflow 0
		.amdhsa_exception_fp_ieee_underflow 0
		.amdhsa_exception_fp_ieee_inexact 0
		.amdhsa_exception_int_div_zero 0
	.end_amdhsa_kernel
	.section	.text._ZN9rocsparseL41csrmvn_lrb_medium_rows_warp_reduce_kernelILj256ELj64EllfdddEEvbT1_lPT2_S3_jNS_24const_host_device_scalarIT6_EEPKS1_PKS2_PKT3_PKT4_S6_PT5_21rocsparse_index_base_b,"axG",@progbits,_ZN9rocsparseL41csrmvn_lrb_medium_rows_warp_reduce_kernelILj256ELj64EllfdddEEvbT1_lPT2_S3_jNS_24const_host_device_scalarIT6_EEPKS1_PKS2_PKT3_PKT4_S6_PT5_21rocsparse_index_base_b,comdat
.Lfunc_end185:
	.size	_ZN9rocsparseL41csrmvn_lrb_medium_rows_warp_reduce_kernelILj256ELj64EllfdddEEvbT1_lPT2_S3_jNS_24const_host_device_scalarIT6_EEPKS1_PKS2_PKT3_PKT4_S6_PT5_21rocsparse_index_base_b, .Lfunc_end185-_ZN9rocsparseL41csrmvn_lrb_medium_rows_warp_reduce_kernelILj256ELj64EllfdddEEvbT1_lPT2_S3_jNS_24const_host_device_scalarIT6_EEPKS1_PKS2_PKT3_PKT4_S6_PT5_21rocsparse_index_base_b
                                        ; -- End function
	.set _ZN9rocsparseL41csrmvn_lrb_medium_rows_warp_reduce_kernelILj256ELj64EllfdddEEvbT1_lPT2_S3_jNS_24const_host_device_scalarIT6_EEPKS1_PKS2_PKT3_PKT4_S6_PT5_21rocsparse_index_base_b.num_vgpr, 22
	.set _ZN9rocsparseL41csrmvn_lrb_medium_rows_warp_reduce_kernelILj256ELj64EllfdddEEvbT1_lPT2_S3_jNS_24const_host_device_scalarIT6_EEPKS1_PKS2_PKT3_PKT4_S6_PT5_21rocsparse_index_base_b.num_agpr, 0
	.set _ZN9rocsparseL41csrmvn_lrb_medium_rows_warp_reduce_kernelILj256ELj64EllfdddEEvbT1_lPT2_S3_jNS_24const_host_device_scalarIT6_EEPKS1_PKS2_PKT3_PKT4_S6_PT5_21rocsparse_index_base_b.numbered_sgpr, 12
	.set _ZN9rocsparseL41csrmvn_lrb_medium_rows_warp_reduce_kernelILj256ELj64EllfdddEEvbT1_lPT2_S3_jNS_24const_host_device_scalarIT6_EEPKS1_PKS2_PKT3_PKT4_S6_PT5_21rocsparse_index_base_b.num_named_barrier, 0
	.set _ZN9rocsparseL41csrmvn_lrb_medium_rows_warp_reduce_kernelILj256ELj64EllfdddEEvbT1_lPT2_S3_jNS_24const_host_device_scalarIT6_EEPKS1_PKS2_PKT3_PKT4_S6_PT5_21rocsparse_index_base_b.private_seg_size, 0
	.set _ZN9rocsparseL41csrmvn_lrb_medium_rows_warp_reduce_kernelILj256ELj64EllfdddEEvbT1_lPT2_S3_jNS_24const_host_device_scalarIT6_EEPKS1_PKS2_PKT3_PKT4_S6_PT5_21rocsparse_index_base_b.uses_vcc, 1
	.set _ZN9rocsparseL41csrmvn_lrb_medium_rows_warp_reduce_kernelILj256ELj64EllfdddEEvbT1_lPT2_S3_jNS_24const_host_device_scalarIT6_EEPKS1_PKS2_PKT3_PKT4_S6_PT5_21rocsparse_index_base_b.uses_flat_scratch, 0
	.set _ZN9rocsparseL41csrmvn_lrb_medium_rows_warp_reduce_kernelILj256ELj64EllfdddEEvbT1_lPT2_S3_jNS_24const_host_device_scalarIT6_EEPKS1_PKS2_PKT3_PKT4_S6_PT5_21rocsparse_index_base_b.has_dyn_sized_stack, 0
	.set _ZN9rocsparseL41csrmvn_lrb_medium_rows_warp_reduce_kernelILj256ELj64EllfdddEEvbT1_lPT2_S3_jNS_24const_host_device_scalarIT6_EEPKS1_PKS2_PKT3_PKT4_S6_PT5_21rocsparse_index_base_b.has_recursion, 0
	.set _ZN9rocsparseL41csrmvn_lrb_medium_rows_warp_reduce_kernelILj256ELj64EllfdddEEvbT1_lPT2_S3_jNS_24const_host_device_scalarIT6_EEPKS1_PKS2_PKT3_PKT4_S6_PT5_21rocsparse_index_base_b.has_indirect_call, 0
	.section	.AMDGPU.csdata,"",@progbits
; Kernel info:
; codeLenInByte = 940
; TotalNumSgprs: 14
; NumVgprs: 22
; ScratchSize: 0
; MemoryBound: 0
; FloatMode: 240
; IeeeMode: 1
; LDSByteSize: 0 bytes/workgroup (compile time only)
; SGPRBlocks: 0
; VGPRBlocks: 1
; NumSGPRsForWavesPerEU: 14
; NumVGPRsForWavesPerEU: 22
; NamedBarCnt: 0
; Occupancy: 16
; WaveLimiterHint : 1
; COMPUTE_PGM_RSRC2:SCRATCH_EN: 0
; COMPUTE_PGM_RSRC2:USER_SGPR: 2
; COMPUTE_PGM_RSRC2:TRAP_HANDLER: 0
; COMPUTE_PGM_RSRC2:TGID_X_EN: 1
; COMPUTE_PGM_RSRC2:TGID_Y_EN: 0
; COMPUTE_PGM_RSRC2:TGID_Z_EN: 0
; COMPUTE_PGM_RSRC2:TIDIG_COMP_CNT: 0
	.section	.text._ZN9rocsparseL29csrmvn_lrb_medium_rows_kernelILj256EllfdddEEvbT0_PT1_S3_jNS_24const_host_device_scalarIT5_EEPKS1_PKS2_PKT2_PKT3_S6_PT4_21rocsparse_index_base_b,"axG",@progbits,_ZN9rocsparseL29csrmvn_lrb_medium_rows_kernelILj256EllfdddEEvbT0_PT1_S3_jNS_24const_host_device_scalarIT5_EEPKS1_PKS2_PKT2_PKT3_S6_PT4_21rocsparse_index_base_b,comdat
	.globl	_ZN9rocsparseL29csrmvn_lrb_medium_rows_kernelILj256EllfdddEEvbT0_PT1_S3_jNS_24const_host_device_scalarIT5_EEPKS1_PKS2_PKT2_PKT3_S6_PT4_21rocsparse_index_base_b ; -- Begin function _ZN9rocsparseL29csrmvn_lrb_medium_rows_kernelILj256EllfdddEEvbT0_PT1_S3_jNS_24const_host_device_scalarIT5_EEPKS1_PKS2_PKT2_PKT3_S6_PT4_21rocsparse_index_base_b
	.p2align	8
	.type	_ZN9rocsparseL29csrmvn_lrb_medium_rows_kernelILj256EllfdddEEvbT0_PT1_S3_jNS_24const_host_device_scalarIT5_EEPKS1_PKS2_PKT2_PKT3_S6_PT4_21rocsparse_index_base_b,@function
_ZN9rocsparseL29csrmvn_lrb_medium_rows_kernelILj256EllfdddEEvbT0_PT1_S3_jNS_24const_host_device_scalarIT5_EEPKS1_PKS2_PKT2_PKT3_S6_PT4_21rocsparse_index_base_b: ; @_ZN9rocsparseL29csrmvn_lrb_medium_rows_kernelILj256EllfdddEEvbT0_PT1_S3_jNS_24const_host_device_scalarIT5_EEPKS1_PKS2_PKT2_PKT3_S6_PT4_21rocsparse_index_base_b
; %bb.0:
	s_clause 0x2
	s_load_b64 s[4:5], s[0:1], 0x60
	s_load_b64 s[6:7], s[0:1], 0x28
	;; [unrolled: 1-line block ×3, first 2 shown]
	s_wait_kmcnt 0x0
	s_bitcmp1_b32 s5, 0
	v_mov_b64_e32 v[4:5], s[6:7]
	s_cselect_b32 s5, -1, 0
	s_delay_alu instid0(SALU_CYCLE_1)
	s_and_b32 vcc_lo, exec_lo, s5
	s_xor_b32 s5, s5, -1
	s_cbranch_vccnz .LBB186_2
; %bb.1:
	v_mov_b32_e32 v1, 0
	flat_load_b64 v[4:5], v1, s[6:7]
.LBB186_2:
	v_mov_b64_e32 v[2:3], s[2:3]
	s_and_not1_b32 vcc_lo, exec_lo, s5
	s_cbranch_vccnz .LBB186_4
; %bb.3:
	s_wait_xcnt 0x0
	v_mov_b32_e32 v1, 0
	flat_load_b64 v[2:3], v1, s[2:3]
.LBB186_4:
	s_wait_loadcnt_dscnt 0x0
	v_cmp_neq_f64_e32 vcc_lo, 0, v[4:5]
	s_delay_alu instid0(VALU_DEP_2) | instskip(SKIP_1) | instid1(SALU_CYCLE_1)
	v_cmp_neq_f64_e64 s2, 1.0, v[2:3]
	s_or_b32 s2, vcc_lo, s2
	s_and_saveexec_b32 s3, s2
	s_cbranch_execz .LBB186_29
; %bb.5:
	s_clause 0x1
	s_load_b128 s[8:11], s[0:1], 0x10
	s_load_b32 s2, s[0:1], 0x20
	s_bfe_u32 s5, ttmp6, 0x4000c
	s_and_b32 s6, ttmp6, 15
	s_add_co_i32 s5, s5, 1
	s_getreg_b32 s7, hwreg(HW_REG_IB_STS2, 6, 4)
	s_mul_i32 s5, ttmp9, s5
	v_mov_b32_e32 v1, 0
	s_add_co_i32 s6, s6, s5
	s_cmp_eq_u32 s7, 0
	s_mov_b32 s5, 0
	s_cselect_b32 s6, ttmp9, s6
	v_sub_nc_u64_e64 v[6:7], v[0:1], s[4:5]
	s_ashr_i32 s7, s6, 31
	s_delay_alu instid0(SALU_CYCLE_1) | instskip(SKIP_4) | instid1(SALU_CYCLE_1)
	s_lshl_b64 s[6:7], s[6:7], 3
	s_wait_kmcnt 0x0
	s_load_b64 s[2:3], s[10:11], s2 offset:0x0 scale_offset
	s_wait_kmcnt 0x0
	s_lshl_b64 s[2:3], s[2:3], 3
	s_add_nc_u64 s[2:3], s[8:9], s[2:3]
	s_delay_alu instid0(SALU_CYCLE_1) | instskip(SKIP_4) | instid1(SALU_CYCLE_1)
	s_add_nc_u64 s[2:3], s[2:3], s[6:7]
	s_load_b64 s[6:7], s[2:3], 0x0
	s_load_b64 s[8:9], s[0:1], 0x30
	s_wait_kmcnt 0x0
	s_lshl_b64 s[2:3], s[6:7], 3
	s_add_nc_u64 s[6:7], s[8:9], s[2:3]
	s_load_b128 s[8:11], s[6:7], 0x0
	s_wait_kmcnt 0x0
	v_add_nc_u64_e32 v[8:9], s[8:9], v[6:7]
	v_mov_b64_e32 v[6:7], 0
	s_sub_nc_u64 s[6:7], s[10:11], s[4:5]
	s_mov_b32 s10, exec_lo
	s_delay_alu instid0(VALU_DEP_2)
	v_cmpx_gt_i64_e64 s[6:7], v[8:9]
	s_cbranch_execz .LBB186_9
; %bb.6:
	s_clause 0x1
	s_load_b128 s[12:15], s[0:1], 0x38
	s_load_b64 s[8:9], s[0:1], 0x48
	v_mov_b64_e32 v[6:7], 0
	s_mov_b32 s11, s5
	s_wait_kmcnt 0x0
	v_lshl_add_u64 v[10:11], v[8:9], 2, s[14:15]
	v_lshl_add_u64 v[12:13], v[8:9], 3, s[12:13]
.LBB186_7:                              ; =>This Inner Loop Header: Depth=1
	global_load_b64 v[14:15], v[12:13], off
	global_load_b32 v1, v[10:11], off
	v_add_nc_u64_e32 v[8:9], 0x100, v[8:9]
	s_wait_xcnt 0x0
	v_add_nc_u64_e32 v[10:11], 0x400, v[10:11]
	v_add_nc_u64_e32 v[12:13], 0x800, v[12:13]
	s_delay_alu instid0(VALU_DEP_3)
	v_cmp_le_i64_e32 vcc_lo, s[6:7], v[8:9]
	s_or_b32 s11, vcc_lo, s11
	s_wait_loadcnt 0x1
	v_sub_nc_u64_e64 v[14:15], v[14:15], s[4:5]
	s_wait_loadcnt 0x0
	v_cvt_f64_f32_e32 v[16:17], v1
	s_delay_alu instid0(VALU_DEP_2) | instskip(SKIP_3) | instid1(VALU_DEP_1)
	v_lshl_add_u64 v[14:15], v[14:15], 3, s[8:9]
	global_load_b64 v[14:15], v[14:15], off
	v_mul_f64_e32 v[16:17], v[4:5], v[16:17]
	s_wait_loadcnt 0x0
	v_fmac_f64_e32 v[6:7], v[16:17], v[14:15]
	s_and_not1_b32 exec_lo, exec_lo, s11
	s_cbranch_execnz .LBB186_7
; %bb.8:
	s_or_b32 exec_lo, exec_lo, s11
.LBB186_9:
	s_delay_alu instid0(SALU_CYCLE_1)
	s_or_b32 exec_lo, exec_lo, s10
	s_load_b64 s[0:1], s[0:1], 0x58
	v_lshlrev_b32_e32 v1, 3, v0
	s_mov_b32 s4, exec_lo
	ds_store_b64 v1, v[6:7]
	s_wait_dscnt 0x0
	s_barrier_signal -1
	s_barrier_wait -1
	v_cmpx_gt_u32_e32 0x80, v0
	s_cbranch_execz .LBB186_11
; %bb.10:
	ds_load_2addr_stride64_b64 v[4:7], v1 offset1:2
	s_wait_dscnt 0x0
	v_add_f64_e32 v[4:5], v[4:5], v[6:7]
	ds_store_b64 v1, v[4:5]
.LBB186_11:
	s_or_b32 exec_lo, exec_lo, s4
	s_delay_alu instid0(SALU_CYCLE_1)
	s_mov_b32 s4, exec_lo
	s_wait_dscnt 0x0
	s_barrier_signal -1
	s_barrier_wait -1
	v_cmpx_gt_u32_e32 64, v0
	s_cbranch_execz .LBB186_13
; %bb.12:
	ds_load_2addr_stride64_b64 v[4:7], v1 offset1:1
	s_wait_dscnt 0x0
	v_add_f64_e32 v[4:5], v[4:5], v[6:7]
	ds_store_b64 v1, v[4:5]
.LBB186_13:
	s_or_b32 exec_lo, exec_lo, s4
	s_delay_alu instid0(SALU_CYCLE_1)
	s_mov_b32 s4, exec_lo
	s_wait_dscnt 0x0
	s_barrier_signal -1
	s_barrier_wait -1
	v_cmpx_gt_u32_e32 32, v0
	s_cbranch_execz .LBB186_15
; %bb.14:
	ds_load_2addr_b64 v[4:7], v1 offset1:32
	s_wait_dscnt 0x0
	v_add_f64_e32 v[4:5], v[4:5], v[6:7]
	ds_store_b64 v1, v[4:5]
.LBB186_15:
	s_or_b32 exec_lo, exec_lo, s4
	s_delay_alu instid0(SALU_CYCLE_1)
	s_mov_b32 s4, exec_lo
	s_wait_dscnt 0x0
	s_barrier_signal -1
	s_barrier_wait -1
	v_cmpx_gt_u32_e32 16, v0
	s_cbranch_execz .LBB186_17
; %bb.16:
	ds_load_2addr_b64 v[4:7], v1 offset1:16
	s_wait_dscnt 0x0
	v_add_f64_e32 v[4:5], v[4:5], v[6:7]
	ds_store_b64 v1, v[4:5]
.LBB186_17:
	;; [unrolled: 14-line block ×5, first 2 shown]
	s_or_b32 exec_lo, exec_lo, s4
	v_cmp_eq_u32_e32 vcc_lo, 0, v0
	s_wait_dscnt 0x0
	s_barrier_signal -1
	s_barrier_wait -1
	s_and_saveexec_b32 s4, vcc_lo
	s_cbranch_execz .LBB186_25
; %bb.24:
	v_mov_b32_e32 v8, 0
	ds_load_b128 v[4:7], v8
	s_wait_dscnt 0x0
	v_add_f64_e32 v[0:1], v[4:5], v[6:7]
	ds_store_b64 v8, v[0:1]
.LBB186_25:
	s_or_b32 exec_lo, exec_lo, s4
	s_wait_dscnt 0x0
	s_barrier_signal -1
	s_barrier_wait -1
	s_and_b32 exec_lo, exec_lo, vcc_lo
	s_cbranch_execz .LBB186_29
; %bb.26:
	v_mov_b32_e32 v4, 0
	s_mov_b32 s4, exec_lo
	ds_load_b64 v[0:1], v4
	v_cmpx_neq_f64_e32 0, v[2:3]
	s_cbranch_execz .LBB186_28
; %bb.27:
	s_wait_kmcnt 0x0
	s_add_nc_u64 s[6:7], s[0:1], s[2:3]
	s_load_b64 s[6:7], s[6:7], 0x0
	s_wait_dscnt 0x0
	s_wait_kmcnt 0x0
	v_fmac_f64_e32 v[0:1], s[6:7], v[2:3]
.LBB186_28:
	s_or_b32 exec_lo, exec_lo, s4
	s_wait_kmcnt 0x0
	s_add_nc_u64 s[0:1], s[0:1], s[2:3]
	s_wait_dscnt 0x0
	global_store_b64 v4, v[0:1], s[0:1]
.LBB186_29:
	s_endpgm
	.section	.rodata,"a",@progbits
	.p2align	6, 0x0
	.amdhsa_kernel _ZN9rocsparseL29csrmvn_lrb_medium_rows_kernelILj256EllfdddEEvbT0_PT1_S3_jNS_24const_host_device_scalarIT5_EEPKS1_PKS2_PKT2_PKT3_S6_PT4_21rocsparse_index_base_b
		.amdhsa_group_segment_fixed_size 2048
		.amdhsa_private_segment_fixed_size 0
		.amdhsa_kernarg_size 104
		.amdhsa_user_sgpr_count 2
		.amdhsa_user_sgpr_dispatch_ptr 0
		.amdhsa_user_sgpr_queue_ptr 0
		.amdhsa_user_sgpr_kernarg_segment_ptr 1
		.amdhsa_user_sgpr_dispatch_id 0
		.amdhsa_user_sgpr_kernarg_preload_length 0
		.amdhsa_user_sgpr_kernarg_preload_offset 0
		.amdhsa_user_sgpr_private_segment_size 0
		.amdhsa_wavefront_size32 1
		.amdhsa_uses_dynamic_stack 0
		.amdhsa_enable_private_segment 0
		.amdhsa_system_sgpr_workgroup_id_x 1
		.amdhsa_system_sgpr_workgroup_id_y 0
		.amdhsa_system_sgpr_workgroup_id_z 0
		.amdhsa_system_sgpr_workgroup_info 0
		.amdhsa_system_vgpr_workitem_id 0
		.amdhsa_next_free_vgpr 18
		.amdhsa_next_free_sgpr 16
		.amdhsa_named_barrier_count 0
		.amdhsa_reserve_vcc 1
		.amdhsa_float_round_mode_32 0
		.amdhsa_float_round_mode_16_64 0
		.amdhsa_float_denorm_mode_32 3
		.amdhsa_float_denorm_mode_16_64 3
		.amdhsa_fp16_overflow 0
		.amdhsa_memory_ordered 1
		.amdhsa_forward_progress 1
		.amdhsa_inst_pref_size 9
		.amdhsa_round_robin_scheduling 0
		.amdhsa_exception_fp_ieee_invalid_op 0
		.amdhsa_exception_fp_denorm_src 0
		.amdhsa_exception_fp_ieee_div_zero 0
		.amdhsa_exception_fp_ieee_overflow 0
		.amdhsa_exception_fp_ieee_underflow 0
		.amdhsa_exception_fp_ieee_inexact 0
		.amdhsa_exception_int_div_zero 0
	.end_amdhsa_kernel
	.section	.text._ZN9rocsparseL29csrmvn_lrb_medium_rows_kernelILj256EllfdddEEvbT0_PT1_S3_jNS_24const_host_device_scalarIT5_EEPKS1_PKS2_PKT2_PKT3_S6_PT4_21rocsparse_index_base_b,"axG",@progbits,_ZN9rocsparseL29csrmvn_lrb_medium_rows_kernelILj256EllfdddEEvbT0_PT1_S3_jNS_24const_host_device_scalarIT5_EEPKS1_PKS2_PKT2_PKT3_S6_PT4_21rocsparse_index_base_b,comdat
.Lfunc_end186:
	.size	_ZN9rocsparseL29csrmvn_lrb_medium_rows_kernelILj256EllfdddEEvbT0_PT1_S3_jNS_24const_host_device_scalarIT5_EEPKS1_PKS2_PKT2_PKT3_S6_PT4_21rocsparse_index_base_b, .Lfunc_end186-_ZN9rocsparseL29csrmvn_lrb_medium_rows_kernelILj256EllfdddEEvbT0_PT1_S3_jNS_24const_host_device_scalarIT5_EEPKS1_PKS2_PKT2_PKT3_S6_PT4_21rocsparse_index_base_b
                                        ; -- End function
	.set _ZN9rocsparseL29csrmvn_lrb_medium_rows_kernelILj256EllfdddEEvbT0_PT1_S3_jNS_24const_host_device_scalarIT5_EEPKS1_PKS2_PKT2_PKT3_S6_PT4_21rocsparse_index_base_b.num_vgpr, 18
	.set _ZN9rocsparseL29csrmvn_lrb_medium_rows_kernelILj256EllfdddEEvbT0_PT1_S3_jNS_24const_host_device_scalarIT5_EEPKS1_PKS2_PKT2_PKT3_S6_PT4_21rocsparse_index_base_b.num_agpr, 0
	.set _ZN9rocsparseL29csrmvn_lrb_medium_rows_kernelILj256EllfdddEEvbT0_PT1_S3_jNS_24const_host_device_scalarIT5_EEPKS1_PKS2_PKT2_PKT3_S6_PT4_21rocsparse_index_base_b.numbered_sgpr, 16
	.set _ZN9rocsparseL29csrmvn_lrb_medium_rows_kernelILj256EllfdddEEvbT0_PT1_S3_jNS_24const_host_device_scalarIT5_EEPKS1_PKS2_PKT2_PKT3_S6_PT4_21rocsparse_index_base_b.num_named_barrier, 0
	.set _ZN9rocsparseL29csrmvn_lrb_medium_rows_kernelILj256EllfdddEEvbT0_PT1_S3_jNS_24const_host_device_scalarIT5_EEPKS1_PKS2_PKT2_PKT3_S6_PT4_21rocsparse_index_base_b.private_seg_size, 0
	.set _ZN9rocsparseL29csrmvn_lrb_medium_rows_kernelILj256EllfdddEEvbT0_PT1_S3_jNS_24const_host_device_scalarIT5_EEPKS1_PKS2_PKT2_PKT3_S6_PT4_21rocsparse_index_base_b.uses_vcc, 1
	.set _ZN9rocsparseL29csrmvn_lrb_medium_rows_kernelILj256EllfdddEEvbT0_PT1_S3_jNS_24const_host_device_scalarIT5_EEPKS1_PKS2_PKT2_PKT3_S6_PT4_21rocsparse_index_base_b.uses_flat_scratch, 0
	.set _ZN9rocsparseL29csrmvn_lrb_medium_rows_kernelILj256EllfdddEEvbT0_PT1_S3_jNS_24const_host_device_scalarIT5_EEPKS1_PKS2_PKT2_PKT3_S6_PT4_21rocsparse_index_base_b.has_dyn_sized_stack, 0
	.set _ZN9rocsparseL29csrmvn_lrb_medium_rows_kernelILj256EllfdddEEvbT0_PT1_S3_jNS_24const_host_device_scalarIT5_EEPKS1_PKS2_PKT2_PKT3_S6_PT4_21rocsparse_index_base_b.has_recursion, 0
	.set _ZN9rocsparseL29csrmvn_lrb_medium_rows_kernelILj256EllfdddEEvbT0_PT1_S3_jNS_24const_host_device_scalarIT5_EEPKS1_PKS2_PKT2_PKT3_S6_PT4_21rocsparse_index_base_b.has_indirect_call, 0
	.section	.AMDGPU.csdata,"",@progbits
; Kernel info:
; codeLenInByte = 1088
; TotalNumSgprs: 18
; NumVgprs: 18
; ScratchSize: 0
; MemoryBound: 0
; FloatMode: 240
; IeeeMode: 1
; LDSByteSize: 2048 bytes/workgroup (compile time only)
; SGPRBlocks: 0
; VGPRBlocks: 1
; NumSGPRsForWavesPerEU: 18
; NumVGPRsForWavesPerEU: 18
; NamedBarCnt: 0
; Occupancy: 16
; WaveLimiterHint : 1
; COMPUTE_PGM_RSRC2:SCRATCH_EN: 0
; COMPUTE_PGM_RSRC2:USER_SGPR: 2
; COMPUTE_PGM_RSRC2:TRAP_HANDLER: 0
; COMPUTE_PGM_RSRC2:TGID_X_EN: 1
; COMPUTE_PGM_RSRC2:TGID_Y_EN: 0
; COMPUTE_PGM_RSRC2:TGID_Z_EN: 0
; COMPUTE_PGM_RSRC2:TIDIG_COMP_CNT: 0
	.section	.text._ZN9rocsparseL27csrmvn_lrb_long_rows_kernelIllfdddEEvbT_PjPT0_S4_jNS_24const_host_device_scalarIT4_EEPKS1_PKS3_PKT1_PKT2_S7_PT3_21rocsparse_index_base_b,"axG",@progbits,_ZN9rocsparseL27csrmvn_lrb_long_rows_kernelIllfdddEEvbT_PjPT0_S4_jNS_24const_host_device_scalarIT4_EEPKS1_PKS3_PKT1_PKT2_S7_PT3_21rocsparse_index_base_b,comdat
	.globl	_ZN9rocsparseL27csrmvn_lrb_long_rows_kernelIllfdddEEvbT_PjPT0_S4_jNS_24const_host_device_scalarIT4_EEPKS1_PKS3_PKT1_PKT2_S7_PT3_21rocsparse_index_base_b ; -- Begin function _ZN9rocsparseL27csrmvn_lrb_long_rows_kernelIllfdddEEvbT_PjPT0_S4_jNS_24const_host_device_scalarIT4_EEPKS1_PKS3_PKT1_PKT2_S7_PT3_21rocsparse_index_base_b
	.p2align	8
	.type	_ZN9rocsparseL27csrmvn_lrb_long_rows_kernelIllfdddEEvbT_PjPT0_S4_jNS_24const_host_device_scalarIT4_EEPKS1_PKS3_PKT1_PKT2_S7_PT3_21rocsparse_index_base_b,@function
_ZN9rocsparseL27csrmvn_lrb_long_rows_kernelIllfdddEEvbT_PjPT0_S4_jNS_24const_host_device_scalarIT4_EEPKS1_PKS3_PKT1_PKT2_S7_PT3_21rocsparse_index_base_b: ; @_ZN9rocsparseL27csrmvn_lrb_long_rows_kernelIllfdddEEvbT_PjPT0_S4_jNS_24const_host_device_scalarIT4_EEPKS1_PKS3_PKT1_PKT2_S7_PT3_21rocsparse_index_base_b
; %bb.0:
	s_clause 0x2
	s_load_b64 s[18:19], s[0:1], 0x68
	s_load_b64 s[4:5], s[0:1], 0x30
	;; [unrolled: 1-line block ×3, first 2 shown]
	s_wait_kmcnt 0x0
	s_bitcmp1_b32 s19, 0
	v_mov_b64_e32 v[2:3], s[4:5]
	s_cselect_b32 s6, -1, 0
	s_delay_alu instid0(SALU_CYCLE_1)
	s_and_b32 vcc_lo, exec_lo, s6
	s_xor_b32 s6, s6, -1
	s_cbranch_vccnz .LBB187_2
; %bb.1:
	v_mov_b32_e32 v1, 0
	flat_load_b64 v[2:3], v1, s[4:5]
.LBB187_2:
	v_mov_b64_e32 v[4:5], s[2:3]
	s_and_not1_b32 vcc_lo, exec_lo, s6
	s_cbranch_vccnz .LBB187_4
; %bb.3:
	s_wait_xcnt 0x0
	v_mov_b32_e32 v1, 0
	flat_load_b64 v[4:5], v1, s[2:3]
.LBB187_4:
	s_wait_loadcnt_dscnt 0x0
	v_cmp_neq_f64_e32 vcc_lo, 0, v[2:3]
	s_delay_alu instid0(VALU_DEP_2) | instskip(SKIP_1) | instid1(SALU_CYCLE_1)
	v_cmp_neq_f64_e64 s2, 1.0, v[4:5]
	s_or_b32 s2, vcc_lo, s2
	s_and_saveexec_b32 s3, s2
	s_cbranch_execz .LBB187_38
; %bb.5:
	s_clause 0x1
	s_load_b96 s[8:10], s[0:1], 0x20
	s_load_b128 s[4:7], s[0:1], 0x10
	s_bfe_u32 s12, ttmp6, 0x4000c
	s_and_b32 s11, ttmp6, 15
	s_add_co_i32 s12, s12, 1
	s_getreg_b32 s13, hwreg(HW_REG_IB_STS2, 6, 4)
	v_mov_b64_e32 v[6:7], 0
	s_mov_b32 s23, exec_lo
	s_wait_kmcnt 0x0
	s_lshl_b32 s2, -1, s10
	s_delay_alu instid0(SALU_CYCLE_1) | instskip(NEXT) | instid1(SALU_CYCLE_1)
	s_not_b32 s2, s2
	s_mul_hi_u32 s2, s2, 0x2aaaaaab
	s_delay_alu instid0(SALU_CYCLE_1) | instskip(NEXT) | instid1(SALU_CYCLE_1)
	s_lshr_b32 s2, s2, 7
	s_add_co_i32 s19, s2, 1
	s_not_b32 s2, s2
	s_cvt_f32_u32 s3, s19
	s_delay_alu instid0(SALU_CYCLE_3) | instskip(SKIP_1) | instid1(TRANS32_DEP_1)
	v_rcp_iflag_f32_e32 v1, s3
	v_nop
	v_readfirstlane_b32 s3, v1
	s_mul_f32 s3, s3, 0x4f7ffffe
	s_delay_alu instid0(SALU_CYCLE_3) | instskip(SKIP_1) | instid1(SALU_CYCLE_1)
	s_cvt_u32_f32 s14, s3
	s_mul_i32 s3, ttmp9, s12
	s_add_co_i32 s11, s11, s3
	s_delay_alu instid0(SALU_CYCLE_1) | instskip(NEXT) | instid1(SALU_CYCLE_1)
	s_mul_i32 s2, s2, s14
	s_mul_hi_u32 s12, s14, s2
	s_load_b64 s[2:3], s[8:9], s10 offset:0x0 scale_offset
	s_add_co_i32 s14, s14, s12
	s_cmp_eq_u32 s13, 0
	s_cselect_b32 s16, ttmp9, s11
	s_wait_xcnt 0x0
	s_mul_hi_u32 s8, s16, s14
	s_delay_alu instid0(SALU_CYCLE_1) | instskip(SKIP_2) | instid1(SALU_CYCLE_1)
	s_mul_i32 s9, s8, s19
	s_add_co_i32 s10, s8, 1
	s_sub_co_i32 s9, s16, s9
	s_sub_co_i32 s11, s9, s19
	s_cmp_ge_u32 s9, s19
	s_cselect_b32 s8, s10, s8
	s_cselect_b32 s9, s11, s9
	s_add_co_i32 s10, s8, 1
	s_cmp_ge_u32 s9, s19
	s_cselect_b32 s20, s10, s8
	s_wait_kmcnt 0x0
	s_lshl_b64 s[2:3], s[2:3], 3
	s_ashr_i32 s17, s16, 31
	s_add_nc_u64 s[6:7], s[6:7], s[2:3]
	s_load_b64 s[8:9], s[6:7], s20 offset:0x0 scale_offset
	s_clause 0x1
	s_load_b64 s[10:11], s[0:1], 0x38
	s_load_b64 s[2:3], s[0:1], 0x60
	s_wait_xcnt 0x0
	s_mul_i32 s20, s20, s19
	s_mov_b32 s19, 0
	s_wait_kmcnt 0x0
	s_lshl_b64 s[6:7], s[8:9], 3
	s_lshl_b64 s[8:9], s[16:17], 2
	s_add_nc_u64 s[14:15], s[10:11], s[6:7]
	s_add_nc_u64 s[12:13], s[4:5], s[8:9]
	s_load_b128 s[8:11], s[14:15], 0x0
	s_load_b32 s22, s[12:13], 0x0
	s_wait_xcnt 0x0
	s_sub_co_i32 s14, s16, s20
	s_mov_b32 s15, s19
	v_or_b32_e32 v1, s14, v0
	s_sub_nc_u64 s[16:17], s[16:17], s[14:15]
	s_delay_alu instid0(VALU_DEP_1)
	v_cmpx_eq_u32_e32 0, v1
	s_cbranch_execz .LBB187_9
; %bb.6:
	v_add_f64_e32 v[4:5], -1.0, v[4:5]
	s_add_nc_u64 s[20:21], s[2:3], s[6:7]
	s_mov_b32 s24, exec_lo
	s_load_b64 s[20:21], s[20:21], 0x0
	v_mbcnt_lo_u32_b32 v1, s24, 0
	s_mov_b32 s25, exec_lo
	global_wb scope:SCOPE_DEV
	s_wait_storecnt 0x0
	global_inv scope:SCOPE_DEV
	v_cmpx_eq_u32_e32 0, v1
	s_cbranch_execz .LBB187_8
; %bb.7:
	s_bcnt1_i32_b32 s24, s24
	s_lshl_b64 s[26:27], s[16:17], 2
	s_and_b32 s24, s24, 1
	s_delay_alu instid0(SALU_CYCLE_1)
	v_dual_mov_b32 v1, 0 :: v_dual_mov_b32 v6, s24
	s_add_nc_u64 s[26:27], s[4:5], s[26:27]
	s_wait_xcnt 0x0
	global_atomic_xor_b32 v1, v6, s[26:27] scope:SCOPE_DEV
.LBB187_8:
	s_wait_xcnt 0x0
	s_or_b32 exec_lo, exec_lo, s25
	s_wait_kmcnt 0x0
	v_mul_f64_e32 v[6:7], s[20:21], v[4:5]
.LBB187_9:
	s_or_b32 exec_lo, exec_lo, s23
	s_mul_u64 s[20:21], s[14:15], 0x300
	s_wait_kmcnt 0x0
	s_sub_nc_u64 s[8:9], s[8:9], s[18:19]
	s_sub_nc_u64 s[10:11], s[10:11], s[18:19]
	s_add_nc_u64 s[8:9], s[8:9], s[20:21]
	v_mov_b32_e32 v1, 0
	s_add_nc_u64 s[20:21], s[8:9], 0x300
	s_delay_alu instid0(SALU_CYCLE_1) | instskip(SKIP_1) | instid1(VALU_DEP_2)
	v_min_i64 v[4:5], s[20:21], s[10:11]
	s_mov_b32 s10, exec_lo
	v_add_nc_u64_e32 v[8:9], s[8:9], v[0:1]
	s_delay_alu instid0(VALU_DEP_1)
	v_cmpx_lt_i64_e64 v[8:9], v[4:5]
	s_cbranch_execz .LBB187_13
; %bb.10:
	s_clause 0x1
	s_load_b128 s[24:27], s[0:1], 0x40
	s_load_b64 s[8:9], s[0:1], 0x50
	s_wait_xcnt 0x0
	s_mov_b32 s0, 0
	s_wait_kmcnt 0x0
	v_lshl_add_u64 v[10:11], v[8:9], 2, s[26:27]
	v_lshl_add_u64 v[12:13], v[8:9], 3, s[24:25]
.LBB187_11:                             ; =>This Inner Loop Header: Depth=1
	global_load_b64 v[14:15], v[12:13], off
	global_load_b32 v1, v[10:11], off
	v_add_nc_u64_e32 v[8:9], 0x100, v[8:9]
	s_wait_xcnt 0x0
	v_add_nc_u64_e32 v[10:11], 0x400, v[10:11]
	v_add_nc_u64_e32 v[12:13], 0x800, v[12:13]
	s_delay_alu instid0(VALU_DEP_3)
	v_cmp_ge_i64_e32 vcc_lo, v[8:9], v[4:5]
	s_or_b32 s0, vcc_lo, s0
	s_wait_loadcnt 0x1
	v_sub_nc_u64_e64 v[14:15], v[14:15], s[18:19]
	s_wait_loadcnt 0x0
	v_cvt_f64_f32_e32 v[16:17], v1
	s_delay_alu instid0(VALU_DEP_2) | instskip(SKIP_3) | instid1(VALU_DEP_1)
	v_lshl_add_u64 v[14:15], v[14:15], 3, s[8:9]
	global_load_b64 v[14:15], v[14:15], off
	v_mul_f64_e32 v[16:17], v[2:3], v[16:17]
	s_wait_loadcnt 0x0
	v_fmac_f64_e32 v[6:7], v[16:17], v[14:15]
	s_wait_xcnt 0x0
	s_and_not1_b32 exec_lo, exec_lo, s0
	s_cbranch_execnz .LBB187_11
; %bb.12:
	s_or_b32 exec_lo, exec_lo, s0
.LBB187_13:
	s_delay_alu instid0(SALU_CYCLE_1)
	s_or_b32 exec_lo, exec_lo, s10
	v_lshlrev_b32_e32 v1, 3, v0
	s_mov_b32 s0, exec_lo
	ds_store_b64 v1, v[6:7]
	s_wait_storecnt 0x0
	s_wait_loadcnt_dscnt 0x0
	s_barrier_signal -1
	s_barrier_wait -1
	v_cmpx_gt_u32_e32 0x80, v0
	s_cbranch_execz .LBB187_15
; %bb.14:
	ds_load_2addr_stride64_b64 v[2:5], v1 offset1:2
	s_wait_dscnt 0x0
	v_add_f64_e32 v[2:3], v[2:3], v[4:5]
	ds_store_b64 v1, v[2:3]
.LBB187_15:
	s_or_b32 exec_lo, exec_lo, s0
	s_delay_alu instid0(SALU_CYCLE_1)
	s_mov_b32 s0, exec_lo
	s_wait_dscnt 0x0
	s_barrier_signal -1
	s_barrier_wait -1
	v_cmpx_gt_u32_e32 64, v0
	s_cbranch_execz .LBB187_17
; %bb.16:
	ds_load_2addr_stride64_b64 v[2:5], v1 offset1:1
	s_wait_dscnt 0x0
	v_add_f64_e32 v[2:3], v[2:3], v[4:5]
	ds_store_b64 v1, v[2:3]
.LBB187_17:
	s_or_b32 exec_lo, exec_lo, s0
	s_delay_alu instid0(SALU_CYCLE_1)
	s_mov_b32 s0, exec_lo
	s_wait_dscnt 0x0
	s_barrier_signal -1
	s_barrier_wait -1
	v_cmpx_gt_u32_e32 32, v0
	s_cbranch_execz .LBB187_19
; %bb.18:
	ds_load_2addr_b64 v[2:5], v1 offset1:32
	s_wait_dscnt 0x0
	v_add_f64_e32 v[2:3], v[2:3], v[4:5]
	ds_store_b64 v1, v[2:3]
.LBB187_19:
	s_or_b32 exec_lo, exec_lo, s0
	s_delay_alu instid0(SALU_CYCLE_1)
	s_mov_b32 s0, exec_lo
	s_wait_dscnt 0x0
	s_barrier_signal -1
	s_barrier_wait -1
	v_cmpx_gt_u32_e32 16, v0
	s_cbranch_execz .LBB187_21
; %bb.20:
	ds_load_2addr_b64 v[2:5], v1 offset1:16
	s_wait_dscnt 0x0
	v_add_f64_e32 v[2:3], v[2:3], v[4:5]
	ds_store_b64 v1, v[2:3]
.LBB187_21:
	;; [unrolled: 14-line block ×5, first 2 shown]
	s_or_b32 exec_lo, exec_lo, s0
	v_cmp_eq_u32_e32 vcc_lo, 0, v0
	s_wait_dscnt 0x0
	s_barrier_signal -1
	s_barrier_wait -1
	s_and_saveexec_b32 s0, vcc_lo
	s_cbranch_execz .LBB187_29
; %bb.28:
	v_mov_b32_e32 v4, 0
	ds_load_b128 v[0:3], v4
	s_wait_dscnt 0x0
	v_add_f64_e32 v[0:1], v[0:1], v[2:3]
	ds_store_b64 v4, v[0:1]
.LBB187_29:
	s_or_b32 exec_lo, exec_lo, s0
	s_wait_dscnt 0x0
	s_barrier_signal -1
	s_barrier_wait -1
	s_and_b32 exec_lo, exec_lo, vcc_lo
	s_cbranch_execz .LBB187_38
; %bb.30:
	s_cmp_eq_u32 s14, 0
	s_cbranch_scc1 .LBB187_36
; %bb.31:
	v_mov_b32_e32 v0, 0
	s_lshl_b64 s[0:1], s[16:17], 2
	s_delay_alu instid0(SALU_CYCLE_1)
	s_add_nc_u64 s[0:1], s[4:5], s[0:1]
	s_branch .LBB187_33
.LBB187_32:                             ;   in Loop: Header=BB187_33 Depth=1
	s_wait_xcnt 0x0
	s_or_b32 exec_lo, exec_lo, s4
	s_wait_loadcnt 0x0
	v_readfirstlane_b32 s4, v1
	s_cmp_eq_u32 s4, s22
	s_cbranch_scc0 .LBB187_35
.LBB187_33:                             ; =>This Inner Loop Header: Depth=1
	v_mbcnt_lo_u32_b32 v1, exec_lo, 0
	s_delay_alu instid0(VALU_DEP_1)
	v_cmp_eq_u32_e32 vcc_lo, 0, v1
                                        ; implicit-def: $vgpr1
	s_and_saveexec_b32 s4, vcc_lo
	s_cbranch_execz .LBB187_32
; %bb.34:                               ;   in Loop: Header=BB187_33 Depth=1
	global_load_b32 v1, v0, s[0:1] scope:SCOPE_DEV
	s_branch .LBB187_32
.LBB187_35:
	v_mov_b32_e32 v0, 0
	global_load_u16 v1, v0, s[12:13]
	s_wait_loadcnt 0x0
	v_xor_b32_e32 v1, 1, v1
	global_store_b16 v0, v1, s[12:13]
.LBB187_36:
	s_mov_b32 s0, exec_lo
	s_wait_xcnt 0x0
	v_mbcnt_lo_u32_b32 v0, s0, 0
	s_delay_alu instid0(VALU_DEP_1) | instskip(SKIP_1) | instid1(SALU_CYCLE_1)
	v_cmp_eq_u32_e32 vcc_lo, 0, v0
	s_and_b32 s1, exec_lo, vcc_lo
	s_mov_b32 exec_lo, s1
	s_cbranch_execz .LBB187_38
; %bb.37:
	s_bcnt1_i32_b32 s0, s0
	s_delay_alu instid0(SALU_CYCLE_1)
	v_cvt_f64_u32_e32 v[0:1], s0
	v_mov_b32_e32 v4, 0
	s_add_nc_u64 s[0:1], s[2:3], s[6:7]
	ds_load_b64 v[2:3], v4
	s_wait_dscnt 0x0
	v_mul_f64_e32 v[0:1], v[2:3], v[0:1]
	global_atomic_add_f64 v4, v[0:1], s[0:1] scope:SCOPE_DEV
.LBB187_38:
	s_endpgm
	.section	.rodata,"a",@progbits
	.p2align	6, 0x0
	.amdhsa_kernel _ZN9rocsparseL27csrmvn_lrb_long_rows_kernelIllfdddEEvbT_PjPT0_S4_jNS_24const_host_device_scalarIT4_EEPKS1_PKS3_PKT1_PKT2_S7_PT3_21rocsparse_index_base_b
		.amdhsa_group_segment_fixed_size 2048
		.amdhsa_private_segment_fixed_size 0
		.amdhsa_kernarg_size 112
		.amdhsa_user_sgpr_count 2
		.amdhsa_user_sgpr_dispatch_ptr 0
		.amdhsa_user_sgpr_queue_ptr 0
		.amdhsa_user_sgpr_kernarg_segment_ptr 1
		.amdhsa_user_sgpr_dispatch_id 0
		.amdhsa_user_sgpr_kernarg_preload_length 0
		.amdhsa_user_sgpr_kernarg_preload_offset 0
		.amdhsa_user_sgpr_private_segment_size 0
		.amdhsa_wavefront_size32 1
		.amdhsa_uses_dynamic_stack 0
		.amdhsa_enable_private_segment 0
		.amdhsa_system_sgpr_workgroup_id_x 1
		.amdhsa_system_sgpr_workgroup_id_y 0
		.amdhsa_system_sgpr_workgroup_id_z 0
		.amdhsa_system_sgpr_workgroup_info 0
		.amdhsa_system_vgpr_workitem_id 0
		.amdhsa_next_free_vgpr 18
		.amdhsa_next_free_sgpr 28
		.amdhsa_named_barrier_count 0
		.amdhsa_reserve_vcc 1
		.amdhsa_float_round_mode_32 0
		.amdhsa_float_round_mode_16_64 0
		.amdhsa_float_denorm_mode_32 3
		.amdhsa_float_denorm_mode_16_64 3
		.amdhsa_fp16_overflow 0
		.amdhsa_memory_ordered 1
		.amdhsa_forward_progress 1
		.amdhsa_inst_pref_size 13
		.amdhsa_round_robin_scheduling 0
		.amdhsa_exception_fp_ieee_invalid_op 0
		.amdhsa_exception_fp_denorm_src 0
		.amdhsa_exception_fp_ieee_div_zero 0
		.amdhsa_exception_fp_ieee_overflow 0
		.amdhsa_exception_fp_ieee_underflow 0
		.amdhsa_exception_fp_ieee_inexact 0
		.amdhsa_exception_int_div_zero 0
	.end_amdhsa_kernel
	.section	.text._ZN9rocsparseL27csrmvn_lrb_long_rows_kernelIllfdddEEvbT_PjPT0_S4_jNS_24const_host_device_scalarIT4_EEPKS1_PKS3_PKT1_PKT2_S7_PT3_21rocsparse_index_base_b,"axG",@progbits,_ZN9rocsparseL27csrmvn_lrb_long_rows_kernelIllfdddEEvbT_PjPT0_S4_jNS_24const_host_device_scalarIT4_EEPKS1_PKS3_PKT1_PKT2_S7_PT3_21rocsparse_index_base_b,comdat
.Lfunc_end187:
	.size	_ZN9rocsparseL27csrmvn_lrb_long_rows_kernelIllfdddEEvbT_PjPT0_S4_jNS_24const_host_device_scalarIT4_EEPKS1_PKS3_PKT1_PKT2_S7_PT3_21rocsparse_index_base_b, .Lfunc_end187-_ZN9rocsparseL27csrmvn_lrb_long_rows_kernelIllfdddEEvbT_PjPT0_S4_jNS_24const_host_device_scalarIT4_EEPKS1_PKS3_PKT1_PKT2_S7_PT3_21rocsparse_index_base_b
                                        ; -- End function
	.set _ZN9rocsparseL27csrmvn_lrb_long_rows_kernelIllfdddEEvbT_PjPT0_S4_jNS_24const_host_device_scalarIT4_EEPKS1_PKS3_PKT1_PKT2_S7_PT3_21rocsparse_index_base_b.num_vgpr, 18
	.set _ZN9rocsparseL27csrmvn_lrb_long_rows_kernelIllfdddEEvbT_PjPT0_S4_jNS_24const_host_device_scalarIT4_EEPKS1_PKS3_PKT1_PKT2_S7_PT3_21rocsparse_index_base_b.num_agpr, 0
	.set _ZN9rocsparseL27csrmvn_lrb_long_rows_kernelIllfdddEEvbT_PjPT0_S4_jNS_24const_host_device_scalarIT4_EEPKS1_PKS3_PKT1_PKT2_S7_PT3_21rocsparse_index_base_b.numbered_sgpr, 28
	.set _ZN9rocsparseL27csrmvn_lrb_long_rows_kernelIllfdddEEvbT_PjPT0_S4_jNS_24const_host_device_scalarIT4_EEPKS1_PKS3_PKT1_PKT2_S7_PT3_21rocsparse_index_base_b.num_named_barrier, 0
	.set _ZN9rocsparseL27csrmvn_lrb_long_rows_kernelIllfdddEEvbT_PjPT0_S4_jNS_24const_host_device_scalarIT4_EEPKS1_PKS3_PKT1_PKT2_S7_PT3_21rocsparse_index_base_b.private_seg_size, 0
	.set _ZN9rocsparseL27csrmvn_lrb_long_rows_kernelIllfdddEEvbT_PjPT0_S4_jNS_24const_host_device_scalarIT4_EEPKS1_PKS3_PKT1_PKT2_S7_PT3_21rocsparse_index_base_b.uses_vcc, 1
	.set _ZN9rocsparseL27csrmvn_lrb_long_rows_kernelIllfdddEEvbT_PjPT0_S4_jNS_24const_host_device_scalarIT4_EEPKS1_PKS3_PKT1_PKT2_S7_PT3_21rocsparse_index_base_b.uses_flat_scratch, 0
	.set _ZN9rocsparseL27csrmvn_lrb_long_rows_kernelIllfdddEEvbT_PjPT0_S4_jNS_24const_host_device_scalarIT4_EEPKS1_PKS3_PKT1_PKT2_S7_PT3_21rocsparse_index_base_b.has_dyn_sized_stack, 0
	.set _ZN9rocsparseL27csrmvn_lrb_long_rows_kernelIllfdddEEvbT_PjPT0_S4_jNS_24const_host_device_scalarIT4_EEPKS1_PKS3_PKT1_PKT2_S7_PT3_21rocsparse_index_base_b.has_recursion, 0
	.set _ZN9rocsparseL27csrmvn_lrb_long_rows_kernelIllfdddEEvbT_PjPT0_S4_jNS_24const_host_device_scalarIT4_EEPKS1_PKS3_PKT1_PKT2_S7_PT3_21rocsparse_index_base_b.has_indirect_call, 0
	.section	.AMDGPU.csdata,"",@progbits
; Kernel info:
; codeLenInByte = 1576
; TotalNumSgprs: 30
; NumVgprs: 18
; ScratchSize: 0
; MemoryBound: 0
; FloatMode: 240
; IeeeMode: 1
; LDSByteSize: 2048 bytes/workgroup (compile time only)
; SGPRBlocks: 0
; VGPRBlocks: 1
; NumSGPRsForWavesPerEU: 30
; NumVGPRsForWavesPerEU: 18
; NamedBarCnt: 0
; Occupancy: 16
; WaveLimiterHint : 1
; COMPUTE_PGM_RSRC2:SCRATCH_EN: 0
; COMPUTE_PGM_RSRC2:USER_SGPR: 2
; COMPUTE_PGM_RSRC2:TRAP_HANDLER: 0
; COMPUTE_PGM_RSRC2:TGID_X_EN: 1
; COMPUTE_PGM_RSRC2:TGID_Y_EN: 0
; COMPUTE_PGM_RSRC2:TGID_Z_EN: 0
; COMPUTE_PGM_RSRC2:TIDIG_COMP_CNT: 0
	.section	.text._ZN9rocsparseL28csrmvn_lrb_short_rows_kernelIiid21rocsparse_complex_numIdES2_S2_EEvbT_PT0_S5_jNS_24const_host_device_scalarIT4_EEPKS3_PKS4_PKT1_PKT2_S8_PT3_21rocsparse_index_base_b,"axG",@progbits,_ZN9rocsparseL28csrmvn_lrb_short_rows_kernelIiid21rocsparse_complex_numIdES2_S2_EEvbT_PT0_S5_jNS_24const_host_device_scalarIT4_EEPKS3_PKS4_PKT1_PKT2_S8_PT3_21rocsparse_index_base_b,comdat
	.globl	_ZN9rocsparseL28csrmvn_lrb_short_rows_kernelIiid21rocsparse_complex_numIdES2_S2_EEvbT_PT0_S5_jNS_24const_host_device_scalarIT4_EEPKS3_PKS4_PKT1_PKT2_S8_PT3_21rocsparse_index_base_b ; -- Begin function _ZN9rocsparseL28csrmvn_lrb_short_rows_kernelIiid21rocsparse_complex_numIdES2_S2_EEvbT_PT0_S5_jNS_24const_host_device_scalarIT4_EEPKS3_PKS4_PKT1_PKT2_S8_PT3_21rocsparse_index_base_b
	.p2align	8
	.type	_ZN9rocsparseL28csrmvn_lrb_short_rows_kernelIiid21rocsparse_complex_numIdES2_S2_EEvbT_PT0_S5_jNS_24const_host_device_scalarIT4_EEPKS3_PKS4_PKT1_PKT2_S8_PT3_21rocsparse_index_base_b,@function
_ZN9rocsparseL28csrmvn_lrb_short_rows_kernelIiid21rocsparse_complex_numIdES2_S2_EEvbT_PT0_S5_jNS_24const_host_device_scalarIT4_EEPKS3_PKS4_PKT1_PKT2_S8_PT3_21rocsparse_index_base_b: ; @_ZN9rocsparseL28csrmvn_lrb_short_rows_kernelIiid21rocsparse_complex_numIdES2_S2_EEvbT_PT0_S5_jNS_24const_host_device_scalarIT4_EEPKS3_PKS4_PKT1_PKT2_S8_PT3_21rocsparse_index_base_b
; %bb.0:
	s_clause 0x1
	s_load_b64 s[16:17], s[0:1], 0x68
	s_load_b64 s[2:3], s[0:1], 0x20
	v_mov_b32_e32 v1, 0
	s_add_nc_u64 s[4:5], s[0:1], 32
	s_load_b64 s[6:7], s[0:1], 0x50
	s_wait_kmcnt 0x0
	s_bitcmp1_b32 s17, 0
	s_cselect_b32 s3, s5, s3
	s_cselect_b32 s2, s4, s2
	flat_load_b128 v[6:9], v1, s[2:3]
	s_wait_xcnt 0x0
	s_add_nc_u64 s[2:3], s[0:1], 0x50
	s_delay_alu instid0(SALU_CYCLE_1)
	s_cselect_b32 s3, s3, s7
	s_cselect_b32 s2, s2, s6
	flat_load_b128 v[2:5], v1, s[2:3]
	s_wait_loadcnt_dscnt 0x101
	v_cmp_eq_f64_e32 vcc_lo, 0, v[6:7]
	s_wait_xcnt 0x0
	v_cmp_eq_f64_e64 s2, 0, v[8:9]
	s_and_b32 s4, vcc_lo, s2
	s_mov_b32 s2, -1
	s_and_saveexec_b32 s3, s4
	s_cbranch_execz .LBB188_2
; %bb.1:
	s_wait_loadcnt_dscnt 0x0
	v_cmp_neq_f64_e32 vcc_lo, 1.0, v[2:3]
	v_cmp_neq_f64_e64 s2, 0, v[4:5]
	s_or_b32 s2, vcc_lo, s2
	s_delay_alu instid0(SALU_CYCLE_1)
	s_or_not1_b32 s2, s2, exec_lo
.LBB188_2:
	s_or_b32 exec_lo, exec_lo, s3
	s_and_saveexec_b32 s3, s2
	s_cbranch_execz .LBB188_16
; %bb.3:
	s_clause 0x1
	s_load_b32 s17, s[0:1], 0x18
	s_load_b128 s[12:15], s[0:1], 0x8
	s_and_b32 s5, ttmp6, 15
	s_getreg_b32 s6, hwreg(HW_REG_IB_STS2, 6, 4)
	s_wait_kmcnt 0x0
	s_add_co_i32 s3, s17, 1
	s_clause 0x1
	s_load_b32 s2, s[14:15], s17 offset:0x0 scale_offset
	s_load_b32 s4, s[14:15], s3 offset:0x0 scale_offset
	s_wait_xcnt 0x0
	s_bfe_u32 s3, ttmp6, 0x4000c
	s_mov_b32 s15, 0
	s_add_co_i32 s3, s3, 1
	s_delay_alu instid0(SALU_CYCLE_1) | instskip(NEXT) | instid1(SALU_CYCLE_1)
	s_mul_i32 s3, ttmp9, s3
	s_add_co_i32 s5, s5, s3
	s_wait_kmcnt 0x0
	s_sub_co_i32 s4, s4, s2
	s_cmp_eq_u32 s6, 0
	s_cselect_b32 s3, ttmp9, s5
	s_delay_alu instid0(SALU_CYCLE_1) | instskip(NEXT) | instid1(SALU_CYCLE_1)
	s_lshl_b32 s3, s3, 8
	s_add_co_i32 s5, s3, 0x100
	s_delay_alu instid0(SALU_CYCLE_1)
	s_min_u32 s14, s4, s5
	s_cmp_gt_u32 s17, 23
	s_cbranch_scc1 .LBB188_10
; %bb.4:
	v_mul_f64_e32 v[10:11], 0x80000000, v[8:9]
	v_mul_f64_e32 v[12:13], 0, v[6:7]
	s_load_b256 s[4:11], s[0:1], 0x30
	v_bfe_u32 v1, v0, 0, s17
	v_lshl_add_u32 v21, v0, 4, 0
	s_lshl_b32 s18, 0x100, s17
	s_delay_alu instid0(VALU_DEP_2)
	v_subrev_nc_u32_e32 v20, s16, v1
	s_branch .LBB188_7
.LBB188_5:                              ;   in Loop: Header=BB188_7 Depth=1
	s_or_b32 exec_lo, exec_lo, s20
	ds_store_2addr_b64 v21, v[14:15], v[16:17] offset1:1
.LBB188_6:                              ;   in Loop: Header=BB188_7 Depth=1
	s_or_b32 exec_lo, exec_lo, s19
	v_add_nc_u32_e32 v21, 0x1000, v21
	s_addk_co_i32 s15, 0x100
	s_delay_alu instid0(SALU_CYCLE_1)
	s_cmp_ge_u32 s15, s18
	s_cbranch_scc1 .LBB188_10
.LBB188_7:                              ; =>This Inner Loop Header: Depth=1
	v_add_nc_u32_e32 v14, s15, v0
	s_mov_b32 s19, exec_lo
	s_delay_alu instid0(VALU_DEP_1) | instskip(NEXT) | instid1(VALU_DEP_1)
	v_lshrrev_b32_e32 v14, s17, v14
	v_add_nc_u32_e32 v14, s3, v14
	s_delay_alu instid0(VALU_DEP_1)
	v_cmpx_gt_u32_e64 s14, v14
	s_cbranch_execz .LBB188_6
; %bb.8:                                ;   in Loop: Header=BB188_7 Depth=1
	v_add_nc_u32_e32 v14, s2, v14
	v_mov_b64_e32 v[16:17], 0
	s_mov_b32 s20, exec_lo
	global_load_b32 v14, v14, s[12:13] scale_offset
	s_wait_loadcnt 0x0
	v_ashrrev_i32_e32 v15, 31, v14
	s_wait_kmcnt 0x0
	s_wait_xcnt 0x0
	s_delay_alu instid0(VALU_DEP_1)
	v_lshl_add_u64 v[14:15], v[14:15], 2, s[4:5]
	global_load_b64 v[18:19], v[14:15], off
	s_wait_xcnt 0x0
	v_mov_b64_e32 v[14:15], 0
	s_wait_loadcnt 0x0
	v_sub_nc_u32_e32 v19, v19, v18
	s_delay_alu instid0(VALU_DEP_1)
	v_cmpx_lt_u32_e64 v1, v19
	s_cbranch_execz .LBB188_5
; %bb.9:                                ;   in Loop: Header=BB188_7 Depth=1
	v_add_nc_u32_e32 v16, v20, v18
	s_clause 0x1
	global_load_b32 v17, v16, s[6:7] scale_offset
	global_load_b64 v[14:15], v16, s[8:9] scale_offset
	s_wait_loadcnt 0x1
	s_wait_xcnt 0x0
	v_subrev_nc_u32_e32 v16, s16, v17
	s_wait_loadcnt 0x0
	v_fma_f64 v[18:19], v[8:9], v[14:15], v[12:13]
	v_fma_f64 v[26:27], v[6:7], v[14:15], v[10:11]
	global_load_b128 v[22:25], v16, s[10:11] scale_offset
	s_wait_loadcnt 0x0
	v_mul_f64_e64 v[14:15], v[24:25], -v[18:19]
	s_wait_xcnt 0x0
	v_mul_f64_e32 v[16:17], v[26:27], v[24:25]
	s_delay_alu instid0(VALU_DEP_2) | instskip(NEXT) | instid1(VALU_DEP_2)
	v_fmac_f64_e32 v[14:15], v[26:27], v[22:23]
	v_fmac_f64_e32 v[16:17], v[18:19], v[22:23]
	s_branch .LBB188_5
.LBB188_10:
	s_wait_kmcnt 0x0
	s_sub_co_i32 s4, s14, s3
	s_wait_loadcnt_dscnt 0x0
	v_cmp_gt_u32_e32 vcc_lo, s4, v0
	s_barrier_signal -1
	s_barrier_wait -1
	s_and_b32 exec_lo, exec_lo, vcc_lo
	s_cbranch_execz .LBB188_16
; %bb.11:
	v_add3_u32 v1, s2, s3, v0
	s_load_b64 s[2:3], s[0:1], 0x60
	v_mov_b64_e32 v[8:9], 0
	v_lshlrev_b32_e32 v0, s17, v0
	s_wait_xcnt 0x0
	s_mov_b32 s0, 1
	global_load_b32 v10, v1, s[12:13] scale_offset
	v_lshl_add_u32 v0, v0, 4, 0
	v_mov_b64_e32 v[6:7], v[8:9]
.LBB188_12:                             ; =>This Inner Loop Header: Depth=1
	ds_load_2addr_b64 v[12:15], v0 offset1:1
	s_lshr_b32 s1, s0, s17
	s_add_co_i32 s0, s0, 1
	s_cmp_lg_u32 s1, 0
	s_wait_dscnt 0x0
	v_dual_add_f64 v[8:9], v[8:9], v[14:15] :: v_dual_add_nc_u32 v0, 16, v0
	v_add_f64_e32 v[6:7], v[6:7], v[12:13]
	s_cbranch_scc0 .LBB188_12
; %bb.13:
	v_cmp_neq_f64_e32 vcc_lo, 0, v[2:3]
	v_cmp_neq_f64_e64 s0, 0, v[4:5]
	s_wait_loadcnt 0x0
	v_ashrrev_i32_e32 v11, 31, v10
	s_wait_kmcnt 0x0
	s_delay_alu instid0(VALU_DEP_1) | instskip(SKIP_1) | instid1(SALU_CYCLE_1)
	v_lshl_add_u64 v[0:1], v[10:11], 4, s[2:3]
	s_or_b32 s1, vcc_lo, s0
	s_and_saveexec_b32 s0, s1
	s_cbranch_execz .LBB188_15
; %bb.14:
	global_load_b128 v[10:13], v[0:1], off
	s_wait_loadcnt 0x0
	v_fmac_f64_e32 v[6:7], v[2:3], v[10:11]
	v_fmac_f64_e32 v[8:9], v[4:5], v[10:11]
	s_delay_alu instid0(VALU_DEP_2) | instskip(NEXT) | instid1(VALU_DEP_2)
	v_fma_f64 v[6:7], -v[4:5], v[12:13], v[6:7]
	v_fmac_f64_e32 v[8:9], v[2:3], v[12:13]
.LBB188_15:
	s_or_b32 exec_lo, exec_lo, s0
	global_store_b128 v[0:1], v[6:9], off
.LBB188_16:
	s_endpgm
	.section	.rodata,"a",@progbits
	.p2align	6, 0x0
	.amdhsa_kernel _ZN9rocsparseL28csrmvn_lrb_short_rows_kernelIiid21rocsparse_complex_numIdES2_S2_EEvbT_PT0_S5_jNS_24const_host_device_scalarIT4_EEPKS3_PKS4_PKT1_PKT2_S8_PT3_21rocsparse_index_base_b
		.amdhsa_group_segment_fixed_size 0
		.amdhsa_private_segment_fixed_size 0
		.amdhsa_kernarg_size 112
		.amdhsa_user_sgpr_count 2
		.amdhsa_user_sgpr_dispatch_ptr 0
		.amdhsa_user_sgpr_queue_ptr 0
		.amdhsa_user_sgpr_kernarg_segment_ptr 1
		.amdhsa_user_sgpr_dispatch_id 0
		.amdhsa_user_sgpr_kernarg_preload_length 0
		.amdhsa_user_sgpr_kernarg_preload_offset 0
		.amdhsa_user_sgpr_private_segment_size 0
		.amdhsa_wavefront_size32 1
		.amdhsa_uses_dynamic_stack 0
		.amdhsa_enable_private_segment 0
		.amdhsa_system_sgpr_workgroup_id_x 1
		.amdhsa_system_sgpr_workgroup_id_y 0
		.amdhsa_system_sgpr_workgroup_id_z 0
		.amdhsa_system_sgpr_workgroup_info 0
		.amdhsa_system_vgpr_workitem_id 0
		.amdhsa_next_free_vgpr 28
		.amdhsa_next_free_sgpr 21
		.amdhsa_named_barrier_count 0
		.amdhsa_reserve_vcc 1
		.amdhsa_float_round_mode_32 0
		.amdhsa_float_round_mode_16_64 0
		.amdhsa_float_denorm_mode_32 3
		.amdhsa_float_denorm_mode_16_64 3
		.amdhsa_fp16_overflow 0
		.amdhsa_memory_ordered 1
		.amdhsa_forward_progress 1
		.amdhsa_inst_pref_size 7
		.amdhsa_round_robin_scheduling 0
		.amdhsa_exception_fp_ieee_invalid_op 0
		.amdhsa_exception_fp_denorm_src 0
		.amdhsa_exception_fp_ieee_div_zero 0
		.amdhsa_exception_fp_ieee_overflow 0
		.amdhsa_exception_fp_ieee_underflow 0
		.amdhsa_exception_fp_ieee_inexact 0
		.amdhsa_exception_int_div_zero 0
	.end_amdhsa_kernel
	.section	.text._ZN9rocsparseL28csrmvn_lrb_short_rows_kernelIiid21rocsparse_complex_numIdES2_S2_EEvbT_PT0_S5_jNS_24const_host_device_scalarIT4_EEPKS3_PKS4_PKT1_PKT2_S8_PT3_21rocsparse_index_base_b,"axG",@progbits,_ZN9rocsparseL28csrmvn_lrb_short_rows_kernelIiid21rocsparse_complex_numIdES2_S2_EEvbT_PT0_S5_jNS_24const_host_device_scalarIT4_EEPKS3_PKS4_PKT1_PKT2_S8_PT3_21rocsparse_index_base_b,comdat
.Lfunc_end188:
	.size	_ZN9rocsparseL28csrmvn_lrb_short_rows_kernelIiid21rocsparse_complex_numIdES2_S2_EEvbT_PT0_S5_jNS_24const_host_device_scalarIT4_EEPKS3_PKS4_PKT1_PKT2_S8_PT3_21rocsparse_index_base_b, .Lfunc_end188-_ZN9rocsparseL28csrmvn_lrb_short_rows_kernelIiid21rocsparse_complex_numIdES2_S2_EEvbT_PT0_S5_jNS_24const_host_device_scalarIT4_EEPKS3_PKS4_PKT1_PKT2_S8_PT3_21rocsparse_index_base_b
                                        ; -- End function
	.set _ZN9rocsparseL28csrmvn_lrb_short_rows_kernelIiid21rocsparse_complex_numIdES2_S2_EEvbT_PT0_S5_jNS_24const_host_device_scalarIT4_EEPKS3_PKS4_PKT1_PKT2_S8_PT3_21rocsparse_index_base_b.num_vgpr, 28
	.set _ZN9rocsparseL28csrmvn_lrb_short_rows_kernelIiid21rocsparse_complex_numIdES2_S2_EEvbT_PT0_S5_jNS_24const_host_device_scalarIT4_EEPKS3_PKS4_PKT1_PKT2_S8_PT3_21rocsparse_index_base_b.num_agpr, 0
	.set _ZN9rocsparseL28csrmvn_lrb_short_rows_kernelIiid21rocsparse_complex_numIdES2_S2_EEvbT_PT0_S5_jNS_24const_host_device_scalarIT4_EEPKS3_PKS4_PKT1_PKT2_S8_PT3_21rocsparse_index_base_b.numbered_sgpr, 21
	.set _ZN9rocsparseL28csrmvn_lrb_short_rows_kernelIiid21rocsparse_complex_numIdES2_S2_EEvbT_PT0_S5_jNS_24const_host_device_scalarIT4_EEPKS3_PKS4_PKT1_PKT2_S8_PT3_21rocsparse_index_base_b.num_named_barrier, 0
	.set _ZN9rocsparseL28csrmvn_lrb_short_rows_kernelIiid21rocsparse_complex_numIdES2_S2_EEvbT_PT0_S5_jNS_24const_host_device_scalarIT4_EEPKS3_PKS4_PKT1_PKT2_S8_PT3_21rocsparse_index_base_b.private_seg_size, 0
	.set _ZN9rocsparseL28csrmvn_lrb_short_rows_kernelIiid21rocsparse_complex_numIdES2_S2_EEvbT_PT0_S5_jNS_24const_host_device_scalarIT4_EEPKS3_PKS4_PKT1_PKT2_S8_PT3_21rocsparse_index_base_b.uses_vcc, 1
	.set _ZN9rocsparseL28csrmvn_lrb_short_rows_kernelIiid21rocsparse_complex_numIdES2_S2_EEvbT_PT0_S5_jNS_24const_host_device_scalarIT4_EEPKS3_PKS4_PKT1_PKT2_S8_PT3_21rocsparse_index_base_b.uses_flat_scratch, 0
	.set _ZN9rocsparseL28csrmvn_lrb_short_rows_kernelIiid21rocsparse_complex_numIdES2_S2_EEvbT_PT0_S5_jNS_24const_host_device_scalarIT4_EEPKS3_PKS4_PKT1_PKT2_S8_PT3_21rocsparse_index_base_b.has_dyn_sized_stack, 0
	.set _ZN9rocsparseL28csrmvn_lrb_short_rows_kernelIiid21rocsparse_complex_numIdES2_S2_EEvbT_PT0_S5_jNS_24const_host_device_scalarIT4_EEPKS3_PKS4_PKT1_PKT2_S8_PT3_21rocsparse_index_base_b.has_recursion, 0
	.set _ZN9rocsparseL28csrmvn_lrb_short_rows_kernelIiid21rocsparse_complex_numIdES2_S2_EEvbT_PT0_S5_jNS_24const_host_device_scalarIT4_EEPKS3_PKS4_PKT1_PKT2_S8_PT3_21rocsparse_index_base_b.has_indirect_call, 0
	.section	.AMDGPU.csdata,"",@progbits
; Kernel info:
; codeLenInByte = 892
; TotalNumSgprs: 23
; NumVgprs: 28
; ScratchSize: 0
; MemoryBound: 0
; FloatMode: 240
; IeeeMode: 1
; LDSByteSize: 0 bytes/workgroup (compile time only)
; SGPRBlocks: 0
; VGPRBlocks: 1
; NumSGPRsForWavesPerEU: 23
; NumVGPRsForWavesPerEU: 28
; NamedBarCnt: 0
; Occupancy: 16
; WaveLimiterHint : 1
; COMPUTE_PGM_RSRC2:SCRATCH_EN: 0
; COMPUTE_PGM_RSRC2:USER_SGPR: 2
; COMPUTE_PGM_RSRC2:TRAP_HANDLER: 0
; COMPUTE_PGM_RSRC2:TGID_X_EN: 1
; COMPUTE_PGM_RSRC2:TGID_Y_EN: 0
; COMPUTE_PGM_RSRC2:TGID_Z_EN: 0
; COMPUTE_PGM_RSRC2:TIDIG_COMP_CNT: 0
	.section	.text._ZN9rocsparseL30csrmvn_lrb_short_rows_2_kernelIiid21rocsparse_complex_numIdES2_S2_EEvbT_PT0_S5_jNS_24const_host_device_scalarIT4_EEPKS3_PKS4_PKT1_PKT2_S8_PT3_21rocsparse_index_base_b,"axG",@progbits,_ZN9rocsparseL30csrmvn_lrb_short_rows_2_kernelIiid21rocsparse_complex_numIdES2_S2_EEvbT_PT0_S5_jNS_24const_host_device_scalarIT4_EEPKS3_PKS4_PKT1_PKT2_S8_PT3_21rocsparse_index_base_b,comdat
	.globl	_ZN9rocsparseL30csrmvn_lrb_short_rows_2_kernelIiid21rocsparse_complex_numIdES2_S2_EEvbT_PT0_S5_jNS_24const_host_device_scalarIT4_EEPKS3_PKS4_PKT1_PKT2_S8_PT3_21rocsparse_index_base_b ; -- Begin function _ZN9rocsparseL30csrmvn_lrb_short_rows_2_kernelIiid21rocsparse_complex_numIdES2_S2_EEvbT_PT0_S5_jNS_24const_host_device_scalarIT4_EEPKS3_PKS4_PKT1_PKT2_S8_PT3_21rocsparse_index_base_b
	.p2align	8
	.type	_ZN9rocsparseL30csrmvn_lrb_short_rows_2_kernelIiid21rocsparse_complex_numIdES2_S2_EEvbT_PT0_S5_jNS_24const_host_device_scalarIT4_EEPKS3_PKS4_PKT1_PKT2_S8_PT3_21rocsparse_index_base_b,@function
_ZN9rocsparseL30csrmvn_lrb_short_rows_2_kernelIiid21rocsparse_complex_numIdES2_S2_EEvbT_PT0_S5_jNS_24const_host_device_scalarIT4_EEPKS3_PKS4_PKT1_PKT2_S8_PT3_21rocsparse_index_base_b: ; @_ZN9rocsparseL30csrmvn_lrb_short_rows_2_kernelIiid21rocsparse_complex_numIdES2_S2_EEvbT_PT0_S5_jNS_24const_host_device_scalarIT4_EEPKS3_PKS4_PKT1_PKT2_S8_PT3_21rocsparse_index_base_b
; %bb.0:
	s_clause 0x1
	s_load_b64 s[16:17], s[0:1], 0x68
	s_load_b64 s[2:3], s[0:1], 0x20
	v_mov_b32_e32 v1, 0
	s_add_nc_u64 s[4:5], s[0:1], 32
	s_load_b64 s[6:7], s[0:1], 0x50
	s_wait_kmcnt 0x0
	s_bitcmp1_b32 s17, 0
	s_cselect_b32 s3, s5, s3
	s_cselect_b32 s2, s4, s2
	flat_load_b128 v[6:9], v1, s[2:3]
	s_wait_xcnt 0x0
	s_add_nc_u64 s[2:3], s[0:1], 0x50
	s_delay_alu instid0(SALU_CYCLE_1)
	s_cselect_b32 s3, s3, s7
	s_cselect_b32 s2, s2, s6
	flat_load_b128 v[2:5], v1, s[2:3]
	s_wait_loadcnt_dscnt 0x101
	v_cmp_eq_f64_e32 vcc_lo, 0, v[6:7]
	s_wait_xcnt 0x0
	v_cmp_eq_f64_e64 s2, 0, v[8:9]
	s_and_b32 s4, vcc_lo, s2
	s_mov_b32 s2, -1
	s_and_saveexec_b32 s3, s4
	s_cbranch_execz .LBB189_2
; %bb.1:
	s_wait_loadcnt_dscnt 0x0
	v_cmp_neq_f64_e32 vcc_lo, 1.0, v[2:3]
	v_cmp_neq_f64_e64 s2, 0, v[4:5]
	s_or_b32 s2, vcc_lo, s2
	s_delay_alu instid0(SALU_CYCLE_1)
	s_or_not1_b32 s2, s2, exec_lo
.LBB189_2:
	s_or_b32 exec_lo, exec_lo, s3
	s_and_saveexec_b32 s3, s2
	s_cbranch_execz .LBB189_28
; %bb.3:
	s_clause 0x1
	s_load_b32 s17, s[0:1], 0x18
	s_load_b128 s[12:15], s[0:1], 0x8
	v_mul_f64_e32 v[16:17], 0x80000000, v[8:9]
	v_mul_f64_e32 v[14:15], 0, v[6:7]
	s_load_b256 s[4:11], s[0:1], 0x30
	s_getreg_b32 s19, hwreg(HW_REG_IB_STS2, 6, 4)
	s_wait_kmcnt 0x0
	s_add_co_i32 s2, s17, 1
	s_clause 0x1
	s_load_b32 s18, s[14:15], s17 offset:0x0 scale_offset
	s_load_b32 s3, s[14:15], s2 offset:0x0 scale_offset
	s_wait_xcnt 0x0
	s_bfe_u32 s2, ttmp6, 0x4000c
	s_and_b32 s15, ttmp6, 15
	s_add_co_i32 s2, s2, 1
	s_lshr_b32 s14, 0x400, s17
	s_mul_i32 s2, ttmp9, s2
	v_lshrrev_b32_e32 v1, s17, v0
	s_add_co_i32 s15, s15, s2
	v_bfe_u32 v20, v0, 0, s17
	s_wait_kmcnt 0x0
	s_sub_co_i32 s3, s3, s18
	s_cmp_eq_u32 s19, 0
	s_cselect_b32 s2, ttmp9, s15
	s_delay_alu instid0(SALU_CYCLE_1) | instskip(NEXT) | instid1(SALU_CYCLE_1)
	s_mul_i32 s15, s14, s2
	v_add_nc_u32_e32 v10, s15, v1
	v_subrev_nc_u32_e32 v1, s16, v20
	s_add_co_i32 s2, s15, s14
	s_delay_alu instid0(SALU_CYCLE_1)
	s_min_u32 s19, s3, s2
	s_mov_b32 s2, exec_lo
	v_cmpx_gt_u32_e64 s19, v10
	s_cbranch_execz .LBB189_7
; %bb.4:
	v_add_nc_u32_e32 v10, s18, v10
	v_mov_b64_e32 v[12:13], 0
	s_mov_b32 s3, exec_lo
	global_load_b32 v10, v10, s[12:13] scale_offset
	s_wait_loadcnt 0x0
	v_ashrrev_i32_e32 v11, 31, v10
	s_delay_alu instid0(VALU_DEP_1)
	v_lshl_add_u64 v[10:11], v[10:11], 2, s[4:5]
	global_load_b64 v[18:19], v[10:11], off
	s_wait_xcnt 0x0
	v_mov_b64_e32 v[10:11], 0
	s_wait_loadcnt 0x0
	v_sub_nc_u32_e32 v19, v19, v18
	s_delay_alu instid0(VALU_DEP_1)
	v_cmpx_lt_u32_e64 v20, v19
	s_cbranch_execz .LBB189_6
; %bb.5:
	v_add_nc_u32_e32 v12, v18, v1
	s_clause 0x1
	global_load_b32 v13, v12, s[6:7] scale_offset
	global_load_b64 v[10:11], v12, s[8:9] scale_offset
	s_wait_loadcnt 0x1
	s_wait_xcnt 0x0
	v_subrev_nc_u32_e32 v12, s16, v13
	s_wait_loadcnt 0x0
	v_fma_f64 v[18:19], v[8:9], v[10:11], v[14:15]
	v_fma_f64 v[26:27], v[6:7], v[10:11], v[16:17]
	global_load_b128 v[22:25], v12, s[10:11] scale_offset
	s_wait_loadcnt 0x0
	v_mul_f64_e64 v[10:11], v[24:25], -v[18:19]
	v_mul_f64_e32 v[12:13], v[26:27], v[24:25]
	s_delay_alu instid0(VALU_DEP_2) | instskip(NEXT) | instid1(VALU_DEP_2)
	v_fmac_f64_e32 v[10:11], v[26:27], v[22:23]
	v_fmac_f64_e32 v[12:13], v[18:19], v[22:23]
.LBB189_6:
	s_or_b32 exec_lo, exec_lo, s3
	v_lshlrev_b32_e32 v18, 4, v0
	ds_store_b128 v18, v[10:13]
.LBB189_7:
	s_or_b32 exec_lo, exec_lo, s2
	s_load_b64 s[2:3], s[0:1], 0x60
	v_or_b32_e32 v10, 0x100, v0
	s_wait_xcnt 0x0
	s_mov_b32 s0, exec_lo
	s_delay_alu instid0(VALU_DEP_1) | instskip(NEXT) | instid1(VALU_DEP_1)
	v_lshrrev_b32_e32 v10, s17, v10
	v_add_nc_u32_e32 v10, s15, v10
	s_delay_alu instid0(VALU_DEP_1)
	v_cmpx_gt_u32_e64 s19, v10
	s_cbranch_execz .LBB189_11
; %bb.8:
	v_add_nc_u32_e32 v10, s18, v10
	v_mov_b64_e32 v[12:13], 0
	s_mov_b32 s1, exec_lo
	global_load_b32 v10, v10, s[12:13] scale_offset
	s_wait_loadcnt 0x0
	v_ashrrev_i32_e32 v11, 31, v10
	s_delay_alu instid0(VALU_DEP_1)
	v_lshl_add_u64 v[10:11], v[10:11], 2, s[4:5]
	global_load_b64 v[18:19], v[10:11], off
	s_wait_xcnt 0x0
	v_mov_b64_e32 v[10:11], 0
	s_wait_loadcnt 0x0
	v_sub_nc_u32_e32 v19, v19, v18
	s_delay_alu instid0(VALU_DEP_1)
	v_cmpx_lt_u32_e64 v20, v19
	s_cbranch_execz .LBB189_10
; %bb.9:
	v_add_nc_u32_e32 v12, v18, v1
	s_clause 0x1
	global_load_b32 v13, v12, s[6:7] scale_offset
	global_load_b64 v[10:11], v12, s[8:9] scale_offset
	s_wait_loadcnt 0x1
	s_wait_xcnt 0x0
	v_subrev_nc_u32_e32 v12, s16, v13
	s_wait_loadcnt 0x0
	v_fma_f64 v[18:19], v[8:9], v[10:11], v[14:15]
	v_fma_f64 v[26:27], v[6:7], v[10:11], v[16:17]
	global_load_b128 v[22:25], v12, s[10:11] scale_offset
	s_wait_loadcnt 0x0
	v_mul_f64_e64 v[10:11], v[24:25], -v[18:19]
	v_mul_f64_e32 v[12:13], v[26:27], v[24:25]
	s_delay_alu instid0(VALU_DEP_2) | instskip(NEXT) | instid1(VALU_DEP_2)
	v_fmac_f64_e32 v[10:11], v[26:27], v[22:23]
	v_fmac_f64_e32 v[12:13], v[18:19], v[22:23]
.LBB189_10:
	s_or_b32 exec_lo, exec_lo, s1
	v_lshlrev_b32_e32 v18, 4, v0
	ds_store_b128 v18, v[10:13] offset:4096
.LBB189_11:
	s_or_b32 exec_lo, exec_lo, s0
	v_or_b32_e32 v10, 0x200, v0
	s_mov_b32 s0, exec_lo
	s_delay_alu instid0(VALU_DEP_1) | instskip(NEXT) | instid1(VALU_DEP_1)
	v_lshrrev_b32_e32 v10, s17, v10
	v_add_nc_u32_e32 v10, s15, v10
	s_delay_alu instid0(VALU_DEP_1)
	v_cmpx_gt_u32_e64 s19, v10
	s_cbranch_execz .LBB189_15
; %bb.12:
	v_add_nc_u32_e32 v10, s18, v10
	v_mov_b64_e32 v[12:13], 0
	s_mov_b32 s1, exec_lo
	global_load_b32 v10, v10, s[12:13] scale_offset
	s_wait_loadcnt 0x0
	v_ashrrev_i32_e32 v11, 31, v10
	s_delay_alu instid0(VALU_DEP_1)
	v_lshl_add_u64 v[10:11], v[10:11], 2, s[4:5]
	global_load_b64 v[18:19], v[10:11], off
	s_wait_xcnt 0x0
	v_mov_b64_e32 v[10:11], 0
	s_wait_loadcnt 0x0
	v_sub_nc_u32_e32 v19, v19, v18
	s_delay_alu instid0(VALU_DEP_1)
	v_cmpx_lt_u32_e64 v20, v19
	s_cbranch_execz .LBB189_14
; %bb.13:
	v_add_nc_u32_e32 v12, v18, v1
	s_clause 0x1
	global_load_b32 v13, v12, s[6:7] scale_offset
	global_load_b64 v[10:11], v12, s[8:9] scale_offset
	s_wait_loadcnt 0x1
	s_wait_xcnt 0x0
	v_subrev_nc_u32_e32 v12, s16, v13
	s_wait_loadcnt 0x0
	v_fma_f64 v[18:19], v[8:9], v[10:11], v[14:15]
	v_fma_f64 v[26:27], v[6:7], v[10:11], v[16:17]
	global_load_b128 v[22:25], v12, s[10:11] scale_offset
	s_wait_loadcnt 0x0
	v_mul_f64_e64 v[10:11], v[24:25], -v[18:19]
	v_mul_f64_e32 v[12:13], v[26:27], v[24:25]
	s_delay_alu instid0(VALU_DEP_2) | instskip(NEXT) | instid1(VALU_DEP_2)
	v_fmac_f64_e32 v[10:11], v[26:27], v[22:23]
	v_fmac_f64_e32 v[12:13], v[18:19], v[22:23]
.LBB189_14:
	s_or_b32 exec_lo, exec_lo, s1
	v_lshlrev_b32_e32 v18, 4, v0
	ds_store_b128 v18, v[10:13] offset:8192
.LBB189_15:
	s_or_b32 exec_lo, exec_lo, s0
	v_or_b32_e32 v10, 0x300, v0
	s_mov_b32 s0, exec_lo
	s_delay_alu instid0(VALU_DEP_1) | instskip(NEXT) | instid1(VALU_DEP_1)
	v_lshrrev_b32_e32 v10, s17, v10
	v_add_nc_u32_e32 v10, s15, v10
	s_delay_alu instid0(VALU_DEP_1)
	v_cmpx_gt_u32_e64 s19, v10
	s_cbranch_execz .LBB189_19
; %bb.16:
	v_add_nc_u32_e32 v10, s18, v10
	v_mov_b64_e32 v[12:13], 0
	s_mov_b32 s1, exec_lo
	global_load_b32 v10, v10, s[12:13] scale_offset
	s_wait_loadcnt 0x0
	v_ashrrev_i32_e32 v11, 31, v10
	s_delay_alu instid0(VALU_DEP_1)
	v_lshl_add_u64 v[10:11], v[10:11], 2, s[4:5]
	global_load_b64 v[18:19], v[10:11], off
	s_wait_xcnt 0x0
	v_mov_b64_e32 v[10:11], 0
	s_wait_loadcnt 0x0
	v_sub_nc_u32_e32 v19, v19, v18
	s_delay_alu instid0(VALU_DEP_1)
	v_cmpx_lt_u32_e64 v20, v19
	s_cbranch_execz .LBB189_18
; %bb.17:
	v_add_nc_u32_e32 v1, v18, v1
	s_clause 0x1
	global_load_b32 v12, v1, s[6:7] scale_offset
	global_load_b64 v[10:11], v1, s[8:9] scale_offset
	s_wait_loadcnt 0x1
	s_wait_xcnt 0x0
	v_subrev_nc_u32_e32 v1, s16, v12
	s_wait_loadcnt 0x0
	v_fmac_f64_e32 v[14:15], v[8:9], v[10:11]
	v_fmac_f64_e32 v[16:17], v[6:7], v[10:11]
	global_load_b128 v[18:21], v1, s[10:11] scale_offset
	s_wait_loadcnt 0x0
	v_mul_f64_e64 v[10:11], v[20:21], -v[14:15]
	v_mul_f64_e32 v[12:13], v[16:17], v[20:21]
	s_delay_alu instid0(VALU_DEP_2) | instskip(NEXT) | instid1(VALU_DEP_2)
	v_fmac_f64_e32 v[10:11], v[16:17], v[18:19]
	v_fmac_f64_e32 v[12:13], v[14:15], v[18:19]
.LBB189_18:
	s_or_b32 exec_lo, exec_lo, s1
	v_lshlrev_b32_e32 v1, 4, v0
	ds_store_b128 v1, v[10:13] offset:12288
.LBB189_19:
	s_or_b32 exec_lo, exec_lo, s0
	s_cmp_lt_u32 s17, 11
	s_wait_loadcnt_dscnt 0x0
	s_barrier_signal -1
	s_barrier_wait -1
	s_cbranch_scc0 .LBB189_28
; %bb.20:
	v_cmp_neq_f64_e32 vcc_lo, 0, v[2:3]
	v_cmp_neq_f64_e64 s0, 0, v[4:5]
	s_sub_co_i32 s1, s19, s15
	s_add_co_i32 s18, s18, s15
	s_mov_b32 s4, 0
	s_or_b32 s0, vcc_lo, s0
	s_branch .LBB189_23
.LBB189_21:                             ;   in Loop: Header=BB189_23 Depth=1
	s_wait_xcnt 0x0
	s_or_b32 exec_lo, exec_lo, s6
	global_store_b128 v[10:11], v[6:9], off
.LBB189_22:                             ;   in Loop: Header=BB189_23 Depth=1
	s_wait_xcnt 0x0
	s_or_b32 exec_lo, exec_lo, s5
	s_addk_co_i32 s4, 0x100
	s_delay_alu instid0(SALU_CYCLE_1)
	s_cmp_lt_u32 s4, s14
	s_cbranch_scc0 .LBB189_28
.LBB189_23:                             ; =>This Loop Header: Depth=1
                                        ;     Child Loop BB189_25 Depth 2
	v_add_nc_u32_e32 v1, s4, v0
	s_mov_b32 s5, exec_lo
	s_delay_alu instid0(VALU_DEP_1)
	v_cmpx_gt_u32_e64 s1, v1
	s_cbranch_execz .LBB189_22
; %bb.24:                               ;   in Loop: Header=BB189_23 Depth=1
	v_dual_add_nc_u32 v6, s18, v1 :: v_dual_lshlrev_b32 v1, s17, v1
	v_mov_b64_e32 v[8:9], 0
	s_mov_b32 s6, 1
	global_load_b32 v10, v6, s[12:13] scale_offset
	v_lshlrev_b32_e32 v1, 4, v1
	s_wait_xcnt 0x0
	v_mov_b64_e32 v[6:7], v[8:9]
.LBB189_25:                             ;   Parent Loop BB189_23 Depth=1
                                        ; =>  This Inner Loop Header: Depth=2
	ds_load_b128 v[12:15], v1
	s_lshr_b32 s7, s6, s17
	s_add_co_i32 s6, s6, 1
	s_cmp_lg_u32 s7, 0
	s_wait_dscnt 0x0
	v_dual_add_f64 v[8:9], v[8:9], v[14:15] :: v_dual_add_nc_u32 v1, 16, v1
	v_add_f64_e32 v[6:7], v[6:7], v[12:13]
	s_cbranch_scc0 .LBB189_25
; %bb.26:                               ;   in Loop: Header=BB189_23 Depth=1
	s_wait_loadcnt 0x0
	v_ashrrev_i32_e32 v11, 31, v10
	s_wait_kmcnt 0x0
	s_delay_alu instid0(VALU_DEP_1)
	v_lshl_add_u64 v[10:11], v[10:11], 4, s[2:3]
	s_and_saveexec_b32 s6, s0
	s_cbranch_execz .LBB189_21
; %bb.27:                               ;   in Loop: Header=BB189_23 Depth=1
	global_load_b128 v[12:15], v[10:11], off
	s_wait_loadcnt 0x0
	v_fmac_f64_e32 v[6:7], v[2:3], v[12:13]
	v_fmac_f64_e32 v[8:9], v[4:5], v[12:13]
	s_delay_alu instid0(VALU_DEP_2) | instskip(NEXT) | instid1(VALU_DEP_2)
	v_fma_f64 v[6:7], -v[4:5], v[14:15], v[6:7]
	v_fmac_f64_e32 v[8:9], v[2:3], v[14:15]
	s_branch .LBB189_21
.LBB189_28:
	s_endpgm
	.section	.rodata,"a",@progbits
	.p2align	6, 0x0
	.amdhsa_kernel _ZN9rocsparseL30csrmvn_lrb_short_rows_2_kernelIiid21rocsparse_complex_numIdES2_S2_EEvbT_PT0_S5_jNS_24const_host_device_scalarIT4_EEPKS3_PKS4_PKT1_PKT2_S8_PT3_21rocsparse_index_base_b
		.amdhsa_group_segment_fixed_size 16384
		.amdhsa_private_segment_fixed_size 0
		.amdhsa_kernarg_size 112
		.amdhsa_user_sgpr_count 2
		.amdhsa_user_sgpr_dispatch_ptr 0
		.amdhsa_user_sgpr_queue_ptr 0
		.amdhsa_user_sgpr_kernarg_segment_ptr 1
		.amdhsa_user_sgpr_dispatch_id 0
		.amdhsa_user_sgpr_kernarg_preload_length 0
		.amdhsa_user_sgpr_kernarg_preload_offset 0
		.amdhsa_user_sgpr_private_segment_size 0
		.amdhsa_wavefront_size32 1
		.amdhsa_uses_dynamic_stack 0
		.amdhsa_enable_private_segment 0
		.amdhsa_system_sgpr_workgroup_id_x 1
		.amdhsa_system_sgpr_workgroup_id_y 0
		.amdhsa_system_sgpr_workgroup_id_z 0
		.amdhsa_system_sgpr_workgroup_info 0
		.amdhsa_system_vgpr_workitem_id 0
		.amdhsa_next_free_vgpr 28
		.amdhsa_next_free_sgpr 20
		.amdhsa_named_barrier_count 0
		.amdhsa_reserve_vcc 1
		.amdhsa_float_round_mode_32 0
		.amdhsa_float_round_mode_16_64 0
		.amdhsa_float_denorm_mode_32 3
		.amdhsa_float_denorm_mode_16_64 3
		.amdhsa_fp16_overflow 0
		.amdhsa_memory_ordered 1
		.amdhsa_forward_progress 1
		.amdhsa_inst_pref_size 13
		.amdhsa_round_robin_scheduling 0
		.amdhsa_exception_fp_ieee_invalid_op 0
		.amdhsa_exception_fp_denorm_src 0
		.amdhsa_exception_fp_ieee_div_zero 0
		.amdhsa_exception_fp_ieee_overflow 0
		.amdhsa_exception_fp_ieee_underflow 0
		.amdhsa_exception_fp_ieee_inexact 0
		.amdhsa_exception_int_div_zero 0
	.end_amdhsa_kernel
	.section	.text._ZN9rocsparseL30csrmvn_lrb_short_rows_2_kernelIiid21rocsparse_complex_numIdES2_S2_EEvbT_PT0_S5_jNS_24const_host_device_scalarIT4_EEPKS3_PKS4_PKT1_PKT2_S8_PT3_21rocsparse_index_base_b,"axG",@progbits,_ZN9rocsparseL30csrmvn_lrb_short_rows_2_kernelIiid21rocsparse_complex_numIdES2_S2_EEvbT_PT0_S5_jNS_24const_host_device_scalarIT4_EEPKS3_PKS4_PKT1_PKT2_S8_PT3_21rocsparse_index_base_b,comdat
.Lfunc_end189:
	.size	_ZN9rocsparseL30csrmvn_lrb_short_rows_2_kernelIiid21rocsparse_complex_numIdES2_S2_EEvbT_PT0_S5_jNS_24const_host_device_scalarIT4_EEPKS3_PKS4_PKT1_PKT2_S8_PT3_21rocsparse_index_base_b, .Lfunc_end189-_ZN9rocsparseL30csrmvn_lrb_short_rows_2_kernelIiid21rocsparse_complex_numIdES2_S2_EEvbT_PT0_S5_jNS_24const_host_device_scalarIT4_EEPKS3_PKS4_PKT1_PKT2_S8_PT3_21rocsparse_index_base_b
                                        ; -- End function
	.set _ZN9rocsparseL30csrmvn_lrb_short_rows_2_kernelIiid21rocsparse_complex_numIdES2_S2_EEvbT_PT0_S5_jNS_24const_host_device_scalarIT4_EEPKS3_PKS4_PKT1_PKT2_S8_PT3_21rocsparse_index_base_b.num_vgpr, 28
	.set _ZN9rocsparseL30csrmvn_lrb_short_rows_2_kernelIiid21rocsparse_complex_numIdES2_S2_EEvbT_PT0_S5_jNS_24const_host_device_scalarIT4_EEPKS3_PKS4_PKT1_PKT2_S8_PT3_21rocsparse_index_base_b.num_agpr, 0
	.set _ZN9rocsparseL30csrmvn_lrb_short_rows_2_kernelIiid21rocsparse_complex_numIdES2_S2_EEvbT_PT0_S5_jNS_24const_host_device_scalarIT4_EEPKS3_PKS4_PKT1_PKT2_S8_PT3_21rocsparse_index_base_b.numbered_sgpr, 20
	.set _ZN9rocsparseL30csrmvn_lrb_short_rows_2_kernelIiid21rocsparse_complex_numIdES2_S2_EEvbT_PT0_S5_jNS_24const_host_device_scalarIT4_EEPKS3_PKS4_PKT1_PKT2_S8_PT3_21rocsparse_index_base_b.num_named_barrier, 0
	.set _ZN9rocsparseL30csrmvn_lrb_short_rows_2_kernelIiid21rocsparse_complex_numIdES2_S2_EEvbT_PT0_S5_jNS_24const_host_device_scalarIT4_EEPKS3_PKS4_PKT1_PKT2_S8_PT3_21rocsparse_index_base_b.private_seg_size, 0
	.set _ZN9rocsparseL30csrmvn_lrb_short_rows_2_kernelIiid21rocsparse_complex_numIdES2_S2_EEvbT_PT0_S5_jNS_24const_host_device_scalarIT4_EEPKS3_PKS4_PKT1_PKT2_S8_PT3_21rocsparse_index_base_b.uses_vcc, 1
	.set _ZN9rocsparseL30csrmvn_lrb_short_rows_2_kernelIiid21rocsparse_complex_numIdES2_S2_EEvbT_PT0_S5_jNS_24const_host_device_scalarIT4_EEPKS3_PKS4_PKT1_PKT2_S8_PT3_21rocsparse_index_base_b.uses_flat_scratch, 0
	.set _ZN9rocsparseL30csrmvn_lrb_short_rows_2_kernelIiid21rocsparse_complex_numIdES2_S2_EEvbT_PT0_S5_jNS_24const_host_device_scalarIT4_EEPKS3_PKS4_PKT1_PKT2_S8_PT3_21rocsparse_index_base_b.has_dyn_sized_stack, 0
	.set _ZN9rocsparseL30csrmvn_lrb_short_rows_2_kernelIiid21rocsparse_complex_numIdES2_S2_EEvbT_PT0_S5_jNS_24const_host_device_scalarIT4_EEPKS3_PKS4_PKT1_PKT2_S8_PT3_21rocsparse_index_base_b.has_recursion, 0
	.set _ZN9rocsparseL30csrmvn_lrb_short_rows_2_kernelIiid21rocsparse_complex_numIdES2_S2_EEvbT_PT0_S5_jNS_24const_host_device_scalarIT4_EEPKS3_PKS4_PKT1_PKT2_S8_PT3_21rocsparse_index_base_b.has_indirect_call, 0
	.section	.AMDGPU.csdata,"",@progbits
; Kernel info:
; codeLenInByte = 1616
; TotalNumSgprs: 22
; NumVgprs: 28
; ScratchSize: 0
; MemoryBound: 0
; FloatMode: 240
; IeeeMode: 1
; LDSByteSize: 16384 bytes/workgroup (compile time only)
; SGPRBlocks: 0
; VGPRBlocks: 1
; NumSGPRsForWavesPerEU: 22
; NumVGPRsForWavesPerEU: 28
; NamedBarCnt: 0
; Occupancy: 16
; WaveLimiterHint : 1
; COMPUTE_PGM_RSRC2:SCRATCH_EN: 0
; COMPUTE_PGM_RSRC2:USER_SGPR: 2
; COMPUTE_PGM_RSRC2:TRAP_HANDLER: 0
; COMPUTE_PGM_RSRC2:TGID_X_EN: 1
; COMPUTE_PGM_RSRC2:TGID_Y_EN: 0
; COMPUTE_PGM_RSRC2:TGID_Z_EN: 0
; COMPUTE_PGM_RSRC2:TIDIG_COMP_CNT: 0
	.section	.text._ZN9rocsparseL41csrmvn_lrb_medium_rows_warp_reduce_kernelILj256ELj32Eiid21rocsparse_complex_numIdES2_S2_EEvbT1_lPT2_S5_jNS_24const_host_device_scalarIT6_EEPKS3_PKS4_PKT3_PKT4_S8_PT5_21rocsparse_index_base_b,"axG",@progbits,_ZN9rocsparseL41csrmvn_lrb_medium_rows_warp_reduce_kernelILj256ELj32Eiid21rocsparse_complex_numIdES2_S2_EEvbT1_lPT2_S5_jNS_24const_host_device_scalarIT6_EEPKS3_PKS4_PKT3_PKT4_S8_PT5_21rocsparse_index_base_b,comdat
	.globl	_ZN9rocsparseL41csrmvn_lrb_medium_rows_warp_reduce_kernelILj256ELj32Eiid21rocsparse_complex_numIdES2_S2_EEvbT1_lPT2_S5_jNS_24const_host_device_scalarIT6_EEPKS3_PKS4_PKT3_PKT4_S8_PT5_21rocsparse_index_base_b ; -- Begin function _ZN9rocsparseL41csrmvn_lrb_medium_rows_warp_reduce_kernelILj256ELj32Eiid21rocsparse_complex_numIdES2_S2_EEvbT1_lPT2_S5_jNS_24const_host_device_scalarIT6_EEPKS3_PKS4_PKT3_PKT4_S8_PT5_21rocsparse_index_base_b
	.p2align	8
	.type	_ZN9rocsparseL41csrmvn_lrb_medium_rows_warp_reduce_kernelILj256ELj32Eiid21rocsparse_complex_numIdES2_S2_EEvbT1_lPT2_S5_jNS_24const_host_device_scalarIT6_EEPKS3_PKS4_PKT3_PKT4_S8_PT5_21rocsparse_index_base_b,@function
_ZN9rocsparseL41csrmvn_lrb_medium_rows_warp_reduce_kernelILj256ELj32Eiid21rocsparse_complex_numIdES2_S2_EEvbT1_lPT2_S5_jNS_24const_host_device_scalarIT6_EEPKS3_PKS4_PKT3_PKT4_S8_PT5_21rocsparse_index_base_b: ; @_ZN9rocsparseL41csrmvn_lrb_medium_rows_warp_reduce_kernelILj256ELj32Eiid21rocsparse_complex_numIdES2_S2_EEvbT1_lPT2_S5_jNS_24const_host_device_scalarIT6_EEPKS3_PKS4_PKT3_PKT4_S8_PT5_21rocsparse_index_base_b
; %bb.0:
	s_clause 0x1
	s_load_b64 s[8:9], s[0:1], 0x70
	s_load_b64 s[2:3], s[0:1], 0x28
	v_mov_b32_e32 v1, 0
	s_add_nc_u64 s[4:5], s[0:1], 40
	s_load_b64 s[6:7], s[0:1], 0x58
	s_wait_kmcnt 0x0
	s_bitcmp1_b32 s9, 0
	s_cselect_b32 s3, s5, s3
	s_cselect_b32 s2, s4, s2
	flat_load_b128 v[6:9], v1, s[2:3]
	s_wait_xcnt 0x0
	s_add_nc_u64 s[2:3], s[0:1], 0x58
	s_delay_alu instid0(SALU_CYCLE_1)
	s_cselect_b32 s3, s3, s7
	s_cselect_b32 s2, s2, s6
	flat_load_b128 v[2:5], v1, s[2:3]
	s_wait_loadcnt_dscnt 0x101
	v_cmp_eq_f64_e32 vcc_lo, 0, v[6:7]
	s_wait_xcnt 0x0
	v_cmp_eq_f64_e64 s2, 0, v[8:9]
	s_and_b32 s4, vcc_lo, s2
	s_mov_b32 s2, -1
	s_and_saveexec_b32 s3, s4
	s_cbranch_execz .LBB190_2
; %bb.1:
	s_wait_loadcnt_dscnt 0x0
	v_cmp_neq_f64_e32 vcc_lo, 1.0, v[2:3]
	v_cmp_neq_f64_e64 s2, 0, v[4:5]
	s_or_b32 s2, vcc_lo, s2
	s_delay_alu instid0(SALU_CYCLE_1)
	s_or_not1_b32 s2, s2, exec_lo
.LBB190_2:
	s_or_b32 exec_lo, exec_lo, s3
	s_and_saveexec_b32 s3, s2
	s_cbranch_execz .LBB190_12
; %bb.3:
	s_bfe_u32 s4, ttmp6, 0x4000c
	s_load_b64 s[2:3], s[0:1], 0x8
	s_add_co_i32 s4, s4, 1
	s_and_b32 s5, ttmp6, 15
	s_mul_i32 s4, ttmp9, s4
	s_getreg_b32 s6, hwreg(HW_REG_IB_STS2, 6, 4)
	v_lshrrev_b32_e32 v1, 5, v0
	s_add_co_i32 s5, s5, s4
	s_cmp_eq_u32 s6, 0
	s_cselect_b32 s4, ttmp9, s5
	s_delay_alu instid0(VALU_DEP_1) | instid1(SALU_CYCLE_1)
	v_lshl_or_b32 v10, s4, 3, v1
	s_delay_alu instid0(VALU_DEP_1) | instskip(SKIP_1) | instid1(VALU_DEP_1)
	v_ashrrev_i32_e32 v11, 31, v10
	s_wait_kmcnt 0x0
	v_cmp_gt_i64_e32 vcc_lo, s[2:3], v[10:11]
	s_and_b32 exec_lo, exec_lo, vcc_lo
	s_cbranch_execz .LBB190_12
; %bb.4:
	s_clause 0x1
	s_load_b128 s[4:7], s[0:1], 0x10
	s_load_b32 s2, s[0:1], 0x20
	s_mov_b32 s9, exec_lo
	s_wait_kmcnt 0x0
	s_load_b32 s2, s[6:7], s2 offset:0x0 scale_offset
	s_wait_kmcnt 0x0
	v_add_nc_u32_e32 v1, s2, v10
	s_load_b64 s[2:3], s[0:1], 0x38
	global_load_b32 v10, v1, s[4:5] scale_offset
	s_wait_loadcnt 0x0
	v_ashrrev_i32_e32 v11, 31, v10
	s_wait_kmcnt 0x0
	s_delay_alu instid0(VALU_DEP_1) | instskip(SKIP_2) | instid1(VALU_DEP_1)
	v_lshl_add_u64 v[12:13], v[10:11], 2, s[2:3]
	global_load_b64 v[12:13], v[12:13], off
	v_and_b32_e32 v18, 31, v0
	v_subrev_nc_u32_e32 v0, s8, v18
	s_wait_loadcnt 0x0
	v_subrev_nc_u32_e32 v19, s8, v13
	s_delay_alu instid0(VALU_DEP_2) | instskip(SKIP_2) | instid1(VALU_DEP_3)
	v_add_nc_u32_e32 v20, v12, v0
	v_mov_b64_e32 v[0:1], 0
	v_mov_b64_e32 v[12:13], 0
	v_cmpx_lt_i32_e64 v20, v19
	s_cbranch_execz .LBB190_8
; %bb.5:
	v_mul_f64_e32 v[14:15], 0x80000000, v[8:9]
	v_mul_f64_e32 v[16:17], 0, v[6:7]
	s_clause 0x1
	s_load_b64 s[2:3], s[0:1], 0x50
	s_load_b128 s[4:7], s[0:1], 0x40
	v_mov_b64_e32 v[0:1], 0
	v_mov_b64_e32 v[12:13], 0
	s_mov_b32 s10, 0
.LBB190_6:                              ; =>This Inner Loop Header: Depth=1
	s_wait_kmcnt 0x0
	s_clause 0x1
	global_load_b32 v21, v20, s[4:5] scale_offset
	global_load_b64 v[26:27], v20, s[6:7] scale_offset
	s_wait_xcnt 0x0
	v_add_nc_u32_e32 v20, 32, v20
	s_delay_alu instid0(VALU_DEP_1)
	v_cmp_ge_i32_e32 vcc_lo, v20, v19
	s_or_b32 s10, vcc_lo, s10
	s_wait_loadcnt 0x1
	v_subrev_nc_u32_e32 v21, s8, v21
	s_wait_loadcnt 0x0
	v_fma_f64 v[28:29], v[6:7], v[26:27], v[14:15]
	v_fma_f64 v[26:27], v[8:9], v[26:27], v[16:17]
	global_load_b128 v[22:25], v21, s[2:3] scale_offset
	s_wait_loadcnt 0x0
	v_fmac_f64_e32 v[12:13], v[28:29], v[22:23]
	v_fmac_f64_e32 v[0:1], v[26:27], v[22:23]
	s_delay_alu instid0(VALU_DEP_2) | instskip(NEXT) | instid1(VALU_DEP_2)
	v_fma_f64 v[12:13], -v[26:27], v[24:25], v[12:13]
	v_fmac_f64_e32 v[0:1], v[28:29], v[24:25]
	s_and_not1_b32 exec_lo, exec_lo, s10
	s_cbranch_execnz .LBB190_6
; %bb.7:
	s_or_b32 exec_lo, exec_lo, s10
.LBB190_8:
	s_delay_alu instid0(SALU_CYCLE_1) | instskip(SKIP_2) | instid1(VALU_DEP_1)
	s_or_b32 exec_lo, exec_lo, s9
	v_mbcnt_lo_u32_b32 v14, -1, 0
	s_load_b64 s[2:3], s[0:1], 0x68
	v_xor_b32_e32 v6, 16, v14
	s_delay_alu instid0(VALU_DEP_1) | instskip(SKIP_1) | instid1(VALU_DEP_1)
	v_cmp_gt_i32_e32 vcc_lo, 32, v6
	v_cndmask_b32_e32 v6, v14, v6, vcc_lo
	v_lshlrev_b32_e32 v9, 2, v6
	ds_bpermute_b32 v6, v9, v12
	ds_bpermute_b32 v7, v9, v13
	;; [unrolled: 1-line block ×4, first 2 shown]
	s_wait_dscnt 0x2
	v_add_f64_e32 v[6:7], v[12:13], v[6:7]
	s_wait_dscnt 0x0
	v_dual_add_f64 v[0:1], v[0:1], v[8:9] :: v_dual_bitop2_b32 v8, 8, v14 bitop3:0x14
	s_delay_alu instid0(VALU_DEP_1) | instskip(SKIP_1) | instid1(VALU_DEP_1)
	v_cmp_gt_i32_e32 vcc_lo, 32, v8
	v_cndmask_b32_e32 v8, v14, v8, vcc_lo
	v_lshlrev_b32_e32 v13, 2, v8
	ds_bpermute_b32 v8, v13, v6
	ds_bpermute_b32 v9, v13, v7
	;; [unrolled: 1-line block ×4, first 2 shown]
	s_wait_dscnt 0x2
	v_dual_add_f64 v[6:7], v[6:7], v[8:9] :: v_dual_bitop2_b32 v8, 4, v14 bitop3:0x14
	s_wait_dscnt 0x0
	v_add_f64_e32 v[0:1], v[0:1], v[12:13]
	s_delay_alu instid0(VALU_DEP_2) | instskip(SKIP_1) | instid1(VALU_DEP_1)
	v_cmp_gt_i32_e32 vcc_lo, 32, v8
	v_cndmask_b32_e32 v8, v14, v8, vcc_lo
	v_lshlrev_b32_e32 v13, 2, v8
	ds_bpermute_b32 v8, v13, v6
	ds_bpermute_b32 v9, v13, v7
	ds_bpermute_b32 v12, v13, v0
	ds_bpermute_b32 v13, v13, v1
	s_wait_dscnt 0x2
	v_add_f64_e32 v[6:7], v[6:7], v[8:9]
	s_wait_dscnt 0x0
	v_dual_add_f64 v[8:9], v[0:1], v[12:13] :: v_dual_bitop2_b32 v0, 2, v14 bitop3:0x14
	s_delay_alu instid0(VALU_DEP_1) | instskip(SKIP_1) | instid1(VALU_DEP_1)
	v_cmp_gt_i32_e32 vcc_lo, 32, v0
	v_cndmask_b32_e32 v0, v14, v0, vcc_lo
	v_lshlrev_b32_e32 v13, 2, v0
	ds_bpermute_b32 v0, v13, v6
	ds_bpermute_b32 v1, v13, v7
	s_wait_dscnt 0x0
	v_dual_add_f64 v[0:1], v[6:7], v[0:1] :: v_dual_bitop2_b32 v6, 1, v14 bitop3:0x14
	ds_bpermute_b32 v12, v13, v8
	ds_bpermute_b32 v13, v13, v9
	v_cmp_gt_i32_e32 vcc_lo, 32, v6
	v_cndmask_b32_e32 v6, v14, v6, vcc_lo
	v_cmp_eq_u32_e32 vcc_lo, 31, v18
	s_wait_dscnt 0x0
	s_delay_alu instid0(VALU_DEP_2)
	v_dual_add_f64 v[8:9], v[8:9], v[12:13] :: v_dual_lshlrev_b32 v13, 2, v6
	ds_bpermute_b32 v6, v13, v0
	ds_bpermute_b32 v7, v13, v1
	;; [unrolled: 1-line block ×4, first 2 shown]
	s_and_b32 exec_lo, exec_lo, vcc_lo
	s_cbranch_execz .LBB190_12
; %bb.9:
	v_cmp_neq_f64_e32 vcc_lo, 0, v[2:3]
	s_wait_xcnt 0x0
	v_cmp_neq_f64_e64 s0, 0, v[4:5]
	s_wait_dscnt 0x2
	v_add_f64_e32 v[6:7], v[0:1], v[6:7]
	s_wait_dscnt 0x0
	v_add_f64_e32 v[8:9], v[8:9], v[12:13]
	s_wait_kmcnt 0x0
	v_lshl_add_u64 v[0:1], v[10:11], 4, s[2:3]
	s_or_b32 s1, vcc_lo, s0
	s_delay_alu instid0(SALU_CYCLE_1)
	s_and_saveexec_b32 s0, s1
	s_cbranch_execz .LBB190_11
; %bb.10:
	global_load_b128 v[10:13], v[0:1], off
	s_wait_loadcnt 0x0
	v_fmac_f64_e32 v[6:7], v[2:3], v[10:11]
	v_fmac_f64_e32 v[8:9], v[4:5], v[10:11]
	s_delay_alu instid0(VALU_DEP_2) | instskip(NEXT) | instid1(VALU_DEP_2)
	v_fma_f64 v[6:7], -v[4:5], v[12:13], v[6:7]
	v_fmac_f64_e32 v[8:9], v[2:3], v[12:13]
.LBB190_11:
	s_or_b32 exec_lo, exec_lo, s0
	global_store_b128 v[0:1], v[6:9], off
.LBB190_12:
	s_endpgm
	.section	.rodata,"a",@progbits
	.p2align	6, 0x0
	.amdhsa_kernel _ZN9rocsparseL41csrmvn_lrb_medium_rows_warp_reduce_kernelILj256ELj32Eiid21rocsparse_complex_numIdES2_S2_EEvbT1_lPT2_S5_jNS_24const_host_device_scalarIT6_EEPKS3_PKS4_PKT3_PKT4_S8_PT5_21rocsparse_index_base_b
		.amdhsa_group_segment_fixed_size 0
		.amdhsa_private_segment_fixed_size 0
		.amdhsa_kernarg_size 120
		.amdhsa_user_sgpr_count 2
		.amdhsa_user_sgpr_dispatch_ptr 0
		.amdhsa_user_sgpr_queue_ptr 0
		.amdhsa_user_sgpr_kernarg_segment_ptr 1
		.amdhsa_user_sgpr_dispatch_id 0
		.amdhsa_user_sgpr_kernarg_preload_length 0
		.amdhsa_user_sgpr_kernarg_preload_offset 0
		.amdhsa_user_sgpr_private_segment_size 0
		.amdhsa_wavefront_size32 1
		.amdhsa_uses_dynamic_stack 0
		.amdhsa_enable_private_segment 0
		.amdhsa_system_sgpr_workgroup_id_x 1
		.amdhsa_system_sgpr_workgroup_id_y 0
		.amdhsa_system_sgpr_workgroup_id_z 0
		.amdhsa_system_sgpr_workgroup_info 0
		.amdhsa_system_vgpr_workitem_id 0
		.amdhsa_next_free_vgpr 30
		.amdhsa_next_free_sgpr 11
		.amdhsa_named_barrier_count 0
		.amdhsa_reserve_vcc 1
		.amdhsa_float_round_mode_32 0
		.amdhsa_float_round_mode_16_64 0
		.amdhsa_float_denorm_mode_32 3
		.amdhsa_float_denorm_mode_16_64 3
		.amdhsa_fp16_overflow 0
		.amdhsa_memory_ordered 1
		.amdhsa_forward_progress 1
		.amdhsa_inst_pref_size 9
		.amdhsa_round_robin_scheduling 0
		.amdhsa_exception_fp_ieee_invalid_op 0
		.amdhsa_exception_fp_denorm_src 0
		.amdhsa_exception_fp_ieee_div_zero 0
		.amdhsa_exception_fp_ieee_overflow 0
		.amdhsa_exception_fp_ieee_underflow 0
		.amdhsa_exception_fp_ieee_inexact 0
		.amdhsa_exception_int_div_zero 0
	.end_amdhsa_kernel
	.section	.text._ZN9rocsparseL41csrmvn_lrb_medium_rows_warp_reduce_kernelILj256ELj32Eiid21rocsparse_complex_numIdES2_S2_EEvbT1_lPT2_S5_jNS_24const_host_device_scalarIT6_EEPKS3_PKS4_PKT3_PKT4_S8_PT5_21rocsparse_index_base_b,"axG",@progbits,_ZN9rocsparseL41csrmvn_lrb_medium_rows_warp_reduce_kernelILj256ELj32Eiid21rocsparse_complex_numIdES2_S2_EEvbT1_lPT2_S5_jNS_24const_host_device_scalarIT6_EEPKS3_PKS4_PKT3_PKT4_S8_PT5_21rocsparse_index_base_b,comdat
.Lfunc_end190:
	.size	_ZN9rocsparseL41csrmvn_lrb_medium_rows_warp_reduce_kernelILj256ELj32Eiid21rocsparse_complex_numIdES2_S2_EEvbT1_lPT2_S5_jNS_24const_host_device_scalarIT6_EEPKS3_PKS4_PKT3_PKT4_S8_PT5_21rocsparse_index_base_b, .Lfunc_end190-_ZN9rocsparseL41csrmvn_lrb_medium_rows_warp_reduce_kernelILj256ELj32Eiid21rocsparse_complex_numIdES2_S2_EEvbT1_lPT2_S5_jNS_24const_host_device_scalarIT6_EEPKS3_PKS4_PKT3_PKT4_S8_PT5_21rocsparse_index_base_b
                                        ; -- End function
	.set _ZN9rocsparseL41csrmvn_lrb_medium_rows_warp_reduce_kernelILj256ELj32Eiid21rocsparse_complex_numIdES2_S2_EEvbT1_lPT2_S5_jNS_24const_host_device_scalarIT6_EEPKS3_PKS4_PKT3_PKT4_S8_PT5_21rocsparse_index_base_b.num_vgpr, 30
	.set _ZN9rocsparseL41csrmvn_lrb_medium_rows_warp_reduce_kernelILj256ELj32Eiid21rocsparse_complex_numIdES2_S2_EEvbT1_lPT2_S5_jNS_24const_host_device_scalarIT6_EEPKS3_PKS4_PKT3_PKT4_S8_PT5_21rocsparse_index_base_b.num_agpr, 0
	.set _ZN9rocsparseL41csrmvn_lrb_medium_rows_warp_reduce_kernelILj256ELj32Eiid21rocsparse_complex_numIdES2_S2_EEvbT1_lPT2_S5_jNS_24const_host_device_scalarIT6_EEPKS3_PKS4_PKT3_PKT4_S8_PT5_21rocsparse_index_base_b.numbered_sgpr, 11
	.set _ZN9rocsparseL41csrmvn_lrb_medium_rows_warp_reduce_kernelILj256ELj32Eiid21rocsparse_complex_numIdES2_S2_EEvbT1_lPT2_S5_jNS_24const_host_device_scalarIT6_EEPKS3_PKS4_PKT3_PKT4_S8_PT5_21rocsparse_index_base_b.num_named_barrier, 0
	.set _ZN9rocsparseL41csrmvn_lrb_medium_rows_warp_reduce_kernelILj256ELj32Eiid21rocsparse_complex_numIdES2_S2_EEvbT1_lPT2_S5_jNS_24const_host_device_scalarIT6_EEPKS3_PKS4_PKT3_PKT4_S8_PT5_21rocsparse_index_base_b.private_seg_size, 0
	.set _ZN9rocsparseL41csrmvn_lrb_medium_rows_warp_reduce_kernelILj256ELj32Eiid21rocsparse_complex_numIdES2_S2_EEvbT1_lPT2_S5_jNS_24const_host_device_scalarIT6_EEPKS3_PKS4_PKT3_PKT4_S8_PT5_21rocsparse_index_base_b.uses_vcc, 1
	.set _ZN9rocsparseL41csrmvn_lrb_medium_rows_warp_reduce_kernelILj256ELj32Eiid21rocsparse_complex_numIdES2_S2_EEvbT1_lPT2_S5_jNS_24const_host_device_scalarIT6_EEPKS3_PKS4_PKT3_PKT4_S8_PT5_21rocsparse_index_base_b.uses_flat_scratch, 0
	.set _ZN9rocsparseL41csrmvn_lrb_medium_rows_warp_reduce_kernelILj256ELj32Eiid21rocsparse_complex_numIdES2_S2_EEvbT1_lPT2_S5_jNS_24const_host_device_scalarIT6_EEPKS3_PKS4_PKT3_PKT4_S8_PT5_21rocsparse_index_base_b.has_dyn_sized_stack, 0
	.set _ZN9rocsparseL41csrmvn_lrb_medium_rows_warp_reduce_kernelILj256ELj32Eiid21rocsparse_complex_numIdES2_S2_EEvbT1_lPT2_S5_jNS_24const_host_device_scalarIT6_EEPKS3_PKS4_PKT3_PKT4_S8_PT5_21rocsparse_index_base_b.has_recursion, 0
	.set _ZN9rocsparseL41csrmvn_lrb_medium_rows_warp_reduce_kernelILj256ELj32Eiid21rocsparse_complex_numIdES2_S2_EEvbT1_lPT2_S5_jNS_24const_host_device_scalarIT6_EEPKS3_PKS4_PKT3_PKT4_S8_PT5_21rocsparse_index_base_b.has_indirect_call, 0
	.section	.AMDGPU.csdata,"",@progbits
; Kernel info:
; codeLenInByte = 1080
; TotalNumSgprs: 13
; NumVgprs: 30
; ScratchSize: 0
; MemoryBound: 0
; FloatMode: 240
; IeeeMode: 1
; LDSByteSize: 0 bytes/workgroup (compile time only)
; SGPRBlocks: 0
; VGPRBlocks: 1
; NumSGPRsForWavesPerEU: 13
; NumVGPRsForWavesPerEU: 30
; NamedBarCnt: 0
; Occupancy: 16
; WaveLimiterHint : 1
; COMPUTE_PGM_RSRC2:SCRATCH_EN: 0
; COMPUTE_PGM_RSRC2:USER_SGPR: 2
; COMPUTE_PGM_RSRC2:TRAP_HANDLER: 0
; COMPUTE_PGM_RSRC2:TGID_X_EN: 1
; COMPUTE_PGM_RSRC2:TGID_Y_EN: 0
; COMPUTE_PGM_RSRC2:TGID_Z_EN: 0
; COMPUTE_PGM_RSRC2:TIDIG_COMP_CNT: 0
	.section	.text._ZN9rocsparseL41csrmvn_lrb_medium_rows_warp_reduce_kernelILj256ELj64Eiid21rocsparse_complex_numIdES2_S2_EEvbT1_lPT2_S5_jNS_24const_host_device_scalarIT6_EEPKS3_PKS4_PKT3_PKT4_S8_PT5_21rocsparse_index_base_b,"axG",@progbits,_ZN9rocsparseL41csrmvn_lrb_medium_rows_warp_reduce_kernelILj256ELj64Eiid21rocsparse_complex_numIdES2_S2_EEvbT1_lPT2_S5_jNS_24const_host_device_scalarIT6_EEPKS3_PKS4_PKT3_PKT4_S8_PT5_21rocsparse_index_base_b,comdat
	.globl	_ZN9rocsparseL41csrmvn_lrb_medium_rows_warp_reduce_kernelILj256ELj64Eiid21rocsparse_complex_numIdES2_S2_EEvbT1_lPT2_S5_jNS_24const_host_device_scalarIT6_EEPKS3_PKS4_PKT3_PKT4_S8_PT5_21rocsparse_index_base_b ; -- Begin function _ZN9rocsparseL41csrmvn_lrb_medium_rows_warp_reduce_kernelILj256ELj64Eiid21rocsparse_complex_numIdES2_S2_EEvbT1_lPT2_S5_jNS_24const_host_device_scalarIT6_EEPKS3_PKS4_PKT3_PKT4_S8_PT5_21rocsparse_index_base_b
	.p2align	8
	.type	_ZN9rocsparseL41csrmvn_lrb_medium_rows_warp_reduce_kernelILj256ELj64Eiid21rocsparse_complex_numIdES2_S2_EEvbT1_lPT2_S5_jNS_24const_host_device_scalarIT6_EEPKS3_PKS4_PKT3_PKT4_S8_PT5_21rocsparse_index_base_b,@function
_ZN9rocsparseL41csrmvn_lrb_medium_rows_warp_reduce_kernelILj256ELj64Eiid21rocsparse_complex_numIdES2_S2_EEvbT1_lPT2_S5_jNS_24const_host_device_scalarIT6_EEPKS3_PKS4_PKT3_PKT4_S8_PT5_21rocsparse_index_base_b: ; @_ZN9rocsparseL41csrmvn_lrb_medium_rows_warp_reduce_kernelILj256ELj64Eiid21rocsparse_complex_numIdES2_S2_EEvbT1_lPT2_S5_jNS_24const_host_device_scalarIT6_EEPKS3_PKS4_PKT3_PKT4_S8_PT5_21rocsparse_index_base_b
; %bb.0:
	s_clause 0x1
	s_load_b64 s[8:9], s[0:1], 0x70
	s_load_b64 s[2:3], s[0:1], 0x28
	v_mov_b32_e32 v1, 0
	s_add_nc_u64 s[4:5], s[0:1], 40
	s_load_b64 s[6:7], s[0:1], 0x58
	s_wait_kmcnt 0x0
	s_bitcmp1_b32 s9, 0
	s_cselect_b32 s3, s5, s3
	s_cselect_b32 s2, s4, s2
	flat_load_b128 v[6:9], v1, s[2:3]
	s_wait_xcnt 0x0
	s_add_nc_u64 s[2:3], s[0:1], 0x58
	s_delay_alu instid0(SALU_CYCLE_1)
	s_cselect_b32 s3, s3, s7
	s_cselect_b32 s2, s2, s6
	flat_load_b128 v[2:5], v1, s[2:3]
	s_wait_loadcnt_dscnt 0x101
	v_cmp_eq_f64_e32 vcc_lo, 0, v[6:7]
	s_wait_xcnt 0x0
	v_cmp_eq_f64_e64 s2, 0, v[8:9]
	s_and_b32 s4, vcc_lo, s2
	s_mov_b32 s2, -1
	s_and_saveexec_b32 s3, s4
	s_cbranch_execz .LBB191_2
; %bb.1:
	s_wait_loadcnt_dscnt 0x0
	v_cmp_neq_f64_e32 vcc_lo, 1.0, v[2:3]
	v_cmp_neq_f64_e64 s2, 0, v[4:5]
	s_or_b32 s2, vcc_lo, s2
	s_delay_alu instid0(SALU_CYCLE_1)
	s_or_not1_b32 s2, s2, exec_lo
.LBB191_2:
	s_or_b32 exec_lo, exec_lo, s3
	s_and_saveexec_b32 s3, s2
	s_cbranch_execz .LBB191_12
; %bb.3:
	s_bfe_u32 s4, ttmp6, 0x4000c
	s_load_b64 s[2:3], s[0:1], 0x8
	s_add_co_i32 s4, s4, 1
	s_and_b32 s5, ttmp6, 15
	s_mul_i32 s4, ttmp9, s4
	s_getreg_b32 s6, hwreg(HW_REG_IB_STS2, 6, 4)
	v_lshrrev_b32_e32 v1, 6, v0
	s_add_co_i32 s5, s5, s4
	s_cmp_eq_u32 s6, 0
	s_cselect_b32 s4, ttmp9, s5
	s_delay_alu instid0(VALU_DEP_1) | instid1(SALU_CYCLE_1)
	v_lshl_or_b32 v10, s4, 2, v1
	s_delay_alu instid0(VALU_DEP_1) | instskip(SKIP_1) | instid1(VALU_DEP_1)
	v_ashrrev_i32_e32 v11, 31, v10
	s_wait_kmcnt 0x0
	v_cmp_gt_i64_e32 vcc_lo, s[2:3], v[10:11]
	s_and_b32 exec_lo, exec_lo, vcc_lo
	s_cbranch_execz .LBB191_12
; %bb.4:
	s_clause 0x1
	s_load_b128 s[4:7], s[0:1], 0x10
	s_load_b32 s2, s[0:1], 0x20
	s_mov_b32 s9, exec_lo
	s_wait_kmcnt 0x0
	s_load_b32 s2, s[6:7], s2 offset:0x0 scale_offset
	s_wait_kmcnt 0x0
	v_add_nc_u32_e32 v1, s2, v10
	s_load_b64 s[2:3], s[0:1], 0x38
	global_load_b32 v10, v1, s[4:5] scale_offset
	s_wait_loadcnt 0x0
	v_ashrrev_i32_e32 v11, 31, v10
	s_wait_kmcnt 0x0
	s_delay_alu instid0(VALU_DEP_1) | instskip(SKIP_2) | instid1(VALU_DEP_1)
	v_lshl_add_u64 v[12:13], v[10:11], 2, s[2:3]
	global_load_b64 v[12:13], v[12:13], off
	v_and_b32_e32 v18, 63, v0
	v_subrev_nc_u32_e32 v0, s8, v18
	s_wait_loadcnt 0x0
	v_subrev_nc_u32_e32 v19, s8, v13
	s_delay_alu instid0(VALU_DEP_2) | instskip(SKIP_2) | instid1(VALU_DEP_3)
	v_add_nc_u32_e32 v20, v12, v0
	v_mov_b64_e32 v[0:1], 0
	v_mov_b64_e32 v[12:13], 0
	v_cmpx_lt_i32_e64 v20, v19
	s_cbranch_execz .LBB191_8
; %bb.5:
	v_mul_f64_e32 v[14:15], 0x80000000, v[8:9]
	v_mul_f64_e32 v[16:17], 0, v[6:7]
	s_clause 0x1
	s_load_b64 s[2:3], s[0:1], 0x50
	s_load_b128 s[4:7], s[0:1], 0x40
	v_mov_b64_e32 v[0:1], 0
	v_mov_b64_e32 v[12:13], 0
	s_mov_b32 s10, 0
.LBB191_6:                              ; =>This Inner Loop Header: Depth=1
	s_wait_kmcnt 0x0
	s_clause 0x1
	global_load_b32 v21, v20, s[4:5] scale_offset
	global_load_b64 v[26:27], v20, s[6:7] scale_offset
	s_wait_xcnt 0x0
	v_add_nc_u32_e32 v20, 64, v20
	s_delay_alu instid0(VALU_DEP_1)
	v_cmp_ge_i32_e32 vcc_lo, v20, v19
	s_or_b32 s10, vcc_lo, s10
	s_wait_loadcnt 0x1
	v_subrev_nc_u32_e32 v21, s8, v21
	s_wait_loadcnt 0x0
	v_fma_f64 v[28:29], v[6:7], v[26:27], v[14:15]
	v_fma_f64 v[26:27], v[8:9], v[26:27], v[16:17]
	global_load_b128 v[22:25], v21, s[2:3] scale_offset
	s_wait_loadcnt 0x0
	v_fmac_f64_e32 v[12:13], v[28:29], v[22:23]
	v_fmac_f64_e32 v[0:1], v[26:27], v[22:23]
	s_delay_alu instid0(VALU_DEP_2) | instskip(NEXT) | instid1(VALU_DEP_2)
	v_fma_f64 v[12:13], -v[26:27], v[24:25], v[12:13]
	v_fmac_f64_e32 v[0:1], v[28:29], v[24:25]
	s_and_not1_b32 exec_lo, exec_lo, s10
	s_cbranch_execnz .LBB191_6
; %bb.7:
	s_or_b32 exec_lo, exec_lo, s10
.LBB191_8:
	s_delay_alu instid0(SALU_CYCLE_1) | instskip(SKIP_2) | instid1(VALU_DEP_1)
	s_or_b32 exec_lo, exec_lo, s9
	v_mbcnt_lo_u32_b32 v14, -1, 0
	s_load_b64 s[2:3], s[0:1], 0x68
	v_or_b32_e32 v6, 32, v14
	s_delay_alu instid0(VALU_DEP_1) | instskip(SKIP_1) | instid1(VALU_DEP_1)
	v_cmp_gt_i32_e32 vcc_lo, 32, v6
	v_cndmask_b32_e32 v6, v14, v6, vcc_lo
	v_lshlrev_b32_e32 v9, 2, v6
	ds_bpermute_b32 v6, v9, v12
	ds_bpermute_b32 v7, v9, v13
	;; [unrolled: 1-line block ×4, first 2 shown]
	s_wait_dscnt 0x2
	v_add_f64_e32 v[6:7], v[12:13], v[6:7]
	s_wait_dscnt 0x0
	v_dual_add_f64 v[0:1], v[0:1], v[8:9] :: v_dual_bitop2_b32 v8, 16, v14 bitop3:0x14
	s_delay_alu instid0(VALU_DEP_1) | instskip(SKIP_1) | instid1(VALU_DEP_1)
	v_cmp_gt_i32_e32 vcc_lo, 32, v8
	v_cndmask_b32_e32 v8, v14, v8, vcc_lo
	v_lshlrev_b32_e32 v13, 2, v8
	ds_bpermute_b32 v8, v13, v6
	ds_bpermute_b32 v9, v13, v7
	;; [unrolled: 1-line block ×4, first 2 shown]
	s_wait_dscnt 0x2
	v_dual_add_f64 v[6:7], v[6:7], v[8:9] :: v_dual_bitop2_b32 v8, 8, v14 bitop3:0x14
	s_wait_dscnt 0x0
	v_add_f64_e32 v[0:1], v[0:1], v[12:13]
	s_delay_alu instid0(VALU_DEP_2) | instskip(SKIP_1) | instid1(VALU_DEP_1)
	v_cmp_gt_i32_e32 vcc_lo, 32, v8
	v_cndmask_b32_e32 v8, v14, v8, vcc_lo
	v_lshlrev_b32_e32 v13, 2, v8
	ds_bpermute_b32 v8, v13, v6
	ds_bpermute_b32 v9, v13, v7
	s_wait_dscnt 0x0
	v_dual_add_f64 v[6:7], v[6:7], v[8:9] :: v_dual_bitop2_b32 v8, 4, v14 bitop3:0x14
	ds_bpermute_b32 v12, v13, v0
	ds_bpermute_b32 v13, v13, v1
	v_cmp_gt_i32_e32 vcc_lo, 32, v8
	v_cndmask_b32_e32 v8, v14, v8, vcc_lo
	s_wait_dscnt 0x0
	v_add_f64_e32 v[0:1], v[0:1], v[12:13]
	s_delay_alu instid0(VALU_DEP_2)
	v_lshlrev_b32_e32 v13, 2, v8
	ds_bpermute_b32 v8, v13, v6
	ds_bpermute_b32 v9, v13, v7
	s_wait_dscnt 0x0
	v_add_f64_e32 v[6:7], v[6:7], v[8:9]
	ds_bpermute_b32 v12, v13, v0
	ds_bpermute_b32 v13, v13, v1
	s_wait_dscnt 0x0
	v_dual_add_f64 v[8:9], v[0:1], v[12:13] :: v_dual_bitop2_b32 v0, 2, v14 bitop3:0x14
	s_delay_alu instid0(VALU_DEP_1) | instskip(SKIP_1) | instid1(VALU_DEP_1)
	v_cmp_gt_i32_e32 vcc_lo, 32, v0
	v_cndmask_b32_e32 v0, v14, v0, vcc_lo
	v_lshlrev_b32_e32 v13, 2, v0
	ds_bpermute_b32 v0, v13, v6
	ds_bpermute_b32 v1, v13, v7
	;; [unrolled: 1-line block ×4, first 2 shown]
	s_wait_dscnt 0x2
	v_dual_add_f64 v[0:1], v[6:7], v[0:1] :: v_dual_bitop2_b32 v6, 1, v14 bitop3:0x14
	s_delay_alu instid0(VALU_DEP_1) | instskip(SKIP_3) | instid1(VALU_DEP_2)
	v_cmp_gt_i32_e32 vcc_lo, 32, v6
	s_wait_dscnt 0x0
	v_dual_add_f64 v[8:9], v[8:9], v[12:13] :: v_dual_cndmask_b32 v6, v14, v6, vcc_lo
	v_cmp_eq_u32_e32 vcc_lo, 63, v18
	v_lshlrev_b32_e32 v13, 2, v6
	ds_bpermute_b32 v6, v13, v0
	ds_bpermute_b32 v7, v13, v1
	;; [unrolled: 1-line block ×4, first 2 shown]
	s_and_b32 exec_lo, exec_lo, vcc_lo
	s_cbranch_execz .LBB191_12
; %bb.9:
	v_cmp_neq_f64_e32 vcc_lo, 0, v[2:3]
	s_wait_xcnt 0x0
	v_cmp_neq_f64_e64 s0, 0, v[4:5]
	s_wait_dscnt 0x2
	v_add_f64_e32 v[6:7], v[0:1], v[6:7]
	s_wait_dscnt 0x0
	v_add_f64_e32 v[8:9], v[8:9], v[12:13]
	s_wait_kmcnt 0x0
	v_lshl_add_u64 v[0:1], v[10:11], 4, s[2:3]
	s_or_b32 s1, vcc_lo, s0
	s_delay_alu instid0(SALU_CYCLE_1)
	s_and_saveexec_b32 s0, s1
	s_cbranch_execz .LBB191_11
; %bb.10:
	global_load_b128 v[10:13], v[0:1], off
	s_wait_loadcnt 0x0
	v_fmac_f64_e32 v[6:7], v[2:3], v[10:11]
	v_fmac_f64_e32 v[8:9], v[4:5], v[10:11]
	s_delay_alu instid0(VALU_DEP_2) | instskip(NEXT) | instid1(VALU_DEP_2)
	v_fma_f64 v[6:7], -v[4:5], v[12:13], v[6:7]
	v_fmac_f64_e32 v[8:9], v[2:3], v[12:13]
.LBB191_11:
	s_or_b32 exec_lo, exec_lo, s0
	global_store_b128 v[0:1], v[6:9], off
.LBB191_12:
	s_endpgm
	.section	.rodata,"a",@progbits
	.p2align	6, 0x0
	.amdhsa_kernel _ZN9rocsparseL41csrmvn_lrb_medium_rows_warp_reduce_kernelILj256ELj64Eiid21rocsparse_complex_numIdES2_S2_EEvbT1_lPT2_S5_jNS_24const_host_device_scalarIT6_EEPKS3_PKS4_PKT3_PKT4_S8_PT5_21rocsparse_index_base_b
		.amdhsa_group_segment_fixed_size 0
		.amdhsa_private_segment_fixed_size 0
		.amdhsa_kernarg_size 120
		.amdhsa_user_sgpr_count 2
		.amdhsa_user_sgpr_dispatch_ptr 0
		.amdhsa_user_sgpr_queue_ptr 0
		.amdhsa_user_sgpr_kernarg_segment_ptr 1
		.amdhsa_user_sgpr_dispatch_id 0
		.amdhsa_user_sgpr_kernarg_preload_length 0
		.amdhsa_user_sgpr_kernarg_preload_offset 0
		.amdhsa_user_sgpr_private_segment_size 0
		.amdhsa_wavefront_size32 1
		.amdhsa_uses_dynamic_stack 0
		.amdhsa_enable_private_segment 0
		.amdhsa_system_sgpr_workgroup_id_x 1
		.amdhsa_system_sgpr_workgroup_id_y 0
		.amdhsa_system_sgpr_workgroup_id_z 0
		.amdhsa_system_sgpr_workgroup_info 0
		.amdhsa_system_vgpr_workitem_id 0
		.amdhsa_next_free_vgpr 30
		.amdhsa_next_free_sgpr 11
		.amdhsa_named_barrier_count 0
		.amdhsa_reserve_vcc 1
		.amdhsa_float_round_mode_32 0
		.amdhsa_float_round_mode_16_64 0
		.amdhsa_float_denorm_mode_32 3
		.amdhsa_float_denorm_mode_16_64 3
		.amdhsa_fp16_overflow 0
		.amdhsa_memory_ordered 1
		.amdhsa_forward_progress 1
		.amdhsa_inst_pref_size 9
		.amdhsa_round_robin_scheduling 0
		.amdhsa_exception_fp_ieee_invalid_op 0
		.amdhsa_exception_fp_denorm_src 0
		.amdhsa_exception_fp_ieee_div_zero 0
		.amdhsa_exception_fp_ieee_overflow 0
		.amdhsa_exception_fp_ieee_underflow 0
		.amdhsa_exception_fp_ieee_inexact 0
		.amdhsa_exception_int_div_zero 0
	.end_amdhsa_kernel
	.section	.text._ZN9rocsparseL41csrmvn_lrb_medium_rows_warp_reduce_kernelILj256ELj64Eiid21rocsparse_complex_numIdES2_S2_EEvbT1_lPT2_S5_jNS_24const_host_device_scalarIT6_EEPKS3_PKS4_PKT3_PKT4_S8_PT5_21rocsparse_index_base_b,"axG",@progbits,_ZN9rocsparseL41csrmvn_lrb_medium_rows_warp_reduce_kernelILj256ELj64Eiid21rocsparse_complex_numIdES2_S2_EEvbT1_lPT2_S5_jNS_24const_host_device_scalarIT6_EEPKS3_PKS4_PKT3_PKT4_S8_PT5_21rocsparse_index_base_b,comdat
.Lfunc_end191:
	.size	_ZN9rocsparseL41csrmvn_lrb_medium_rows_warp_reduce_kernelILj256ELj64Eiid21rocsparse_complex_numIdES2_S2_EEvbT1_lPT2_S5_jNS_24const_host_device_scalarIT6_EEPKS3_PKS4_PKT3_PKT4_S8_PT5_21rocsparse_index_base_b, .Lfunc_end191-_ZN9rocsparseL41csrmvn_lrb_medium_rows_warp_reduce_kernelILj256ELj64Eiid21rocsparse_complex_numIdES2_S2_EEvbT1_lPT2_S5_jNS_24const_host_device_scalarIT6_EEPKS3_PKS4_PKT3_PKT4_S8_PT5_21rocsparse_index_base_b
                                        ; -- End function
	.set _ZN9rocsparseL41csrmvn_lrb_medium_rows_warp_reduce_kernelILj256ELj64Eiid21rocsparse_complex_numIdES2_S2_EEvbT1_lPT2_S5_jNS_24const_host_device_scalarIT6_EEPKS3_PKS4_PKT3_PKT4_S8_PT5_21rocsparse_index_base_b.num_vgpr, 30
	.set _ZN9rocsparseL41csrmvn_lrb_medium_rows_warp_reduce_kernelILj256ELj64Eiid21rocsparse_complex_numIdES2_S2_EEvbT1_lPT2_S5_jNS_24const_host_device_scalarIT6_EEPKS3_PKS4_PKT3_PKT4_S8_PT5_21rocsparse_index_base_b.num_agpr, 0
	.set _ZN9rocsparseL41csrmvn_lrb_medium_rows_warp_reduce_kernelILj256ELj64Eiid21rocsparse_complex_numIdES2_S2_EEvbT1_lPT2_S5_jNS_24const_host_device_scalarIT6_EEPKS3_PKS4_PKT3_PKT4_S8_PT5_21rocsparse_index_base_b.numbered_sgpr, 11
	.set _ZN9rocsparseL41csrmvn_lrb_medium_rows_warp_reduce_kernelILj256ELj64Eiid21rocsparse_complex_numIdES2_S2_EEvbT1_lPT2_S5_jNS_24const_host_device_scalarIT6_EEPKS3_PKS4_PKT3_PKT4_S8_PT5_21rocsparse_index_base_b.num_named_barrier, 0
	.set _ZN9rocsparseL41csrmvn_lrb_medium_rows_warp_reduce_kernelILj256ELj64Eiid21rocsparse_complex_numIdES2_S2_EEvbT1_lPT2_S5_jNS_24const_host_device_scalarIT6_EEPKS3_PKS4_PKT3_PKT4_S8_PT5_21rocsparse_index_base_b.private_seg_size, 0
	.set _ZN9rocsparseL41csrmvn_lrb_medium_rows_warp_reduce_kernelILj256ELj64Eiid21rocsparse_complex_numIdES2_S2_EEvbT1_lPT2_S5_jNS_24const_host_device_scalarIT6_EEPKS3_PKS4_PKT3_PKT4_S8_PT5_21rocsparse_index_base_b.uses_vcc, 1
	.set _ZN9rocsparseL41csrmvn_lrb_medium_rows_warp_reduce_kernelILj256ELj64Eiid21rocsparse_complex_numIdES2_S2_EEvbT1_lPT2_S5_jNS_24const_host_device_scalarIT6_EEPKS3_PKS4_PKT3_PKT4_S8_PT5_21rocsparse_index_base_b.uses_flat_scratch, 0
	.set _ZN9rocsparseL41csrmvn_lrb_medium_rows_warp_reduce_kernelILj256ELj64Eiid21rocsparse_complex_numIdES2_S2_EEvbT1_lPT2_S5_jNS_24const_host_device_scalarIT6_EEPKS3_PKS4_PKT3_PKT4_S8_PT5_21rocsparse_index_base_b.has_dyn_sized_stack, 0
	.set _ZN9rocsparseL41csrmvn_lrb_medium_rows_warp_reduce_kernelILj256ELj64Eiid21rocsparse_complex_numIdES2_S2_EEvbT1_lPT2_S5_jNS_24const_host_device_scalarIT6_EEPKS3_PKS4_PKT3_PKT4_S8_PT5_21rocsparse_index_base_b.has_recursion, 0
	.set _ZN9rocsparseL41csrmvn_lrb_medium_rows_warp_reduce_kernelILj256ELj64Eiid21rocsparse_complex_numIdES2_S2_EEvbT1_lPT2_S5_jNS_24const_host_device_scalarIT6_EEPKS3_PKS4_PKT3_PKT4_S8_PT5_21rocsparse_index_base_b.has_indirect_call, 0
	.section	.AMDGPU.csdata,"",@progbits
; Kernel info:
; codeLenInByte = 1152
; TotalNumSgprs: 13
; NumVgprs: 30
; ScratchSize: 0
; MemoryBound: 0
; FloatMode: 240
; IeeeMode: 1
; LDSByteSize: 0 bytes/workgroup (compile time only)
; SGPRBlocks: 0
; VGPRBlocks: 1
; NumSGPRsForWavesPerEU: 13
; NumVGPRsForWavesPerEU: 30
; NamedBarCnt: 0
; Occupancy: 16
; WaveLimiterHint : 1
; COMPUTE_PGM_RSRC2:SCRATCH_EN: 0
; COMPUTE_PGM_RSRC2:USER_SGPR: 2
; COMPUTE_PGM_RSRC2:TRAP_HANDLER: 0
; COMPUTE_PGM_RSRC2:TGID_X_EN: 1
; COMPUTE_PGM_RSRC2:TGID_Y_EN: 0
; COMPUTE_PGM_RSRC2:TGID_Z_EN: 0
; COMPUTE_PGM_RSRC2:TIDIG_COMP_CNT: 0
	.section	.text._ZN9rocsparseL29csrmvn_lrb_medium_rows_kernelILj256Eiid21rocsparse_complex_numIdES2_S2_EEvbT0_PT1_S5_jNS_24const_host_device_scalarIT5_EEPKS3_PKS4_PKT2_PKT3_S8_PT4_21rocsparse_index_base_b,"axG",@progbits,_ZN9rocsparseL29csrmvn_lrb_medium_rows_kernelILj256Eiid21rocsparse_complex_numIdES2_S2_EEvbT0_PT1_S5_jNS_24const_host_device_scalarIT5_EEPKS3_PKS4_PKT2_PKT3_S8_PT4_21rocsparse_index_base_b,comdat
	.globl	_ZN9rocsparseL29csrmvn_lrb_medium_rows_kernelILj256Eiid21rocsparse_complex_numIdES2_S2_EEvbT0_PT1_S5_jNS_24const_host_device_scalarIT5_EEPKS3_PKS4_PKT2_PKT3_S8_PT4_21rocsparse_index_base_b ; -- Begin function _ZN9rocsparseL29csrmvn_lrb_medium_rows_kernelILj256Eiid21rocsparse_complex_numIdES2_S2_EEvbT0_PT1_S5_jNS_24const_host_device_scalarIT5_EEPKS3_PKS4_PKT2_PKT3_S8_PT4_21rocsparse_index_base_b
	.p2align	8
	.type	_ZN9rocsparseL29csrmvn_lrb_medium_rows_kernelILj256Eiid21rocsparse_complex_numIdES2_S2_EEvbT0_PT1_S5_jNS_24const_host_device_scalarIT5_EEPKS3_PKS4_PKT2_PKT3_S8_PT4_21rocsparse_index_base_b,@function
_ZN9rocsparseL29csrmvn_lrb_medium_rows_kernelILj256Eiid21rocsparse_complex_numIdES2_S2_EEvbT0_PT1_S5_jNS_24const_host_device_scalarIT5_EEPKS3_PKS4_PKT2_PKT3_S8_PT4_21rocsparse_index_base_b: ; @_ZN9rocsparseL29csrmvn_lrb_medium_rows_kernelILj256Eiid21rocsparse_complex_numIdES2_S2_EEvbT0_PT1_S5_jNS_24const_host_device_scalarIT5_EEPKS3_PKS4_PKT2_PKT3_S8_PT4_21rocsparse_index_base_b
; %bb.0:
	s_clause 0x1
	s_load_b64 s[8:9], s[0:1], 0x68
	s_load_b64 s[2:3], s[0:1], 0x20
	v_mov_b32_e32 v1, 0
	s_add_nc_u64 s[4:5], s[0:1], 32
	s_load_b64 s[6:7], s[0:1], 0x50
	s_wait_kmcnt 0x0
	s_bitcmp1_b32 s9, 0
	s_cselect_b32 s3, s5, s3
	s_cselect_b32 s2, s4, s2
	flat_load_b128 v[6:9], v1, s[2:3]
	s_wait_xcnt 0x0
	s_add_nc_u64 s[2:3], s[0:1], 0x50
	s_delay_alu instid0(SALU_CYCLE_1)
	s_cselect_b32 s3, s3, s7
	s_cselect_b32 s2, s2, s6
	flat_load_b128 v[2:5], v1, s[2:3]
	s_wait_loadcnt_dscnt 0x101
	v_cmp_eq_f64_e32 vcc_lo, 0, v[6:7]
	s_wait_xcnt 0x0
	v_cmp_eq_f64_e64 s2, 0, v[8:9]
	s_and_b32 s4, vcc_lo, s2
	s_mov_b32 s2, -1
	s_and_saveexec_b32 s3, s4
	s_cbranch_execz .LBB192_2
; %bb.1:
	s_wait_loadcnt_dscnt 0x0
	v_cmp_neq_f64_e32 vcc_lo, 1.0, v[2:3]
	v_cmp_neq_f64_e64 s2, 0, v[4:5]
	s_or_b32 s2, vcc_lo, s2
	s_delay_alu instid0(SALU_CYCLE_1)
	s_or_not1_b32 s2, s2, exec_lo
.LBB192_2:
	s_or_b32 exec_lo, exec_lo, s3
	s_and_saveexec_b32 s3, s2
	s_cbranch_execz .LBB192_27
; %bb.3:
	s_clause 0x1
	s_load_b128 s[4:7], s[0:1], 0x8
	s_load_b32 s2, s[0:1], 0x18
	s_bfe_u32 s3, ttmp6, 0x4000c
	v_subrev_nc_u32_e32 v1, s8, v0
	s_add_co_i32 s3, s3, 1
	v_mov_b64_e32 v[12:13], 0
	s_mul_i32 s3, ttmp9, s3
	v_mov_b64_e32 v[10:11], 0
	s_mov_b32 s13, 0
	s_mov_b32 s12, exec_lo
	s_wait_kmcnt 0x0
	s_load_b32 s2, s[6:7], s2 offset:0x0 scale_offset
	s_wait_xcnt 0x0
	s_and_b32 s6, ttmp6, 15
	s_getreg_b32 s7, hwreg(HW_REG_IB_STS2, 6, 4)
	s_add_co_i32 s6, s6, s3
	s_cmp_eq_u32 s7, 0
	s_cselect_b32 s3, ttmp9, s6
	s_wait_kmcnt 0x0
	s_add_co_i32 s2, s2, s3
	s_delay_alu instid0(SALU_CYCLE_1) | instskip(NEXT) | instid1(SALU_CYCLE_1)
	s_ashr_i32 s3, s2, 31
	s_lshl_b64 s[2:3], s[2:3], 2
	s_delay_alu instid0(SALU_CYCLE_1) | instskip(SKIP_4) | instid1(SALU_CYCLE_1)
	s_add_nc_u64 s[4:5], s[4:5], s[2:3]
	s_load_b32 s2, s[4:5], 0x0
	s_load_b64 s[6:7], s[0:1], 0x30
	s_wait_kmcnt 0x0
	s_ashr_i32 s3, s2, 31
	s_lshl_b64 s[4:5], s[2:3], 2
	s_delay_alu instid0(SALU_CYCLE_1)
	s_add_nc_u64 s[4:5], s[6:7], s[4:5]
	s_load_b64 s[6:7], s[4:5], 0x0
	s_wait_kmcnt 0x0
	v_add_nc_u32_e32 v1, s6, v1
	s_sub_co_i32 s9, s7, s8
	s_delay_alu instid0(VALU_DEP_1) | instid1(SALU_CYCLE_1)
	v_cmpx_gt_i32_e64 s9, v1
	s_cbranch_execz .LBB192_7
; %bb.4:
	v_mul_f64_e32 v[14:15], 0x80000000, v[8:9]
	v_mul_f64_e32 v[16:17], 0, v[6:7]
	s_clause 0x1
	s_load_b64 s[10:11], s[0:1], 0x48
	s_load_b128 s[4:7], s[0:1], 0x38
	v_mov_b64_e32 v[12:13], 0
	s_delay_alu instid0(VALU_DEP_1)
	v_mov_b64_e32 v[10:11], v[12:13]
.LBB192_5:                              ; =>This Inner Loop Header: Depth=1
	s_wait_kmcnt 0x0
	s_clause 0x1
	global_load_b32 v18, v1, s[4:5] scale_offset
	global_load_b64 v[22:23], v1, s[6:7] scale_offset
	s_wait_xcnt 0x0
	v_add_nc_u32_e32 v1, 0x100, v1
	s_delay_alu instid0(VALU_DEP_1)
	v_cmp_le_i32_e32 vcc_lo, s9, v1
	s_or_b32 s13, vcc_lo, s13
	s_wait_loadcnt 0x1
	v_subrev_nc_u32_e32 v18, s8, v18
	s_wait_loadcnt 0x0
	v_fma_f64 v[24:25], v[6:7], v[22:23], v[14:15]
	v_fma_f64 v[22:23], v[8:9], v[22:23], v[16:17]
	global_load_b128 v[18:21], v18, s[10:11] scale_offset
	s_wait_loadcnt 0x0
	v_fmac_f64_e32 v[10:11], v[24:25], v[18:19]
	v_fmac_f64_e32 v[12:13], v[22:23], v[18:19]
	s_delay_alu instid0(VALU_DEP_2) | instskip(NEXT) | instid1(VALU_DEP_2)
	v_fma_f64 v[10:11], -v[22:23], v[20:21], v[10:11]
	v_fmac_f64_e32 v[12:13], v[24:25], v[20:21]
	s_and_not1_b32 exec_lo, exec_lo, s13
	s_cbranch_execnz .LBB192_5
; %bb.6:
	s_or_b32 exec_lo, exec_lo, s13
.LBB192_7:
	s_delay_alu instid0(SALU_CYCLE_1)
	s_or_b32 exec_lo, exec_lo, s12
	s_load_b64 s[4:5], s[0:1], 0x60
	v_lshlrev_b32_e32 v1, 4, v0
	s_wait_xcnt 0x0
	s_mov_b32 s0, exec_lo
	ds_store_b128 v1, v[10:13]
	s_wait_loadcnt_dscnt 0x0
	s_barrier_signal -1
	s_barrier_wait -1
	v_cmpx_gt_u32_e32 0x80, v0
	s_cbranch_execz .LBB192_9
; %bb.8:
	ds_load_b128 v[6:9], v1 offset:2048
	ds_load_b128 v[10:13], v1
	s_wait_dscnt 0x0
	v_add_f64_e32 v[6:7], v[6:7], v[10:11]
	v_add_f64_e32 v[8:9], v[8:9], v[12:13]
	ds_store_b128 v1, v[6:9]
.LBB192_9:
	s_or_b32 exec_lo, exec_lo, s0
	s_delay_alu instid0(SALU_CYCLE_1)
	s_mov_b32 s0, exec_lo
	s_wait_dscnt 0x0
	s_barrier_signal -1
	s_barrier_wait -1
	v_cmpx_gt_u32_e32 64, v0
	s_cbranch_execz .LBB192_11
; %bb.10:
	ds_load_b128 v[6:9], v1 offset:1024
	ds_load_b128 v[10:13], v1
	s_wait_dscnt 0x0
	v_add_f64_e32 v[6:7], v[6:7], v[10:11]
	v_add_f64_e32 v[8:9], v[8:9], v[12:13]
	ds_store_b128 v1, v[6:9]
.LBB192_11:
	s_or_b32 exec_lo, exec_lo, s0
	s_delay_alu instid0(SALU_CYCLE_1)
	s_mov_b32 s0, exec_lo
	s_wait_dscnt 0x0
	;; [unrolled: 16-line block ×6, first 2 shown]
	s_barrier_signal -1
	s_barrier_wait -1
	v_cmpx_gt_u32_e32 2, v0
	s_cbranch_execz .LBB192_21
; %bb.20:
	ds_load_b128 v[6:9], v1
	ds_load_b128 v[10:13], v1 offset:32
	s_wait_dscnt 0x0
	v_add_f64_e32 v[6:7], v[10:11], v[6:7]
	v_add_f64_e32 v[8:9], v[12:13], v[8:9]
	ds_store_b128 v1, v[6:9]
.LBB192_21:
	s_or_b32 exec_lo, exec_lo, s0
	v_cmp_eq_u32_e32 vcc_lo, 0, v0
	s_wait_dscnt 0x0
	s_barrier_signal -1
	s_barrier_wait -1
	s_and_saveexec_b32 s0, vcc_lo
	s_cbranch_execz .LBB192_23
; %bb.22:
	v_mov_b32_e32 v0, 0
	ds_load_b128 v[6:9], v0
	ds_load_b128 v[10:13], v0 offset:16
	s_wait_dscnt 0x0
	v_add_f64_e32 v[6:7], v[10:11], v[6:7]
	v_add_f64_e32 v[8:9], v[12:13], v[8:9]
	ds_store_b128 v0, v[6:9]
.LBB192_23:
	s_or_b32 exec_lo, exec_lo, s0
	s_wait_dscnt 0x0
	s_barrier_signal -1
	s_barrier_wait -1
	s_and_b32 exec_lo, exec_lo, vcc_lo
	s_cbranch_execz .LBB192_27
; %bb.24:
	v_cmp_neq_f64_e32 vcc_lo, 0, v[2:3]
	v_cmp_neq_f64_e64 s0, 0, v[4:5]
	v_mov_b32_e32 v0, 0
	ds_load_b128 v[6:9], v0
	s_or_b32 s1, vcc_lo, s0
	s_delay_alu instid0(SALU_CYCLE_1)
	s_and_saveexec_b32 s0, s1
	s_cbranch_execz .LBB192_26
; %bb.25:
	s_lshl_b64 s[6:7], s[2:3], 4
	s_wait_kmcnt 0x0
	s_add_nc_u64 s[6:7], s[4:5], s[6:7]
	s_load_b128 s[8:11], s[6:7], 0x0
	s_wait_dscnt 0x0
	s_wait_kmcnt 0x0
	v_fmac_f64_e32 v[6:7], s[8:9], v[2:3]
	v_fmac_f64_e32 v[8:9], s[8:9], v[4:5]
	s_delay_alu instid0(VALU_DEP_2) | instskip(NEXT) | instid1(VALU_DEP_2)
	v_fma_f64 v[6:7], -v[4:5], s[10:11], v[6:7]
	v_fmac_f64_e32 v[8:9], s[10:11], v[2:3]
.LBB192_26:
	s_or_b32 exec_lo, exec_lo, s0
	s_lshl_b64 s[0:1], s[2:3], 4
	s_wait_kmcnt 0x0
	s_add_nc_u64 s[0:1], s[4:5], s[0:1]
	s_wait_dscnt 0x0
	global_store_b128 v0, v[6:9], s[0:1]
.LBB192_27:
	s_endpgm
	.section	.rodata,"a",@progbits
	.p2align	6, 0x0
	.amdhsa_kernel _ZN9rocsparseL29csrmvn_lrb_medium_rows_kernelILj256Eiid21rocsparse_complex_numIdES2_S2_EEvbT0_PT1_S5_jNS_24const_host_device_scalarIT5_EEPKS3_PKS4_PKT2_PKT3_S8_PT4_21rocsparse_index_base_b
		.amdhsa_group_segment_fixed_size 4096
		.amdhsa_private_segment_fixed_size 0
		.amdhsa_kernarg_size 112
		.amdhsa_user_sgpr_count 2
		.amdhsa_user_sgpr_dispatch_ptr 0
		.amdhsa_user_sgpr_queue_ptr 0
		.amdhsa_user_sgpr_kernarg_segment_ptr 1
		.amdhsa_user_sgpr_dispatch_id 0
		.amdhsa_user_sgpr_kernarg_preload_length 0
		.amdhsa_user_sgpr_kernarg_preload_offset 0
		.amdhsa_user_sgpr_private_segment_size 0
		.amdhsa_wavefront_size32 1
		.amdhsa_uses_dynamic_stack 0
		.amdhsa_enable_private_segment 0
		.amdhsa_system_sgpr_workgroup_id_x 1
		.amdhsa_system_sgpr_workgroup_id_y 0
		.amdhsa_system_sgpr_workgroup_id_z 0
		.amdhsa_system_sgpr_workgroup_info 0
		.amdhsa_system_vgpr_workitem_id 0
		.amdhsa_next_free_vgpr 26
		.amdhsa_next_free_sgpr 14
		.amdhsa_named_barrier_count 0
		.amdhsa_reserve_vcc 1
		.amdhsa_float_round_mode_32 0
		.amdhsa_float_round_mode_16_64 0
		.amdhsa_float_denorm_mode_32 3
		.amdhsa_float_denorm_mode_16_64 3
		.amdhsa_fp16_overflow 0
		.amdhsa_memory_ordered 1
		.amdhsa_forward_progress 1
		.amdhsa_inst_pref_size 10
		.amdhsa_round_robin_scheduling 0
		.amdhsa_exception_fp_ieee_invalid_op 0
		.amdhsa_exception_fp_denorm_src 0
		.amdhsa_exception_fp_ieee_div_zero 0
		.amdhsa_exception_fp_ieee_overflow 0
		.amdhsa_exception_fp_ieee_underflow 0
		.amdhsa_exception_fp_ieee_inexact 0
		.amdhsa_exception_int_div_zero 0
	.end_amdhsa_kernel
	.section	.text._ZN9rocsparseL29csrmvn_lrb_medium_rows_kernelILj256Eiid21rocsparse_complex_numIdES2_S2_EEvbT0_PT1_S5_jNS_24const_host_device_scalarIT5_EEPKS3_PKS4_PKT2_PKT3_S8_PT4_21rocsparse_index_base_b,"axG",@progbits,_ZN9rocsparseL29csrmvn_lrb_medium_rows_kernelILj256Eiid21rocsparse_complex_numIdES2_S2_EEvbT0_PT1_S5_jNS_24const_host_device_scalarIT5_EEPKS3_PKS4_PKT2_PKT3_S8_PT4_21rocsparse_index_base_b,comdat
.Lfunc_end192:
	.size	_ZN9rocsparseL29csrmvn_lrb_medium_rows_kernelILj256Eiid21rocsparse_complex_numIdES2_S2_EEvbT0_PT1_S5_jNS_24const_host_device_scalarIT5_EEPKS3_PKS4_PKT2_PKT3_S8_PT4_21rocsparse_index_base_b, .Lfunc_end192-_ZN9rocsparseL29csrmvn_lrb_medium_rows_kernelILj256Eiid21rocsparse_complex_numIdES2_S2_EEvbT0_PT1_S5_jNS_24const_host_device_scalarIT5_EEPKS3_PKS4_PKT2_PKT3_S8_PT4_21rocsparse_index_base_b
                                        ; -- End function
	.set _ZN9rocsparseL29csrmvn_lrb_medium_rows_kernelILj256Eiid21rocsparse_complex_numIdES2_S2_EEvbT0_PT1_S5_jNS_24const_host_device_scalarIT5_EEPKS3_PKS4_PKT2_PKT3_S8_PT4_21rocsparse_index_base_b.num_vgpr, 26
	.set _ZN9rocsparseL29csrmvn_lrb_medium_rows_kernelILj256Eiid21rocsparse_complex_numIdES2_S2_EEvbT0_PT1_S5_jNS_24const_host_device_scalarIT5_EEPKS3_PKS4_PKT2_PKT3_S8_PT4_21rocsparse_index_base_b.num_agpr, 0
	.set _ZN9rocsparseL29csrmvn_lrb_medium_rows_kernelILj256Eiid21rocsparse_complex_numIdES2_S2_EEvbT0_PT1_S5_jNS_24const_host_device_scalarIT5_EEPKS3_PKS4_PKT2_PKT3_S8_PT4_21rocsparse_index_base_b.numbered_sgpr, 14
	.set _ZN9rocsparseL29csrmvn_lrb_medium_rows_kernelILj256Eiid21rocsparse_complex_numIdES2_S2_EEvbT0_PT1_S5_jNS_24const_host_device_scalarIT5_EEPKS3_PKS4_PKT2_PKT3_S8_PT4_21rocsparse_index_base_b.num_named_barrier, 0
	.set _ZN9rocsparseL29csrmvn_lrb_medium_rows_kernelILj256Eiid21rocsparse_complex_numIdES2_S2_EEvbT0_PT1_S5_jNS_24const_host_device_scalarIT5_EEPKS3_PKS4_PKT2_PKT3_S8_PT4_21rocsparse_index_base_b.private_seg_size, 0
	.set _ZN9rocsparseL29csrmvn_lrb_medium_rows_kernelILj256Eiid21rocsparse_complex_numIdES2_S2_EEvbT0_PT1_S5_jNS_24const_host_device_scalarIT5_EEPKS3_PKS4_PKT2_PKT3_S8_PT4_21rocsparse_index_base_b.uses_vcc, 1
	.set _ZN9rocsparseL29csrmvn_lrb_medium_rows_kernelILj256Eiid21rocsparse_complex_numIdES2_S2_EEvbT0_PT1_S5_jNS_24const_host_device_scalarIT5_EEPKS3_PKS4_PKT2_PKT3_S8_PT4_21rocsparse_index_base_b.uses_flat_scratch, 0
	.set _ZN9rocsparseL29csrmvn_lrb_medium_rows_kernelILj256Eiid21rocsparse_complex_numIdES2_S2_EEvbT0_PT1_S5_jNS_24const_host_device_scalarIT5_EEPKS3_PKS4_PKT2_PKT3_S8_PT4_21rocsparse_index_base_b.has_dyn_sized_stack, 0
	.set _ZN9rocsparseL29csrmvn_lrb_medium_rows_kernelILj256Eiid21rocsparse_complex_numIdES2_S2_EEvbT0_PT1_S5_jNS_24const_host_device_scalarIT5_EEPKS3_PKS4_PKT2_PKT3_S8_PT4_21rocsparse_index_base_b.has_recursion, 0
	.set _ZN9rocsparseL29csrmvn_lrb_medium_rows_kernelILj256Eiid21rocsparse_complex_numIdES2_S2_EEvbT0_PT1_S5_jNS_24const_host_device_scalarIT5_EEPKS3_PKS4_PKT2_PKT3_S8_PT4_21rocsparse_index_base_b.has_indirect_call, 0
	.section	.AMDGPU.csdata,"",@progbits
; Kernel info:
; codeLenInByte = 1272
; TotalNumSgprs: 16
; NumVgprs: 26
; ScratchSize: 0
; MemoryBound: 0
; FloatMode: 240
; IeeeMode: 1
; LDSByteSize: 4096 bytes/workgroup (compile time only)
; SGPRBlocks: 0
; VGPRBlocks: 1
; NumSGPRsForWavesPerEU: 16
; NumVGPRsForWavesPerEU: 26
; NamedBarCnt: 0
; Occupancy: 16
; WaveLimiterHint : 1
; COMPUTE_PGM_RSRC2:SCRATCH_EN: 0
; COMPUTE_PGM_RSRC2:USER_SGPR: 2
; COMPUTE_PGM_RSRC2:TRAP_HANDLER: 0
; COMPUTE_PGM_RSRC2:TGID_X_EN: 1
; COMPUTE_PGM_RSRC2:TGID_Y_EN: 0
; COMPUTE_PGM_RSRC2:TGID_Z_EN: 0
; COMPUTE_PGM_RSRC2:TIDIG_COMP_CNT: 0
	.section	.text._ZN9rocsparseL27csrmvn_lrb_long_rows_kernelIiid21rocsparse_complex_numIdES2_S2_EEvbT_PjPT0_S6_jNS_24const_host_device_scalarIT4_EEPKS3_PKS5_PKT1_PKT2_S9_PT3_21rocsparse_index_base_b,"axG",@progbits,_ZN9rocsparseL27csrmvn_lrb_long_rows_kernelIiid21rocsparse_complex_numIdES2_S2_EEvbT_PjPT0_S6_jNS_24const_host_device_scalarIT4_EEPKS3_PKS5_PKT1_PKT2_S9_PT3_21rocsparse_index_base_b,comdat
	.globl	_ZN9rocsparseL27csrmvn_lrb_long_rows_kernelIiid21rocsparse_complex_numIdES2_S2_EEvbT_PjPT0_S6_jNS_24const_host_device_scalarIT4_EEPKS3_PKS5_PKT1_PKT2_S9_PT3_21rocsparse_index_base_b ; -- Begin function _ZN9rocsparseL27csrmvn_lrb_long_rows_kernelIiid21rocsparse_complex_numIdES2_S2_EEvbT_PjPT0_S6_jNS_24const_host_device_scalarIT4_EEPKS3_PKS5_PKT1_PKT2_S9_PT3_21rocsparse_index_base_b
	.p2align	8
	.type	_ZN9rocsparseL27csrmvn_lrb_long_rows_kernelIiid21rocsparse_complex_numIdES2_S2_EEvbT_PjPT0_S6_jNS_24const_host_device_scalarIT4_EEPKS3_PKS5_PKT1_PKT2_S9_PT3_21rocsparse_index_base_b,@function
_ZN9rocsparseL27csrmvn_lrb_long_rows_kernelIiid21rocsparse_complex_numIdES2_S2_EEvbT_PjPT0_S6_jNS_24const_host_device_scalarIT4_EEPKS3_PKS5_PKT1_PKT2_S9_PT3_21rocsparse_index_base_b: ; @_ZN9rocsparseL27csrmvn_lrb_long_rows_kernelIiid21rocsparse_complex_numIdES2_S2_EEvbT_PjPT0_S6_jNS_24const_host_device_scalarIT4_EEPKS3_PKS5_PKT1_PKT2_S9_PT3_21rocsparse_index_base_b
; %bb.0:
	s_clause 0x1
	s_load_b64 s[16:17], s[0:1], 0x70
	s_load_b64 s[2:3], s[0:1], 0x28
	v_mov_b32_e32 v1, 0
	s_add_nc_u64 s[4:5], s[0:1], 40
	s_load_b64 s[6:7], s[0:1], 0x58
	s_wait_kmcnt 0x0
	s_bitcmp1_b32 s17, 0
	s_cselect_b32 s3, s5, s3
	s_cselect_b32 s2, s4, s2
	flat_load_b128 v[2:5], v1, s[2:3]
	s_wait_xcnt 0x0
	s_add_nc_u64 s[2:3], s[0:1], 0x58
	s_delay_alu instid0(SALU_CYCLE_1)
	s_cselect_b32 s3, s3, s7
	s_cselect_b32 s2, s2, s6
	flat_load_b128 v[6:9], v1, s[2:3]
	s_wait_loadcnt_dscnt 0x101
	v_cmp_eq_f64_e32 vcc_lo, 0, v[2:3]
	s_wait_xcnt 0x0
	v_cmp_eq_f64_e64 s2, 0, v[4:5]
	s_and_b32 s4, vcc_lo, s2
	s_mov_b32 s2, -1
	s_and_saveexec_b32 s3, s4
	s_cbranch_execz .LBB193_2
; %bb.1:
	s_wait_loadcnt_dscnt 0x0
	v_cmp_neq_f64_e32 vcc_lo, 1.0, v[6:7]
	v_cmp_neq_f64_e64 s2, 0, v[8:9]
	s_or_b32 s2, vcc_lo, s2
	s_delay_alu instid0(SALU_CYCLE_1)
	s_or_not1_b32 s2, s2, exec_lo
.LBB193_2:
	s_or_b32 exec_lo, exec_lo, s3
	s_and_saveexec_b32 s3, s2
	s_cbranch_execz .LBB193_38
; %bb.3:
	s_load_b96 s[4:6], s[0:1], 0x18
	s_bfe_u32 s8, ttmp6, 0x4000c
	s_and_b32 s7, ttmp6, 15
	s_add_co_i32 s8, s8, 1
	s_getreg_b32 s9, hwreg(HW_REG_IB_STS2, 6, 4)
	s_mul_i32 s8, ttmp9, s8
	v_mov_b64_e32 v[10:11], 0
	s_add_co_i32 s7, s7, s8
	v_mov_b64_e32 v[12:13], 0
	s_wait_kmcnt 0x0
	s_lshl_b32 s2, -1, s6
	s_load_b32 s10, s[4:5], s6 offset:0x0 scale_offset
	s_not_b32 s2, s2
	s_delay_alu instid0(SALU_CYCLE_1) | instskip(NEXT) | instid1(SALU_CYCLE_1)
	s_mul_hi_u32 s2, s2, 0x2aaaaaab
	s_lshr_b32 s2, s2, 7
	s_delay_alu instid0(SALU_CYCLE_1) | instskip(SKIP_2) | instid1(SALU_CYCLE_3)
	s_add_co_i32 s20, s2, 1
	s_not_b32 s2, s2
	s_cvt_f32_u32 s3, s20
	v_rcp_iflag_f32_e32 v1, s3
	v_nop
	s_delay_alu instid0(TRANS32_DEP_1) | instskip(SKIP_1) | instid1(SALU_CYCLE_3)
	v_readfirstlane_b32 s3, v1
	s_mul_f32 s3, s3, 0x4f7ffffe
	s_cvt_u32_f32 s3, s3
	s_delay_alu instid0(SALU_CYCLE_3) | instskip(NEXT) | instid1(SALU_CYCLE_1)
	s_mul_i32 s2, s2, s3
	s_mul_hi_u32 s2, s3, s2
	s_delay_alu instid0(SALU_CYCLE_1)
	s_add_co_i32 s3, s3, s2
	s_cmp_eq_u32 s9, 0
	s_cselect_b32 s8, ttmp9, s7
	s_wait_xcnt 0x0
	s_load_b128 s[4:7], s[0:1], 0x8
	s_mul_hi_u32 s2, s8, s3
	s_delay_alu instid0(SALU_CYCLE_1) | instskip(SKIP_2) | instid1(SALU_CYCLE_1)
	s_mul_i32 s3, s2, s20
	s_add_co_i32 s9, s2, 1
	s_sub_co_i32 s3, s8, s3
	s_sub_co_i32 s11, s3, s20
	s_cmp_ge_u32 s3, s20
	s_cselect_b32 s2, s9, s2
	s_cselect_b32 s3, s11, s3
	s_add_co_i32 s9, s2, 1
	s_cmp_ge_u32 s3, s20
	s_cselect_b32 s21, s9, s2
	s_ashr_i32 s9, s8, 31
	s_wait_kmcnt 0x0
	s_add_co_i32 s2, s21, s10
	s_lshl_b64 s[14:15], s[8:9], 2
	s_ashr_i32 s3, s2, 31
	s_delay_alu instid0(SALU_CYCLE_1) | instskip(NEXT) | instid1(SALU_CYCLE_1)
	s_lshl_b64 s[2:3], s[2:3], 2
	s_add_nc_u64 s[10:11], s[6:7], s[2:3]
	s_load_b32 s2, s[10:11], 0x0
	s_clause 0x1
	s_load_b64 s[12:13], s[0:1], 0x38
	s_load_b64 s[6:7], s[0:1], 0x68
	s_wait_kmcnt 0x0
	s_ashr_i32 s3, s2, 31
	s_delay_alu instid0(SALU_CYCLE_1) | instskip(NEXT) | instid1(SALU_CYCLE_1)
	s_lshl_b64 s[10:11], s[2:3], 2
	s_add_nc_u64 s[10:11], s[12:13], s[10:11]
	s_add_nc_u64 s[12:13], s[4:5], s[14:15]
	s_load_b64 s[18:19], s[10:11], 0x0
	s_load_b32 s17, s[12:13], 0x0
	s_mul_i32 s14, s21, s20
	s_mov_b32 s20, exec_lo
	s_sub_co_i32 s15, s8, s14
	s_delay_alu instid0(SALU_CYCLE_1) | instskip(NEXT) | instid1(VALU_DEP_1)
	v_or_b32_e32 v1, s15, v0
	v_cmpx_eq_u32_e32 0, v1
	s_cbranch_execz .LBB193_7
; %bb.4:
	s_wait_loadcnt_dscnt 0x0
	v_add_f64_e32 v[6:7], -1.0, v[6:7]
	s_lshl_b64 s[8:9], s[2:3], 4
	s_mov_b32 s21, exec_lo
	s_add_nc_u64 s[22:23], s[6:7], s[8:9]
	v_mbcnt_lo_u32_b32 v1, s21, 0
	s_wait_xcnt 0x0
	s_load_b128 s[8:11], s[22:23], 0x0
	global_wb scope:SCOPE_DEV
	s_wait_storecnt 0x0
	global_inv scope:SCOPE_DEV
	s_wait_kmcnt 0x0
	v_mul_f64_e64 v[10:11], s[10:11], -v[8:9]
	v_mul_f64_e32 v[12:13], s[10:11], v[6:7]
	s_mov_b32 s10, exec_lo
	v_cmpx_eq_u32_e32 0, v1
	s_cbranch_execz .LBB193_6
; %bb.5:
	s_bcnt1_i32_b32 s11, s21
	s_delay_alu instid0(SALU_CYCLE_1) | instskip(NEXT) | instid1(SALU_CYCLE_1)
	s_and_b32 s11, s11, 1
	v_dual_mov_b32 v1, s14 :: v_dual_mov_b32 v14, s11
	global_atomic_xor_b32 v1, v14, s[4:5] scale_offset scope:SCOPE_DEV
.LBB193_6:
	s_wait_xcnt 0x0
	s_or_b32 exec_lo, exec_lo, s10
	s_delay_alu instid0(VALU_DEP_3) | instskip(NEXT) | instid1(VALU_DEP_3)
	v_fmac_f64_e32 v[10:11], s[8:9], v[6:7]
	v_fmac_f64_e32 v[12:13], s[8:9], v[8:9]
.LBB193_7:
	s_or_b32 exec_lo, exec_lo, s20
	s_mul_i32 s8, s15, 0x300
	s_wait_kmcnt 0x0
	s_sub_co_i32 s9, s19, s16
	s_sub_co_i32 s8, s8, s16
	s_mov_b32 s20, exec_lo
	s_add_co_i32 s8, s8, s18
	s_delay_alu instid0(SALU_CYCLE_1) | instskip(SKIP_1) | instid1(SALU_CYCLE_1)
	v_add_nc_u32_e32 v1, s8, v0
	s_addk_co_i32 s8, 0x300
	s_min_i32 s21, s8, s9
	s_delay_alu instid0(VALU_DEP_1) | instid1(SALU_CYCLE_1)
	v_cmpx_gt_i32_e64 s21, v1
	s_cbranch_execz .LBB193_11
; %bb.8:
	s_wait_loadcnt_dscnt 0x0
	v_mul_f64_e32 v[6:7], 0x80000000, v[4:5]
	v_mul_f64_e32 v[8:9], 0, v[2:3]
	s_clause 0x1
	s_load_b64 s[18:19], s[0:1], 0x50
	s_load_b128 s[8:11], s[0:1], 0x40
	s_wait_xcnt 0x0
	s_mov_b32 s0, 0
.LBB193_9:                              ; =>This Inner Loop Header: Depth=1
	s_wait_kmcnt 0x0
	s_clause 0x1
	global_load_b32 v14, v1, s[8:9] scale_offset
	global_load_b64 v[18:19], v1, s[10:11] scale_offset
	s_wait_xcnt 0x0
	v_add_nc_u32_e32 v1, 0x100, v1
	s_delay_alu instid0(VALU_DEP_1)
	v_cmp_le_i32_e32 vcc_lo, s21, v1
	s_or_b32 s0, vcc_lo, s0
	s_wait_loadcnt 0x1
	v_subrev_nc_u32_e32 v14, s16, v14
	s_wait_loadcnt 0x0
	v_fma_f64 v[20:21], v[2:3], v[18:19], v[6:7]
	v_fma_f64 v[18:19], v[4:5], v[18:19], v[8:9]
	global_load_b128 v[14:17], v14, s[18:19] scale_offset
	s_wait_loadcnt 0x0
	v_fmac_f64_e32 v[10:11], v[20:21], v[14:15]
	v_fmac_f64_e32 v[12:13], v[18:19], v[14:15]
	s_delay_alu instid0(VALU_DEP_2) | instskip(NEXT) | instid1(VALU_DEP_2)
	v_fma_f64 v[10:11], -v[18:19], v[16:17], v[10:11]
	v_fmac_f64_e32 v[12:13], v[20:21], v[16:17]
	s_wait_xcnt 0x0
	s_and_not1_b32 exec_lo, exec_lo, s0
	s_cbranch_execnz .LBB193_9
; %bb.10:
	s_or_b32 exec_lo, exec_lo, s0
.LBB193_11:
	s_delay_alu instid0(SALU_CYCLE_1)
	s_or_b32 exec_lo, exec_lo, s20
	v_lshlrev_b32_e32 v1, 4, v0
	s_mov_b32 s0, exec_lo
	ds_store_b128 v1, v[10:13]
	s_wait_storecnt 0x0
	s_wait_loadcnt_dscnt 0x0
	s_barrier_signal -1
	s_barrier_wait -1
	v_cmpx_gt_u32_e32 0x80, v0
	s_cbranch_execz .LBB193_13
; %bb.12:
	ds_load_b128 v[2:5], v1 offset:2048
	ds_load_b128 v[6:9], v1
	s_wait_dscnt 0x0
	v_add_f64_e32 v[2:3], v[2:3], v[6:7]
	v_add_f64_e32 v[4:5], v[4:5], v[8:9]
	ds_store_b128 v1, v[2:5]
.LBB193_13:
	s_or_b32 exec_lo, exec_lo, s0
	s_delay_alu instid0(SALU_CYCLE_1)
	s_mov_b32 s0, exec_lo
	s_wait_dscnt 0x0
	s_barrier_signal -1
	s_barrier_wait -1
	v_cmpx_gt_u32_e32 64, v0
	s_cbranch_execz .LBB193_15
; %bb.14:
	ds_load_b128 v[2:5], v1 offset:1024
	ds_load_b128 v[6:9], v1
	s_wait_dscnt 0x0
	v_add_f64_e32 v[2:3], v[2:3], v[6:7]
	v_add_f64_e32 v[4:5], v[4:5], v[8:9]
	ds_store_b128 v1, v[2:5]
.LBB193_15:
	s_or_b32 exec_lo, exec_lo, s0
	s_delay_alu instid0(SALU_CYCLE_1)
	s_mov_b32 s0, exec_lo
	s_wait_dscnt 0x0
	;; [unrolled: 16-line block ×6, first 2 shown]
	s_barrier_signal -1
	s_barrier_wait -1
	v_cmpx_gt_u32_e32 2, v0
	s_cbranch_execz .LBB193_25
; %bb.24:
	ds_load_b128 v[2:5], v1
	ds_load_b128 v[6:9], v1 offset:32
	s_wait_dscnt 0x0
	v_add_f64_e32 v[2:3], v[6:7], v[2:3]
	v_add_f64_e32 v[4:5], v[8:9], v[4:5]
	ds_store_b128 v1, v[2:5]
.LBB193_25:
	s_or_b32 exec_lo, exec_lo, s0
	v_cmp_eq_u32_e32 vcc_lo, 0, v0
	s_wait_dscnt 0x0
	s_barrier_signal -1
	s_barrier_wait -1
	s_and_saveexec_b32 s0, vcc_lo
	s_cbranch_execz .LBB193_27
; %bb.26:
	v_mov_b32_e32 v8, 0
	ds_load_b128 v[0:3], v8
	ds_load_b128 v[4:7], v8 offset:16
	s_wait_dscnt 0x0
	v_add_f64_e32 v[0:1], v[4:5], v[0:1]
	v_add_f64_e32 v[2:3], v[6:7], v[2:3]
	ds_store_b128 v8, v[0:3]
.LBB193_27:
	s_or_b32 exec_lo, exec_lo, s0
	s_wait_dscnt 0x0
	s_barrier_signal -1
	s_barrier_wait -1
	s_and_b32 exec_lo, exec_lo, vcc_lo
	s_cbranch_execz .LBB193_38
; %bb.28:
	s_cmp_eq_u32 s15, 0
	s_cbranch_scc1 .LBB193_34
; %bb.29:
	s_ashr_i32 s15, s14, 31
	v_mov_b32_e32 v0, 0
	s_lshl_b64 s[0:1], s[14:15], 2
	s_delay_alu instid0(SALU_CYCLE_1)
	s_add_nc_u64 s[0:1], s[4:5], s[0:1]
	s_branch .LBB193_31
.LBB193_30:                             ;   in Loop: Header=BB193_31 Depth=1
	s_wait_xcnt 0x0
	s_or_b32 exec_lo, exec_lo, s4
	s_wait_loadcnt 0x0
	v_readfirstlane_b32 s4, v1
	s_cmp_eq_u32 s4, s17
	s_cbranch_scc0 .LBB193_33
.LBB193_31:                             ; =>This Inner Loop Header: Depth=1
	v_mbcnt_lo_u32_b32 v1, exec_lo, 0
	s_delay_alu instid0(VALU_DEP_1)
	v_cmp_eq_u32_e32 vcc_lo, 0, v1
                                        ; implicit-def: $vgpr1
	s_and_saveexec_b32 s4, vcc_lo
	s_cbranch_execz .LBB193_30
; %bb.32:                               ;   in Loop: Header=BB193_31 Depth=1
	global_load_b32 v1, v0, s[0:1] scope:SCOPE_DEV
	s_branch .LBB193_30
.LBB193_33:
	v_mov_b32_e32 v0, 0
	global_load_u16 v1, v0, s[12:13]
	s_wait_loadcnt 0x0
	v_xor_b32_e32 v1, 1, v1
	global_store_b16 v0, v1, s[12:13]
.LBB193_34:
	v_mov_b32_e32 v4, 0
	s_mov_b32 s4, exec_lo
	s_lshl_b64 s[0:1], s[2:3], 4
	v_mbcnt_lo_u32_b32 v5, s4, 0
	s_add_nc_u64 s[0:1], s[6:7], s[0:1]
	s_wait_xcnt 0x0
	ds_load_b128 v[0:3], v4
	s_mov_b32 s2, exec_lo
	v_cmpx_eq_u32_e32 0, v5
	s_cbranch_execz .LBB193_36
; %bb.35:
	s_bcnt1_i32_b32 s3, s4
	s_delay_alu instid0(SALU_CYCLE_1) | instskip(SKIP_1) | instid1(VALU_DEP_1)
	v_cvt_f64_u32_e32 v[6:7], s3
	s_wait_dscnt 0x0
	v_mul_f64_e32 v[0:1], v[0:1], v[6:7]
	global_atomic_add_f64 v4, v[0:1], s[0:1] scope:SCOPE_DEV
.LBB193_36:
	s_wait_xcnt 0x0
	s_or_b32 exec_lo, exec_lo, s2
	s_delay_alu instid0(SALU_CYCLE_1) | instskip(SKIP_2) | instid1(VALU_DEP_1)
	s_mov_b32 s2, exec_lo
	s_wait_dscnt 0x0
	v_mbcnt_lo_u32_b32 v0, s2, 0
	v_cmp_eq_u32_e32 vcc_lo, 0, v0
	s_and_b32 s3, exec_lo, vcc_lo
	s_delay_alu instid0(SALU_CYCLE_1)
	s_mov_b32 exec_lo, s3
	s_cbranch_execz .LBB193_38
; %bb.37:
	s_bcnt1_i32_b32 s2, s2
	s_delay_alu instid0(SALU_CYCLE_1) | instskip(NEXT) | instid1(VALU_DEP_1)
	v_cvt_f64_u32_e32 v[0:1], s2
	v_dual_mul_f64 v[0:1], v[2:3], v[0:1] :: v_dual_mov_b32 v2, 0
	global_atomic_add_f64 v2, v[0:1], s[0:1] offset:8 scope:SCOPE_DEV
.LBB193_38:
	s_endpgm
	.section	.rodata,"a",@progbits
	.p2align	6, 0x0
	.amdhsa_kernel _ZN9rocsparseL27csrmvn_lrb_long_rows_kernelIiid21rocsparse_complex_numIdES2_S2_EEvbT_PjPT0_S6_jNS_24const_host_device_scalarIT4_EEPKS3_PKS5_PKT1_PKT2_S9_PT3_21rocsparse_index_base_b
		.amdhsa_group_segment_fixed_size 4096
		.amdhsa_private_segment_fixed_size 0
		.amdhsa_kernarg_size 120
		.amdhsa_user_sgpr_count 2
		.amdhsa_user_sgpr_dispatch_ptr 0
		.amdhsa_user_sgpr_queue_ptr 0
		.amdhsa_user_sgpr_kernarg_segment_ptr 1
		.amdhsa_user_sgpr_dispatch_id 0
		.amdhsa_user_sgpr_kernarg_preload_length 0
		.amdhsa_user_sgpr_kernarg_preload_offset 0
		.amdhsa_user_sgpr_private_segment_size 0
		.amdhsa_wavefront_size32 1
		.amdhsa_uses_dynamic_stack 0
		.amdhsa_enable_private_segment 0
		.amdhsa_system_sgpr_workgroup_id_x 1
		.amdhsa_system_sgpr_workgroup_id_y 0
		.amdhsa_system_sgpr_workgroup_id_z 0
		.amdhsa_system_sgpr_workgroup_info 0
		.amdhsa_system_vgpr_workitem_id 0
		.amdhsa_next_free_vgpr 22
		.amdhsa_next_free_sgpr 24
		.amdhsa_named_barrier_count 0
		.amdhsa_reserve_vcc 1
		.amdhsa_float_round_mode_32 0
		.amdhsa_float_round_mode_16_64 0
		.amdhsa_float_denorm_mode_32 3
		.amdhsa_float_denorm_mode_16_64 3
		.amdhsa_fp16_overflow 0
		.amdhsa_memory_ordered 1
		.amdhsa_forward_progress 1
		.amdhsa_inst_pref_size 15
		.amdhsa_round_robin_scheduling 0
		.amdhsa_exception_fp_ieee_invalid_op 0
		.amdhsa_exception_fp_denorm_src 0
		.amdhsa_exception_fp_ieee_div_zero 0
		.amdhsa_exception_fp_ieee_overflow 0
		.amdhsa_exception_fp_ieee_underflow 0
		.amdhsa_exception_fp_ieee_inexact 0
		.amdhsa_exception_int_div_zero 0
	.end_amdhsa_kernel
	.section	.text._ZN9rocsparseL27csrmvn_lrb_long_rows_kernelIiid21rocsparse_complex_numIdES2_S2_EEvbT_PjPT0_S6_jNS_24const_host_device_scalarIT4_EEPKS3_PKS5_PKT1_PKT2_S9_PT3_21rocsparse_index_base_b,"axG",@progbits,_ZN9rocsparseL27csrmvn_lrb_long_rows_kernelIiid21rocsparse_complex_numIdES2_S2_EEvbT_PjPT0_S6_jNS_24const_host_device_scalarIT4_EEPKS3_PKS5_PKT1_PKT2_S9_PT3_21rocsparse_index_base_b,comdat
.Lfunc_end193:
	.size	_ZN9rocsparseL27csrmvn_lrb_long_rows_kernelIiid21rocsparse_complex_numIdES2_S2_EEvbT_PjPT0_S6_jNS_24const_host_device_scalarIT4_EEPKS3_PKS5_PKT1_PKT2_S9_PT3_21rocsparse_index_base_b, .Lfunc_end193-_ZN9rocsparseL27csrmvn_lrb_long_rows_kernelIiid21rocsparse_complex_numIdES2_S2_EEvbT_PjPT0_S6_jNS_24const_host_device_scalarIT4_EEPKS3_PKS5_PKT1_PKT2_S9_PT3_21rocsparse_index_base_b
                                        ; -- End function
	.set _ZN9rocsparseL27csrmvn_lrb_long_rows_kernelIiid21rocsparse_complex_numIdES2_S2_EEvbT_PjPT0_S6_jNS_24const_host_device_scalarIT4_EEPKS3_PKS5_PKT1_PKT2_S9_PT3_21rocsparse_index_base_b.num_vgpr, 22
	.set _ZN9rocsparseL27csrmvn_lrb_long_rows_kernelIiid21rocsparse_complex_numIdES2_S2_EEvbT_PjPT0_S6_jNS_24const_host_device_scalarIT4_EEPKS3_PKS5_PKT1_PKT2_S9_PT3_21rocsparse_index_base_b.num_agpr, 0
	.set _ZN9rocsparseL27csrmvn_lrb_long_rows_kernelIiid21rocsparse_complex_numIdES2_S2_EEvbT_PjPT0_S6_jNS_24const_host_device_scalarIT4_EEPKS3_PKS5_PKT1_PKT2_S9_PT3_21rocsparse_index_base_b.numbered_sgpr, 24
	.set _ZN9rocsparseL27csrmvn_lrb_long_rows_kernelIiid21rocsparse_complex_numIdES2_S2_EEvbT_PjPT0_S6_jNS_24const_host_device_scalarIT4_EEPKS3_PKS5_PKT1_PKT2_S9_PT3_21rocsparse_index_base_b.num_named_barrier, 0
	.set _ZN9rocsparseL27csrmvn_lrb_long_rows_kernelIiid21rocsparse_complex_numIdES2_S2_EEvbT_PjPT0_S6_jNS_24const_host_device_scalarIT4_EEPKS3_PKS5_PKT1_PKT2_S9_PT3_21rocsparse_index_base_b.private_seg_size, 0
	.set _ZN9rocsparseL27csrmvn_lrb_long_rows_kernelIiid21rocsparse_complex_numIdES2_S2_EEvbT_PjPT0_S6_jNS_24const_host_device_scalarIT4_EEPKS3_PKS5_PKT1_PKT2_S9_PT3_21rocsparse_index_base_b.uses_vcc, 1
	.set _ZN9rocsparseL27csrmvn_lrb_long_rows_kernelIiid21rocsparse_complex_numIdES2_S2_EEvbT_PjPT0_S6_jNS_24const_host_device_scalarIT4_EEPKS3_PKS5_PKT1_PKT2_S9_PT3_21rocsparse_index_base_b.uses_flat_scratch, 0
	.set _ZN9rocsparseL27csrmvn_lrb_long_rows_kernelIiid21rocsparse_complex_numIdES2_S2_EEvbT_PjPT0_S6_jNS_24const_host_device_scalarIT4_EEPKS3_PKS5_PKT1_PKT2_S9_PT3_21rocsparse_index_base_b.has_dyn_sized_stack, 0
	.set _ZN9rocsparseL27csrmvn_lrb_long_rows_kernelIiid21rocsparse_complex_numIdES2_S2_EEvbT_PjPT0_S6_jNS_24const_host_device_scalarIT4_EEPKS3_PKS5_PKT1_PKT2_S9_PT3_21rocsparse_index_base_b.has_recursion, 0
	.set _ZN9rocsparseL27csrmvn_lrb_long_rows_kernelIiid21rocsparse_complex_numIdES2_S2_EEvbT_PjPT0_S6_jNS_24const_host_device_scalarIT4_EEPKS3_PKS5_PKT1_PKT2_S9_PT3_21rocsparse_index_base_b.has_indirect_call, 0
	.section	.AMDGPU.csdata,"",@progbits
; Kernel info:
; codeLenInByte = 1800
; TotalNumSgprs: 26
; NumVgprs: 22
; ScratchSize: 0
; MemoryBound: 0
; FloatMode: 240
; IeeeMode: 1
; LDSByteSize: 4096 bytes/workgroup (compile time only)
; SGPRBlocks: 0
; VGPRBlocks: 1
; NumSGPRsForWavesPerEU: 26
; NumVGPRsForWavesPerEU: 22
; NamedBarCnt: 0
; Occupancy: 16
; WaveLimiterHint : 1
; COMPUTE_PGM_RSRC2:SCRATCH_EN: 0
; COMPUTE_PGM_RSRC2:USER_SGPR: 2
; COMPUTE_PGM_RSRC2:TRAP_HANDLER: 0
; COMPUTE_PGM_RSRC2:TGID_X_EN: 1
; COMPUTE_PGM_RSRC2:TGID_Y_EN: 0
; COMPUTE_PGM_RSRC2:TGID_Z_EN: 0
; COMPUTE_PGM_RSRC2:TIDIG_COMP_CNT: 0
	.section	.text._ZN9rocsparseL28csrmvn_lrb_short_rows_kernelIlid21rocsparse_complex_numIdES2_S2_EEvbT_PT0_S5_jNS_24const_host_device_scalarIT4_EEPKS3_PKS4_PKT1_PKT2_S8_PT3_21rocsparse_index_base_b,"axG",@progbits,_ZN9rocsparseL28csrmvn_lrb_short_rows_kernelIlid21rocsparse_complex_numIdES2_S2_EEvbT_PT0_S5_jNS_24const_host_device_scalarIT4_EEPKS3_PKS4_PKT1_PKT2_S8_PT3_21rocsparse_index_base_b,comdat
	.globl	_ZN9rocsparseL28csrmvn_lrb_short_rows_kernelIlid21rocsparse_complex_numIdES2_S2_EEvbT_PT0_S5_jNS_24const_host_device_scalarIT4_EEPKS3_PKS4_PKT1_PKT2_S8_PT3_21rocsparse_index_base_b ; -- Begin function _ZN9rocsparseL28csrmvn_lrb_short_rows_kernelIlid21rocsparse_complex_numIdES2_S2_EEvbT_PT0_S5_jNS_24const_host_device_scalarIT4_EEPKS3_PKS4_PKT1_PKT2_S8_PT3_21rocsparse_index_base_b
	.p2align	8
	.type	_ZN9rocsparseL28csrmvn_lrb_short_rows_kernelIlid21rocsparse_complex_numIdES2_S2_EEvbT_PT0_S5_jNS_24const_host_device_scalarIT4_EEPKS3_PKS4_PKT1_PKT2_S8_PT3_21rocsparse_index_base_b,@function
_ZN9rocsparseL28csrmvn_lrb_short_rows_kernelIlid21rocsparse_complex_numIdES2_S2_EEvbT_PT0_S5_jNS_24const_host_device_scalarIT4_EEPKS3_PKS4_PKT1_PKT2_S8_PT3_21rocsparse_index_base_b: ; @_ZN9rocsparseL28csrmvn_lrb_short_rows_kernelIlid21rocsparse_complex_numIdES2_S2_EEvbT_PT0_S5_jNS_24const_host_device_scalarIT4_EEPKS3_PKS4_PKT1_PKT2_S8_PT3_21rocsparse_index_base_b
; %bb.0:
	s_clause 0x1
	s_load_b64 s[16:17], s[0:1], 0x70
	s_load_b64 s[2:3], s[0:1], 0x28
	v_mov_b32_e32 v1, 0
	s_add_nc_u64 s[4:5], s[0:1], 40
	s_load_b64 s[6:7], s[0:1], 0x58
	s_wait_kmcnt 0x0
	s_bitcmp1_b32 s17, 0
	s_cselect_b32 s3, s5, s3
	s_cselect_b32 s2, s4, s2
	flat_load_b128 v[6:9], v1, s[2:3]
	s_wait_xcnt 0x0
	s_add_nc_u64 s[2:3], s[0:1], 0x58
	s_delay_alu instid0(SALU_CYCLE_1)
	s_cselect_b32 s3, s3, s7
	s_cselect_b32 s2, s2, s6
	flat_load_b128 v[2:5], v1, s[2:3]
	s_wait_loadcnt_dscnt 0x101
	v_cmp_eq_f64_e32 vcc_lo, 0, v[6:7]
	s_wait_xcnt 0x0
	v_cmp_eq_f64_e64 s2, 0, v[8:9]
	s_and_b32 s4, vcc_lo, s2
	s_mov_b32 s2, -1
	s_and_saveexec_b32 s3, s4
	s_cbranch_execz .LBB194_2
; %bb.1:
	s_wait_loadcnt_dscnt 0x0
	v_cmp_neq_f64_e32 vcc_lo, 1.0, v[2:3]
	v_cmp_neq_f64_e64 s2, 0, v[4:5]
	s_or_b32 s2, vcc_lo, s2
	s_delay_alu instid0(SALU_CYCLE_1)
	s_or_not1_b32 s2, s2, exec_lo
.LBB194_2:
	s_or_b32 exec_lo, exec_lo, s3
	s_and_saveexec_b32 s3, s2
	s_cbranch_execz .LBB194_16
; %bb.3:
	s_clause 0x1
	s_load_b32 s18, s[0:1], 0x20
	s_load_b128 s[12:15], s[0:1], 0x10
	s_and_b32 s5, ttmp6, 15
	s_getreg_b32 s6, hwreg(HW_REG_IB_STS2, 6, 4)
	s_mov_b32 s17, 0
	s_wait_kmcnt 0x0
	s_add_co_i32 s3, s18, 1
	s_clause 0x1
	s_load_b32 s2, s[14:15], s18 offset:0x0 scale_offset
	s_load_b32 s4, s[14:15], s3 offset:0x0 scale_offset
	s_wait_xcnt 0x0
	s_bfe_u32 s3, ttmp6, 0x4000c
	s_delay_alu instid0(SALU_CYCLE_1) | instskip(NEXT) | instid1(SALU_CYCLE_1)
	s_add_co_i32 s3, s3, 1
	s_mul_i32 s3, ttmp9, s3
	s_delay_alu instid0(SALU_CYCLE_1) | instskip(SKIP_4) | instid1(SALU_CYCLE_1)
	s_add_co_i32 s5, s5, s3
	s_wait_kmcnt 0x0
	s_sub_co_i32 s4, s4, s2
	s_cmp_eq_u32 s6, 0
	s_cselect_b32 s3, ttmp9, s5
	s_lshl_b32 s3, s3, 8
	s_delay_alu instid0(SALU_CYCLE_1) | instskip(NEXT) | instid1(SALU_CYCLE_1)
	s_add_co_i32 s5, s3, 0x100
	s_min_u32 s14, s4, s5
	s_cmp_gt_u32 s18, 23
	s_cbranch_scc1 .LBB194_10
; %bb.4:
	v_mul_f64_e32 v[14:15], 0x80000000, v[8:9]
	v_dual_mul_f64 v[16:17], 0, v[6:7] :: v_dual_mov_b32 v19, 0
	s_load_b256 s[4:11], s[0:1], 0x38
	v_bfe_u32 v18, v0, 0, s18
	v_lshl_add_u32 v1, v0, 4, 0
	s_lshl_b32 s15, 0x100, s18
	s_mov_b32 s19, s17
	s_branch .LBB194_7
.LBB194_5:                              ;   in Loop: Header=BB194_7 Depth=1
	s_or_b32 exec_lo, exec_lo, s21
	ds_store_2addr_b64 v1, v[12:13], v[20:21] offset1:1
.LBB194_6:                              ;   in Loop: Header=BB194_7 Depth=1
	s_or_b32 exec_lo, exec_lo, s20
	v_add_nc_u32_e32 v1, 0x1000, v1
	s_addk_co_i32 s19, 0x100
	s_delay_alu instid0(SALU_CYCLE_1)
	s_cmp_ge_u32 s19, s15
	s_cbranch_scc1 .LBB194_10
.LBB194_7:                              ; =>This Inner Loop Header: Depth=1
	v_add_nc_u32_e32 v10, s19, v0
	s_mov_b32 s20, exec_lo
	s_delay_alu instid0(VALU_DEP_1) | instskip(NEXT) | instid1(VALU_DEP_1)
	v_lshrrev_b32_e32 v10, s18, v10
	v_add_nc_u32_e32 v10, s3, v10
	s_delay_alu instid0(VALU_DEP_1)
	v_cmpx_gt_u32_e64 s14, v10
	s_cbranch_execz .LBB194_6
; %bb.8:                                ;   in Loop: Header=BB194_7 Depth=1
	v_add_nc_u32_e32 v10, s2, v10
	global_load_b32 v10, v10, s[12:13] scale_offset
	s_wait_loadcnt 0x0
	v_ashrrev_i32_e32 v11, 31, v10
	s_wait_kmcnt 0x0
	s_wait_xcnt 0x0
	s_delay_alu instid0(VALU_DEP_1) | instskip(SKIP_4) | instid1(VALU_DEP_2)
	v_lshl_add_u64 v[10:11], v[10:11], 3, s[4:5]
	global_load_b128 v[10:13], v[10:11], off
	s_wait_loadcnt 0x0
	v_sub_nc_u64_e32 v[20:21], v[12:13], v[10:11]
	v_mov_b64_e32 v[12:13], 0
	v_cmp_gt_i64_e32 vcc_lo, v[20:21], v[18:19]
	v_mov_b64_e32 v[20:21], 0
	s_wait_xcnt 0x0
	s_and_saveexec_b32 s21, vcc_lo
	s_cbranch_execz .LBB194_5
; %bb.9:                                ;   in Loop: Header=BB194_7 Depth=1
	v_sub_nc_u64_e64 v[10:11], v[10:11], s[16:17]
	s_delay_alu instid0(VALU_DEP_1) | instskip(NEXT) | instid1(VALU_DEP_1)
	v_add_nc_u64_e32 v[10:11], v[10:11], v[18:19]
	v_lshl_add_u64 v[12:13], v[10:11], 2, s[6:7]
	v_lshl_add_u64 v[10:11], v[10:11], 3, s[8:9]
	global_load_b32 v12, v[12:13], off
	global_load_b64 v[10:11], v[10:11], off
	s_wait_loadcnt 0x1
	s_wait_xcnt 0x1
	v_subrev_nc_u32_e32 v12, s16, v12
	s_wait_loadcnt 0x0
	v_fma_f64 v[26:27], v[8:9], v[10:11], v[16:17]
	s_wait_xcnt 0x0
	v_fma_f64 v[10:11], v[6:7], v[10:11], v[14:15]
	global_load_b128 v[22:25], v12, s[10:11] scale_offset
	s_wait_loadcnt 0x0
	s_wait_xcnt 0x0
	v_mul_f64_e64 v[12:13], v[24:25], -v[26:27]
	v_mul_f64_e32 v[20:21], v[10:11], v[24:25]
	s_delay_alu instid0(VALU_DEP_2) | instskip(NEXT) | instid1(VALU_DEP_2)
	v_fmac_f64_e32 v[12:13], v[10:11], v[22:23]
	v_fmac_f64_e32 v[20:21], v[26:27], v[22:23]
	s_branch .LBB194_5
.LBB194_10:
	s_wait_kmcnt 0x0
	s_sub_co_i32 s4, s14, s3
	s_wait_loadcnt_dscnt 0x0
	v_cmp_gt_u32_e32 vcc_lo, s4, v0
	s_barrier_signal -1
	s_barrier_wait -1
	s_and_b32 exec_lo, exec_lo, vcc_lo
	s_cbranch_execz .LBB194_16
; %bb.11:
	v_add3_u32 v1, s2, s3, v0
	s_load_b64 s[2:3], s[0:1], 0x68
	v_mov_b64_e32 v[8:9], 0
	v_lshlrev_b32_e32 v0, s18, v0
	s_wait_xcnt 0x0
	s_mov_b32 s0, 1
	global_load_b32 v10, v1, s[12:13] scale_offset
	v_lshl_add_u32 v0, v0, 4, 0
	v_mov_b64_e32 v[6:7], v[8:9]
.LBB194_12:                             ; =>This Inner Loop Header: Depth=1
	ds_load_2addr_b64 v[12:15], v0 offset1:1
	s_lshr_b32 s1, s0, s18
	s_add_co_i32 s0, s0, 1
	s_cmp_lg_u32 s1, 0
	s_wait_dscnt 0x0
	v_dual_add_f64 v[8:9], v[8:9], v[14:15] :: v_dual_add_nc_u32 v0, 16, v0
	v_add_f64_e32 v[6:7], v[6:7], v[12:13]
	s_cbranch_scc0 .LBB194_12
; %bb.13:
	v_cmp_neq_f64_e32 vcc_lo, 0, v[2:3]
	v_cmp_neq_f64_e64 s0, 0, v[4:5]
	s_wait_loadcnt 0x0
	v_ashrrev_i32_e32 v11, 31, v10
	s_wait_kmcnt 0x0
	s_delay_alu instid0(VALU_DEP_1) | instskip(SKIP_1) | instid1(SALU_CYCLE_1)
	v_lshl_add_u64 v[0:1], v[10:11], 4, s[2:3]
	s_or_b32 s1, vcc_lo, s0
	s_and_saveexec_b32 s0, s1
	s_cbranch_execz .LBB194_15
; %bb.14:
	global_load_b128 v[10:13], v[0:1], off
	s_wait_loadcnt 0x0
	v_fmac_f64_e32 v[6:7], v[2:3], v[10:11]
	v_fmac_f64_e32 v[8:9], v[4:5], v[10:11]
	s_delay_alu instid0(VALU_DEP_2) | instskip(NEXT) | instid1(VALU_DEP_2)
	v_fma_f64 v[6:7], -v[4:5], v[12:13], v[6:7]
	v_fmac_f64_e32 v[8:9], v[2:3], v[12:13]
.LBB194_15:
	s_or_b32 exec_lo, exec_lo, s0
	global_store_b128 v[0:1], v[6:9], off
.LBB194_16:
	s_endpgm
	.section	.rodata,"a",@progbits
	.p2align	6, 0x0
	.amdhsa_kernel _ZN9rocsparseL28csrmvn_lrb_short_rows_kernelIlid21rocsparse_complex_numIdES2_S2_EEvbT_PT0_S5_jNS_24const_host_device_scalarIT4_EEPKS3_PKS4_PKT1_PKT2_S8_PT3_21rocsparse_index_base_b
		.amdhsa_group_segment_fixed_size 0
		.amdhsa_private_segment_fixed_size 0
		.amdhsa_kernarg_size 120
		.amdhsa_user_sgpr_count 2
		.amdhsa_user_sgpr_dispatch_ptr 0
		.amdhsa_user_sgpr_queue_ptr 0
		.amdhsa_user_sgpr_kernarg_segment_ptr 1
		.amdhsa_user_sgpr_dispatch_id 0
		.amdhsa_user_sgpr_kernarg_preload_length 0
		.amdhsa_user_sgpr_kernarg_preload_offset 0
		.amdhsa_user_sgpr_private_segment_size 0
		.amdhsa_wavefront_size32 1
		.amdhsa_uses_dynamic_stack 0
		.amdhsa_enable_private_segment 0
		.amdhsa_system_sgpr_workgroup_id_x 1
		.amdhsa_system_sgpr_workgroup_id_y 0
		.amdhsa_system_sgpr_workgroup_id_z 0
		.amdhsa_system_sgpr_workgroup_info 0
		.amdhsa_system_vgpr_workitem_id 0
		.amdhsa_next_free_vgpr 28
		.amdhsa_next_free_sgpr 22
		.amdhsa_named_barrier_count 0
		.amdhsa_reserve_vcc 1
		.amdhsa_float_round_mode_32 0
		.amdhsa_float_round_mode_16_64 0
		.amdhsa_float_denorm_mode_32 3
		.amdhsa_float_denorm_mode_16_64 3
		.amdhsa_fp16_overflow 0
		.amdhsa_memory_ordered 1
		.amdhsa_forward_progress 1
		.amdhsa_inst_pref_size 8
		.amdhsa_round_robin_scheduling 0
		.amdhsa_exception_fp_ieee_invalid_op 0
		.amdhsa_exception_fp_denorm_src 0
		.amdhsa_exception_fp_ieee_div_zero 0
		.amdhsa_exception_fp_ieee_overflow 0
		.amdhsa_exception_fp_ieee_underflow 0
		.amdhsa_exception_fp_ieee_inexact 0
		.amdhsa_exception_int_div_zero 0
	.end_amdhsa_kernel
	.section	.text._ZN9rocsparseL28csrmvn_lrb_short_rows_kernelIlid21rocsparse_complex_numIdES2_S2_EEvbT_PT0_S5_jNS_24const_host_device_scalarIT4_EEPKS3_PKS4_PKT1_PKT2_S8_PT3_21rocsparse_index_base_b,"axG",@progbits,_ZN9rocsparseL28csrmvn_lrb_short_rows_kernelIlid21rocsparse_complex_numIdES2_S2_EEvbT_PT0_S5_jNS_24const_host_device_scalarIT4_EEPKS3_PKS4_PKT1_PKT2_S8_PT3_21rocsparse_index_base_b,comdat
.Lfunc_end194:
	.size	_ZN9rocsparseL28csrmvn_lrb_short_rows_kernelIlid21rocsparse_complex_numIdES2_S2_EEvbT_PT0_S5_jNS_24const_host_device_scalarIT4_EEPKS3_PKS4_PKT1_PKT2_S8_PT3_21rocsparse_index_base_b, .Lfunc_end194-_ZN9rocsparseL28csrmvn_lrb_short_rows_kernelIlid21rocsparse_complex_numIdES2_S2_EEvbT_PT0_S5_jNS_24const_host_device_scalarIT4_EEPKS3_PKS4_PKT1_PKT2_S8_PT3_21rocsparse_index_base_b
                                        ; -- End function
	.set _ZN9rocsparseL28csrmvn_lrb_short_rows_kernelIlid21rocsparse_complex_numIdES2_S2_EEvbT_PT0_S5_jNS_24const_host_device_scalarIT4_EEPKS3_PKS4_PKT1_PKT2_S8_PT3_21rocsparse_index_base_b.num_vgpr, 28
	.set _ZN9rocsparseL28csrmvn_lrb_short_rows_kernelIlid21rocsparse_complex_numIdES2_S2_EEvbT_PT0_S5_jNS_24const_host_device_scalarIT4_EEPKS3_PKS4_PKT1_PKT2_S8_PT3_21rocsparse_index_base_b.num_agpr, 0
	.set _ZN9rocsparseL28csrmvn_lrb_short_rows_kernelIlid21rocsparse_complex_numIdES2_S2_EEvbT_PT0_S5_jNS_24const_host_device_scalarIT4_EEPKS3_PKS4_PKT1_PKT2_S8_PT3_21rocsparse_index_base_b.numbered_sgpr, 22
	.set _ZN9rocsparseL28csrmvn_lrb_short_rows_kernelIlid21rocsparse_complex_numIdES2_S2_EEvbT_PT0_S5_jNS_24const_host_device_scalarIT4_EEPKS3_PKS4_PKT1_PKT2_S8_PT3_21rocsparse_index_base_b.num_named_barrier, 0
	.set _ZN9rocsparseL28csrmvn_lrb_short_rows_kernelIlid21rocsparse_complex_numIdES2_S2_EEvbT_PT0_S5_jNS_24const_host_device_scalarIT4_EEPKS3_PKS4_PKT1_PKT2_S8_PT3_21rocsparse_index_base_b.private_seg_size, 0
	.set _ZN9rocsparseL28csrmvn_lrb_short_rows_kernelIlid21rocsparse_complex_numIdES2_S2_EEvbT_PT0_S5_jNS_24const_host_device_scalarIT4_EEPKS3_PKS4_PKT1_PKT2_S8_PT3_21rocsparse_index_base_b.uses_vcc, 1
	.set _ZN9rocsparseL28csrmvn_lrb_short_rows_kernelIlid21rocsparse_complex_numIdES2_S2_EEvbT_PT0_S5_jNS_24const_host_device_scalarIT4_EEPKS3_PKS4_PKT1_PKT2_S8_PT3_21rocsparse_index_base_b.uses_flat_scratch, 0
	.set _ZN9rocsparseL28csrmvn_lrb_short_rows_kernelIlid21rocsparse_complex_numIdES2_S2_EEvbT_PT0_S5_jNS_24const_host_device_scalarIT4_EEPKS3_PKS4_PKT1_PKT2_S8_PT3_21rocsparse_index_base_b.has_dyn_sized_stack, 0
	.set _ZN9rocsparseL28csrmvn_lrb_short_rows_kernelIlid21rocsparse_complex_numIdES2_S2_EEvbT_PT0_S5_jNS_24const_host_device_scalarIT4_EEPKS3_PKS4_PKT1_PKT2_S8_PT3_21rocsparse_index_base_b.has_recursion, 0
	.set _ZN9rocsparseL28csrmvn_lrb_short_rows_kernelIlid21rocsparse_complex_numIdES2_S2_EEvbT_PT0_S5_jNS_24const_host_device_scalarIT4_EEPKS3_PKS4_PKT1_PKT2_S8_PT3_21rocsparse_index_base_b.has_indirect_call, 0
	.section	.AMDGPU.csdata,"",@progbits
; Kernel info:
; codeLenInByte = 916
; TotalNumSgprs: 24
; NumVgprs: 28
; ScratchSize: 0
; MemoryBound: 0
; FloatMode: 240
; IeeeMode: 1
; LDSByteSize: 0 bytes/workgroup (compile time only)
; SGPRBlocks: 0
; VGPRBlocks: 1
; NumSGPRsForWavesPerEU: 24
; NumVGPRsForWavesPerEU: 28
; NamedBarCnt: 0
; Occupancy: 16
; WaveLimiterHint : 1
; COMPUTE_PGM_RSRC2:SCRATCH_EN: 0
; COMPUTE_PGM_RSRC2:USER_SGPR: 2
; COMPUTE_PGM_RSRC2:TRAP_HANDLER: 0
; COMPUTE_PGM_RSRC2:TGID_X_EN: 1
; COMPUTE_PGM_RSRC2:TGID_Y_EN: 0
; COMPUTE_PGM_RSRC2:TGID_Z_EN: 0
; COMPUTE_PGM_RSRC2:TIDIG_COMP_CNT: 0
	.section	.text._ZN9rocsparseL30csrmvn_lrb_short_rows_2_kernelIlid21rocsparse_complex_numIdES2_S2_EEvbT_PT0_S5_jNS_24const_host_device_scalarIT4_EEPKS3_PKS4_PKT1_PKT2_S8_PT3_21rocsparse_index_base_b,"axG",@progbits,_ZN9rocsparseL30csrmvn_lrb_short_rows_2_kernelIlid21rocsparse_complex_numIdES2_S2_EEvbT_PT0_S5_jNS_24const_host_device_scalarIT4_EEPKS3_PKS4_PKT1_PKT2_S8_PT3_21rocsparse_index_base_b,comdat
	.globl	_ZN9rocsparseL30csrmvn_lrb_short_rows_2_kernelIlid21rocsparse_complex_numIdES2_S2_EEvbT_PT0_S5_jNS_24const_host_device_scalarIT4_EEPKS3_PKS4_PKT1_PKT2_S8_PT3_21rocsparse_index_base_b ; -- Begin function _ZN9rocsparseL30csrmvn_lrb_short_rows_2_kernelIlid21rocsparse_complex_numIdES2_S2_EEvbT_PT0_S5_jNS_24const_host_device_scalarIT4_EEPKS3_PKS4_PKT1_PKT2_S8_PT3_21rocsparse_index_base_b
	.p2align	8
	.type	_ZN9rocsparseL30csrmvn_lrb_short_rows_2_kernelIlid21rocsparse_complex_numIdES2_S2_EEvbT_PT0_S5_jNS_24const_host_device_scalarIT4_EEPKS3_PKS4_PKT1_PKT2_S8_PT3_21rocsparse_index_base_b,@function
_ZN9rocsparseL30csrmvn_lrb_short_rows_2_kernelIlid21rocsparse_complex_numIdES2_S2_EEvbT_PT0_S5_jNS_24const_host_device_scalarIT4_EEPKS3_PKS4_PKT1_PKT2_S8_PT3_21rocsparse_index_base_b: ; @_ZN9rocsparseL30csrmvn_lrb_short_rows_2_kernelIlid21rocsparse_complex_numIdES2_S2_EEvbT_PT0_S5_jNS_24const_host_device_scalarIT4_EEPKS3_PKS4_PKT1_PKT2_S8_PT3_21rocsparse_index_base_b
; %bb.0:
	s_clause 0x1
	s_load_b64 s[16:17], s[0:1], 0x70
	s_load_b64 s[2:3], s[0:1], 0x28
	v_mov_b32_e32 v1, 0
	s_add_nc_u64 s[4:5], s[0:1], 40
	s_load_b64 s[6:7], s[0:1], 0x58
	s_wait_kmcnt 0x0
	s_bitcmp1_b32 s17, 0
	s_cselect_b32 s3, s5, s3
	s_cselect_b32 s2, s4, s2
	flat_load_b128 v[6:9], v1, s[2:3]
	s_wait_xcnt 0x0
	s_add_nc_u64 s[2:3], s[0:1], 0x58
	s_delay_alu instid0(SALU_CYCLE_1)
	s_cselect_b32 s3, s3, s7
	s_cselect_b32 s2, s2, s6
	flat_load_b128 v[2:5], v1, s[2:3]
	s_wait_loadcnt_dscnt 0x101
	v_cmp_eq_f64_e32 vcc_lo, 0, v[6:7]
	s_wait_xcnt 0x0
	v_cmp_eq_f64_e64 s2, 0, v[8:9]
	s_and_b32 s4, vcc_lo, s2
	s_mov_b32 s2, -1
	s_and_saveexec_b32 s3, s4
	s_cbranch_execz .LBB195_2
; %bb.1:
	s_wait_loadcnt_dscnt 0x0
	v_cmp_neq_f64_e32 vcc_lo, 1.0, v[2:3]
	v_cmp_neq_f64_e64 s2, 0, v[4:5]
	s_or_b32 s2, vcc_lo, s2
	s_delay_alu instid0(SALU_CYCLE_1)
	s_or_not1_b32 s2, s2, exec_lo
.LBB195_2:
	s_or_b32 exec_lo, exec_lo, s3
	s_and_saveexec_b32 s3, s2
	s_cbranch_execz .LBB195_28
; %bb.3:
	s_clause 0x1
	s_load_b32 s18, s[0:1], 0x20
	s_load_b128 s[12:15], s[0:1], 0x10
	v_mul_f64_e32 v[20:21], 0x80000000, v[8:9]
	v_mul_f64_e32 v[18:19], 0, v[6:7]
	s_load_b256 s[4:11], s[0:1], 0x38
	s_mov_b32 s17, 0
	v_mov_b32_e32 v23, 0
	s_wait_kmcnt 0x0
	s_add_co_i32 s2, s18, 1
	s_clause 0x1
	s_load_b32 s19, s[14:15], s18 offset:0x0 scale_offset
	s_load_b32 s3, s[14:15], s2 offset:0x0 scale_offset
	s_wait_xcnt 0x0
	s_bfe_u32 s2, ttmp6, 0x4000c
	s_and_b32 s14, ttmp6, 15
	s_add_co_i32 s2, s2, 1
	s_getreg_b32 s15, hwreg(HW_REG_IB_STS2, 6, 4)
	s_mul_i32 s2, ttmp9, s2
	v_lshrrev_b32_e32 v1, s18, v0
	s_add_co_i32 s2, s14, s2
	s_lshr_b32 s14, 0x400, s18
	v_bfe_u32 v22, v0, 0, s18
	s_wait_kmcnt 0x0
	s_sub_co_i32 s3, s3, s19
	s_cmp_eq_u32 s15, 0
	s_cselect_b32 s2, ttmp9, s2
	s_delay_alu instid0(SALU_CYCLE_1) | instskip(NEXT) | instid1(SALU_CYCLE_1)
	s_mul_i32 s15, s14, s2
	v_add_nc_u32_e32 v1, s15, v1
	s_add_co_i32 s2, s15, s14
	s_delay_alu instid0(SALU_CYCLE_1) | instskip(SKIP_1) | instid1(VALU_DEP_1)
	s_min_u32 s20, s3, s2
	s_mov_b32 s2, exec_lo
	v_cmpx_gt_u32_e64 s20, v1
	s_cbranch_execz .LBB195_7
; %bb.4:
	v_add_nc_u32_e32 v1, s19, v1
	global_load_b32 v10, v1, s[12:13] scale_offset
	s_wait_loadcnt 0x0
	v_ashrrev_i32_e32 v11, 31, v10
	s_delay_alu instid0(VALU_DEP_1)
	v_lshl_add_u64 v[10:11], v[10:11], 3, s[4:5]
	global_load_b128 v[14:17], v[10:11], off
	s_wait_xcnt 0x0
	v_mov_b64_e32 v[10:11], 0
	s_wait_loadcnt 0x0
	v_sub_nc_u64_e32 v[12:13], v[16:17], v[14:15]
	s_delay_alu instid0(VALU_DEP_1)
	v_cmp_gt_i64_e32 vcc_lo, v[12:13], v[22:23]
	v_mov_b64_e32 v[12:13], 0
	s_and_saveexec_b32 s3, vcc_lo
	s_cbranch_execz .LBB195_6
; %bb.5:
	v_sub_nc_u64_e64 v[10:11], v[14:15], s[16:17]
	s_delay_alu instid0(VALU_DEP_1) | instskip(NEXT) | instid1(VALU_DEP_1)
	v_add_nc_u64_e32 v[10:11], v[10:11], v[22:23]
	v_lshl_add_u64 v[12:13], v[10:11], 2, s[6:7]
	v_lshl_add_u64 v[10:11], v[10:11], 3, s[8:9]
	global_load_b32 v1, v[12:13], off
	global_load_b64 v[10:11], v[10:11], off
	s_wait_loadcnt 0x1
	v_subrev_nc_u32_e32 v1, s16, v1
	s_wait_loadcnt 0x0
	v_fma_f64 v[24:25], v[8:9], v[10:11], v[18:19]
	v_fma_f64 v[26:27], v[6:7], v[10:11], v[20:21]
	global_load_b128 v[14:17], v1, s[10:11] scale_offset
	s_wait_loadcnt 0x0
	v_mul_f64_e64 v[10:11], v[16:17], -v[24:25]
	v_mul_f64_e32 v[12:13], v[26:27], v[16:17]
	s_delay_alu instid0(VALU_DEP_2) | instskip(NEXT) | instid1(VALU_DEP_2)
	v_fmac_f64_e32 v[10:11], v[26:27], v[14:15]
	v_fmac_f64_e32 v[12:13], v[24:25], v[14:15]
.LBB195_6:
	s_or_b32 exec_lo, exec_lo, s3
	v_lshlrev_b32_e32 v1, 4, v0
	ds_store_b128 v1, v[10:13]
.LBB195_7:
	s_or_b32 exec_lo, exec_lo, s2
	s_load_b64 s[2:3], s[0:1], 0x68
	v_or_b32_e32 v1, 0x100, v0
	s_wait_xcnt 0x0
	s_mov_b32 s0, exec_lo
	s_delay_alu instid0(VALU_DEP_1) | instskip(NEXT) | instid1(VALU_DEP_1)
	v_lshrrev_b32_e32 v1, s18, v1
	v_add_nc_u32_e32 v1, s15, v1
	s_delay_alu instid0(VALU_DEP_1)
	v_cmpx_gt_u32_e64 s20, v1
	s_cbranch_execz .LBB195_11
; %bb.8:
	v_add_nc_u32_e32 v1, s19, v1
	global_load_b32 v10, v1, s[12:13] scale_offset
	s_wait_loadcnt 0x0
	v_ashrrev_i32_e32 v11, 31, v10
	s_delay_alu instid0(VALU_DEP_1)
	v_lshl_add_u64 v[10:11], v[10:11], 3, s[4:5]
	global_load_b128 v[14:17], v[10:11], off
	s_wait_xcnt 0x0
	v_mov_b64_e32 v[10:11], 0
	s_wait_loadcnt 0x0
	v_sub_nc_u64_e32 v[12:13], v[16:17], v[14:15]
	s_delay_alu instid0(VALU_DEP_1)
	v_cmp_gt_i64_e32 vcc_lo, v[12:13], v[22:23]
	v_mov_b64_e32 v[12:13], 0
	s_and_saveexec_b32 s1, vcc_lo
	s_cbranch_execz .LBB195_10
; %bb.9:
	v_sub_nc_u64_e64 v[10:11], v[14:15], s[16:17]
	s_delay_alu instid0(VALU_DEP_1) | instskip(NEXT) | instid1(VALU_DEP_1)
	v_add_nc_u64_e32 v[10:11], v[10:11], v[22:23]
	v_lshl_add_u64 v[12:13], v[10:11], 2, s[6:7]
	v_lshl_add_u64 v[10:11], v[10:11], 3, s[8:9]
	global_load_b32 v1, v[12:13], off
	global_load_b64 v[10:11], v[10:11], off
	s_wait_loadcnt 0x1
	v_subrev_nc_u32_e32 v1, s16, v1
	s_wait_loadcnt 0x0
	v_fma_f64 v[24:25], v[8:9], v[10:11], v[18:19]
	v_fma_f64 v[26:27], v[6:7], v[10:11], v[20:21]
	global_load_b128 v[14:17], v1, s[10:11] scale_offset
	s_wait_loadcnt 0x0
	v_mul_f64_e64 v[10:11], v[16:17], -v[24:25]
	v_mul_f64_e32 v[12:13], v[26:27], v[16:17]
	s_delay_alu instid0(VALU_DEP_2) | instskip(NEXT) | instid1(VALU_DEP_2)
	v_fmac_f64_e32 v[10:11], v[26:27], v[14:15]
	v_fmac_f64_e32 v[12:13], v[24:25], v[14:15]
.LBB195_10:
	s_or_b32 exec_lo, exec_lo, s1
	v_lshlrev_b32_e32 v1, 4, v0
	ds_store_b128 v1, v[10:13] offset:4096
.LBB195_11:
	s_or_b32 exec_lo, exec_lo, s0
	v_or_b32_e32 v1, 0x200, v0
	s_mov_b32 s0, exec_lo
	s_delay_alu instid0(VALU_DEP_1) | instskip(NEXT) | instid1(VALU_DEP_1)
	v_lshrrev_b32_e32 v1, s18, v1
	v_add_nc_u32_e32 v1, s15, v1
	s_delay_alu instid0(VALU_DEP_1)
	v_cmpx_gt_u32_e64 s20, v1
	s_cbranch_execz .LBB195_15
; %bb.12:
	v_add_nc_u32_e32 v1, s19, v1
	global_load_b32 v10, v1, s[12:13] scale_offset
	s_wait_loadcnt 0x0
	v_ashrrev_i32_e32 v11, 31, v10
	s_delay_alu instid0(VALU_DEP_1)
	v_lshl_add_u64 v[10:11], v[10:11], 3, s[4:5]
	global_load_b128 v[14:17], v[10:11], off
	s_wait_xcnt 0x0
	v_mov_b64_e32 v[10:11], 0
	s_wait_loadcnt 0x0
	v_sub_nc_u64_e32 v[12:13], v[16:17], v[14:15]
	s_delay_alu instid0(VALU_DEP_1)
	v_cmp_gt_i64_e32 vcc_lo, v[12:13], v[22:23]
	v_mov_b64_e32 v[12:13], 0
	s_and_saveexec_b32 s1, vcc_lo
	s_cbranch_execz .LBB195_14
; %bb.13:
	v_sub_nc_u64_e64 v[10:11], v[14:15], s[16:17]
	s_delay_alu instid0(VALU_DEP_1) | instskip(NEXT) | instid1(VALU_DEP_1)
	v_add_nc_u64_e32 v[10:11], v[10:11], v[22:23]
	v_lshl_add_u64 v[12:13], v[10:11], 2, s[6:7]
	v_lshl_add_u64 v[10:11], v[10:11], 3, s[8:9]
	global_load_b32 v1, v[12:13], off
	global_load_b64 v[10:11], v[10:11], off
	s_wait_loadcnt 0x1
	v_subrev_nc_u32_e32 v1, s16, v1
	s_wait_loadcnt 0x0
	v_fma_f64 v[24:25], v[8:9], v[10:11], v[18:19]
	v_fma_f64 v[26:27], v[6:7], v[10:11], v[20:21]
	global_load_b128 v[14:17], v1, s[10:11] scale_offset
	s_wait_loadcnt 0x0
	v_mul_f64_e64 v[10:11], v[16:17], -v[24:25]
	v_mul_f64_e32 v[12:13], v[26:27], v[16:17]
	s_delay_alu instid0(VALU_DEP_2) | instskip(NEXT) | instid1(VALU_DEP_2)
	v_fmac_f64_e32 v[10:11], v[26:27], v[14:15]
	v_fmac_f64_e32 v[12:13], v[24:25], v[14:15]
.LBB195_14:
	s_or_b32 exec_lo, exec_lo, s1
	v_lshlrev_b32_e32 v1, 4, v0
	ds_store_b128 v1, v[10:13] offset:8192
.LBB195_15:
	s_or_b32 exec_lo, exec_lo, s0
	v_or_b32_e32 v1, 0x300, v0
	s_mov_b32 s0, exec_lo
	s_delay_alu instid0(VALU_DEP_1) | instskip(NEXT) | instid1(VALU_DEP_1)
	v_lshrrev_b32_e32 v1, s18, v1
	v_add_nc_u32_e32 v1, s15, v1
	s_delay_alu instid0(VALU_DEP_1)
	v_cmpx_gt_u32_e64 s20, v1
	s_cbranch_execz .LBB195_19
; %bb.16:
	v_add_nc_u32_e32 v1, s19, v1
	global_load_b32 v10, v1, s[12:13] scale_offset
	s_wait_loadcnt 0x0
	v_ashrrev_i32_e32 v11, 31, v10
	s_delay_alu instid0(VALU_DEP_1)
	v_lshl_add_u64 v[10:11], v[10:11], 3, s[4:5]
	global_load_b128 v[14:17], v[10:11], off
	s_wait_xcnt 0x0
	v_mov_b64_e32 v[10:11], 0
	s_wait_loadcnt 0x0
	v_sub_nc_u64_e32 v[12:13], v[16:17], v[14:15]
	s_delay_alu instid0(VALU_DEP_1)
	v_cmp_gt_i64_e32 vcc_lo, v[12:13], v[22:23]
	v_mov_b64_e32 v[12:13], 0
	s_and_saveexec_b32 s1, vcc_lo
	s_cbranch_execz .LBB195_18
; %bb.17:
	v_sub_nc_u64_e64 v[10:11], v[14:15], s[16:17]
	s_delay_alu instid0(VALU_DEP_1) | instskip(NEXT) | instid1(VALU_DEP_1)
	v_add_nc_u64_e32 v[10:11], v[10:11], v[22:23]
	v_lshl_add_u64 v[12:13], v[10:11], 2, s[6:7]
	v_lshl_add_u64 v[10:11], v[10:11], 3, s[8:9]
	global_load_b32 v1, v[12:13], off
	global_load_b64 v[10:11], v[10:11], off
	s_wait_loadcnt 0x1
	v_subrev_nc_u32_e32 v1, s16, v1
	s_wait_loadcnt 0x0
	v_fmac_f64_e32 v[18:19], v[8:9], v[10:11]
	v_fmac_f64_e32 v[20:21], v[6:7], v[10:11]
	global_load_b128 v[14:17], v1, s[10:11] scale_offset
	s_wait_loadcnt 0x0
	v_mul_f64_e64 v[10:11], v[16:17], -v[18:19]
	v_mul_f64_e32 v[12:13], v[20:21], v[16:17]
	s_delay_alu instid0(VALU_DEP_2) | instskip(NEXT) | instid1(VALU_DEP_2)
	v_fmac_f64_e32 v[10:11], v[20:21], v[14:15]
	v_fmac_f64_e32 v[12:13], v[18:19], v[14:15]
.LBB195_18:
	s_or_b32 exec_lo, exec_lo, s1
	v_lshlrev_b32_e32 v1, 4, v0
	ds_store_b128 v1, v[10:13] offset:12288
.LBB195_19:
	s_or_b32 exec_lo, exec_lo, s0
	s_cmp_lt_u32 s18, 11
	s_wait_loadcnt_dscnt 0x0
	s_barrier_signal -1
	s_barrier_wait -1
	s_cbranch_scc0 .LBB195_28
; %bb.20:
	v_cmp_neq_f64_e32 vcc_lo, 0, v[2:3]
	v_cmp_neq_f64_e64 s0, 0, v[4:5]
	s_sub_co_i32 s1, s20, s15
	s_add_co_i32 s19, s19, s15
	s_mov_b32 s4, 0
	s_or_b32 s0, vcc_lo, s0
	s_branch .LBB195_23
.LBB195_21:                             ;   in Loop: Header=BB195_23 Depth=1
	s_wait_xcnt 0x0
	s_or_b32 exec_lo, exec_lo, s6
	global_store_b128 v[10:11], v[6:9], off
.LBB195_22:                             ;   in Loop: Header=BB195_23 Depth=1
	s_wait_xcnt 0x0
	s_or_b32 exec_lo, exec_lo, s5
	s_addk_co_i32 s4, 0x100
	s_delay_alu instid0(SALU_CYCLE_1)
	s_cmp_lt_u32 s4, s14
	s_cbranch_scc0 .LBB195_28
.LBB195_23:                             ; =>This Loop Header: Depth=1
                                        ;     Child Loop BB195_25 Depth 2
	v_add_nc_u32_e32 v1, s4, v0
	s_mov_b32 s5, exec_lo
	s_delay_alu instid0(VALU_DEP_1)
	v_cmpx_gt_u32_e64 s1, v1
	s_cbranch_execz .LBB195_22
; %bb.24:                               ;   in Loop: Header=BB195_23 Depth=1
	v_dual_add_nc_u32 v6, s19, v1 :: v_dual_lshlrev_b32 v1, s18, v1
	v_mov_b64_e32 v[8:9], 0
	s_mov_b32 s6, 1
	global_load_b32 v10, v6, s[12:13] scale_offset
	v_lshlrev_b32_e32 v1, 4, v1
	s_wait_xcnt 0x0
	v_mov_b64_e32 v[6:7], v[8:9]
.LBB195_25:                             ;   Parent Loop BB195_23 Depth=1
                                        ; =>  This Inner Loop Header: Depth=2
	ds_load_b128 v[12:15], v1
	s_lshr_b32 s7, s6, s18
	s_add_co_i32 s6, s6, 1
	s_cmp_lg_u32 s7, 0
	s_wait_dscnt 0x0
	v_dual_add_f64 v[8:9], v[8:9], v[14:15] :: v_dual_add_nc_u32 v1, 16, v1
	v_add_f64_e32 v[6:7], v[6:7], v[12:13]
	s_cbranch_scc0 .LBB195_25
; %bb.26:                               ;   in Loop: Header=BB195_23 Depth=1
	s_wait_loadcnt 0x0
	v_ashrrev_i32_e32 v11, 31, v10
	s_wait_kmcnt 0x0
	s_delay_alu instid0(VALU_DEP_1)
	v_lshl_add_u64 v[10:11], v[10:11], 4, s[2:3]
	s_and_saveexec_b32 s6, s0
	s_cbranch_execz .LBB195_21
; %bb.27:                               ;   in Loop: Header=BB195_23 Depth=1
	global_load_b128 v[12:15], v[10:11], off
	s_wait_loadcnt 0x0
	v_fmac_f64_e32 v[6:7], v[2:3], v[12:13]
	v_fmac_f64_e32 v[8:9], v[4:5], v[12:13]
	s_delay_alu instid0(VALU_DEP_2) | instskip(NEXT) | instid1(VALU_DEP_2)
	v_fma_f64 v[6:7], -v[4:5], v[14:15], v[6:7]
	v_fmac_f64_e32 v[8:9], v[2:3], v[14:15]
	s_branch .LBB195_21
.LBB195_28:
	s_endpgm
	.section	.rodata,"a",@progbits
	.p2align	6, 0x0
	.amdhsa_kernel _ZN9rocsparseL30csrmvn_lrb_short_rows_2_kernelIlid21rocsparse_complex_numIdES2_S2_EEvbT_PT0_S5_jNS_24const_host_device_scalarIT4_EEPKS3_PKS4_PKT1_PKT2_S8_PT3_21rocsparse_index_base_b
		.amdhsa_group_segment_fixed_size 16384
		.amdhsa_private_segment_fixed_size 0
		.amdhsa_kernarg_size 120
		.amdhsa_user_sgpr_count 2
		.amdhsa_user_sgpr_dispatch_ptr 0
		.amdhsa_user_sgpr_queue_ptr 0
		.amdhsa_user_sgpr_kernarg_segment_ptr 1
		.amdhsa_user_sgpr_dispatch_id 0
		.amdhsa_user_sgpr_kernarg_preload_length 0
		.amdhsa_user_sgpr_kernarg_preload_offset 0
		.amdhsa_user_sgpr_private_segment_size 0
		.amdhsa_wavefront_size32 1
		.amdhsa_uses_dynamic_stack 0
		.amdhsa_enable_private_segment 0
		.amdhsa_system_sgpr_workgroup_id_x 1
		.amdhsa_system_sgpr_workgroup_id_y 0
		.amdhsa_system_sgpr_workgroup_id_z 0
		.amdhsa_system_sgpr_workgroup_info 0
		.amdhsa_system_vgpr_workitem_id 0
		.amdhsa_next_free_vgpr 28
		.amdhsa_next_free_sgpr 21
		.amdhsa_named_barrier_count 0
		.amdhsa_reserve_vcc 1
		.amdhsa_float_round_mode_32 0
		.amdhsa_float_round_mode_16_64 0
		.amdhsa_float_denorm_mode_32 3
		.amdhsa_float_denorm_mode_16_64 3
		.amdhsa_fp16_overflow 0
		.amdhsa_memory_ordered 1
		.amdhsa_forward_progress 1
		.amdhsa_inst_pref_size 14
		.amdhsa_round_robin_scheduling 0
		.amdhsa_exception_fp_ieee_invalid_op 0
		.amdhsa_exception_fp_denorm_src 0
		.amdhsa_exception_fp_ieee_div_zero 0
		.amdhsa_exception_fp_ieee_overflow 0
		.amdhsa_exception_fp_ieee_underflow 0
		.amdhsa_exception_fp_ieee_inexact 0
		.amdhsa_exception_int_div_zero 0
	.end_amdhsa_kernel
	.section	.text._ZN9rocsparseL30csrmvn_lrb_short_rows_2_kernelIlid21rocsparse_complex_numIdES2_S2_EEvbT_PT0_S5_jNS_24const_host_device_scalarIT4_EEPKS3_PKS4_PKT1_PKT2_S8_PT3_21rocsparse_index_base_b,"axG",@progbits,_ZN9rocsparseL30csrmvn_lrb_short_rows_2_kernelIlid21rocsparse_complex_numIdES2_S2_EEvbT_PT0_S5_jNS_24const_host_device_scalarIT4_EEPKS3_PKS4_PKT1_PKT2_S8_PT3_21rocsparse_index_base_b,comdat
.Lfunc_end195:
	.size	_ZN9rocsparseL30csrmvn_lrb_short_rows_2_kernelIlid21rocsparse_complex_numIdES2_S2_EEvbT_PT0_S5_jNS_24const_host_device_scalarIT4_EEPKS3_PKS4_PKT1_PKT2_S8_PT3_21rocsparse_index_base_b, .Lfunc_end195-_ZN9rocsparseL30csrmvn_lrb_short_rows_2_kernelIlid21rocsparse_complex_numIdES2_S2_EEvbT_PT0_S5_jNS_24const_host_device_scalarIT4_EEPKS3_PKS4_PKT1_PKT2_S8_PT3_21rocsparse_index_base_b
                                        ; -- End function
	.set _ZN9rocsparseL30csrmvn_lrb_short_rows_2_kernelIlid21rocsparse_complex_numIdES2_S2_EEvbT_PT0_S5_jNS_24const_host_device_scalarIT4_EEPKS3_PKS4_PKT1_PKT2_S8_PT3_21rocsparse_index_base_b.num_vgpr, 28
	.set _ZN9rocsparseL30csrmvn_lrb_short_rows_2_kernelIlid21rocsparse_complex_numIdES2_S2_EEvbT_PT0_S5_jNS_24const_host_device_scalarIT4_EEPKS3_PKS4_PKT1_PKT2_S8_PT3_21rocsparse_index_base_b.num_agpr, 0
	.set _ZN9rocsparseL30csrmvn_lrb_short_rows_2_kernelIlid21rocsparse_complex_numIdES2_S2_EEvbT_PT0_S5_jNS_24const_host_device_scalarIT4_EEPKS3_PKS4_PKT1_PKT2_S8_PT3_21rocsparse_index_base_b.numbered_sgpr, 21
	.set _ZN9rocsparseL30csrmvn_lrb_short_rows_2_kernelIlid21rocsparse_complex_numIdES2_S2_EEvbT_PT0_S5_jNS_24const_host_device_scalarIT4_EEPKS3_PKS4_PKT1_PKT2_S8_PT3_21rocsparse_index_base_b.num_named_barrier, 0
	.set _ZN9rocsparseL30csrmvn_lrb_short_rows_2_kernelIlid21rocsparse_complex_numIdES2_S2_EEvbT_PT0_S5_jNS_24const_host_device_scalarIT4_EEPKS3_PKS4_PKT1_PKT2_S8_PT3_21rocsparse_index_base_b.private_seg_size, 0
	.set _ZN9rocsparseL30csrmvn_lrb_short_rows_2_kernelIlid21rocsparse_complex_numIdES2_S2_EEvbT_PT0_S5_jNS_24const_host_device_scalarIT4_EEPKS3_PKS4_PKT1_PKT2_S8_PT3_21rocsparse_index_base_b.uses_vcc, 1
	.set _ZN9rocsparseL30csrmvn_lrb_short_rows_2_kernelIlid21rocsparse_complex_numIdES2_S2_EEvbT_PT0_S5_jNS_24const_host_device_scalarIT4_EEPKS3_PKS4_PKT1_PKT2_S8_PT3_21rocsparse_index_base_b.uses_flat_scratch, 0
	.set _ZN9rocsparseL30csrmvn_lrb_short_rows_2_kernelIlid21rocsparse_complex_numIdES2_S2_EEvbT_PT0_S5_jNS_24const_host_device_scalarIT4_EEPKS3_PKS4_PKT1_PKT2_S8_PT3_21rocsparse_index_base_b.has_dyn_sized_stack, 0
	.set _ZN9rocsparseL30csrmvn_lrb_short_rows_2_kernelIlid21rocsparse_complex_numIdES2_S2_EEvbT_PT0_S5_jNS_24const_host_device_scalarIT4_EEPKS3_PKS4_PKT1_PKT2_S8_PT3_21rocsparse_index_base_b.has_recursion, 0
	.set _ZN9rocsparseL30csrmvn_lrb_short_rows_2_kernelIlid21rocsparse_complex_numIdES2_S2_EEvbT_PT0_S5_jNS_24const_host_device_scalarIT4_EEPKS3_PKS4_PKT1_PKT2_S8_PT3_21rocsparse_index_base_b.has_indirect_call, 0
	.section	.AMDGPU.csdata,"",@progbits
; Kernel info:
; codeLenInByte = 1684
; TotalNumSgprs: 23
; NumVgprs: 28
; ScratchSize: 0
; MemoryBound: 0
; FloatMode: 240
; IeeeMode: 1
; LDSByteSize: 16384 bytes/workgroup (compile time only)
; SGPRBlocks: 0
; VGPRBlocks: 1
; NumSGPRsForWavesPerEU: 23
; NumVGPRsForWavesPerEU: 28
; NamedBarCnt: 0
; Occupancy: 16
; WaveLimiterHint : 1
; COMPUTE_PGM_RSRC2:SCRATCH_EN: 0
; COMPUTE_PGM_RSRC2:USER_SGPR: 2
; COMPUTE_PGM_RSRC2:TRAP_HANDLER: 0
; COMPUTE_PGM_RSRC2:TGID_X_EN: 1
; COMPUTE_PGM_RSRC2:TGID_Y_EN: 0
; COMPUTE_PGM_RSRC2:TGID_Z_EN: 0
; COMPUTE_PGM_RSRC2:TIDIG_COMP_CNT: 0
	.section	.text._ZN9rocsparseL41csrmvn_lrb_medium_rows_warp_reduce_kernelILj256ELj32Elid21rocsparse_complex_numIdES2_S2_EEvbT1_lPT2_S5_jNS_24const_host_device_scalarIT6_EEPKS3_PKS4_PKT3_PKT4_S8_PT5_21rocsparse_index_base_b,"axG",@progbits,_ZN9rocsparseL41csrmvn_lrb_medium_rows_warp_reduce_kernelILj256ELj32Elid21rocsparse_complex_numIdES2_S2_EEvbT1_lPT2_S5_jNS_24const_host_device_scalarIT6_EEPKS3_PKS4_PKT3_PKT4_S8_PT5_21rocsparse_index_base_b,comdat
	.globl	_ZN9rocsparseL41csrmvn_lrb_medium_rows_warp_reduce_kernelILj256ELj32Elid21rocsparse_complex_numIdES2_S2_EEvbT1_lPT2_S5_jNS_24const_host_device_scalarIT6_EEPKS3_PKS4_PKT3_PKT4_S8_PT5_21rocsparse_index_base_b ; -- Begin function _ZN9rocsparseL41csrmvn_lrb_medium_rows_warp_reduce_kernelILj256ELj32Elid21rocsparse_complex_numIdES2_S2_EEvbT1_lPT2_S5_jNS_24const_host_device_scalarIT6_EEPKS3_PKS4_PKT3_PKT4_S8_PT5_21rocsparse_index_base_b
	.p2align	8
	.type	_ZN9rocsparseL41csrmvn_lrb_medium_rows_warp_reduce_kernelILj256ELj32Elid21rocsparse_complex_numIdES2_S2_EEvbT1_lPT2_S5_jNS_24const_host_device_scalarIT6_EEPKS3_PKS4_PKT3_PKT4_S8_PT5_21rocsparse_index_base_b,@function
_ZN9rocsparseL41csrmvn_lrb_medium_rows_warp_reduce_kernelILj256ELj32Elid21rocsparse_complex_numIdES2_S2_EEvbT1_lPT2_S5_jNS_24const_host_device_scalarIT6_EEPKS3_PKS4_PKT3_PKT4_S8_PT5_21rocsparse_index_base_b: ; @_ZN9rocsparseL41csrmvn_lrb_medium_rows_warp_reduce_kernelILj256ELj32Elid21rocsparse_complex_numIdES2_S2_EEvbT1_lPT2_S5_jNS_24const_host_device_scalarIT6_EEPKS3_PKS4_PKT3_PKT4_S8_PT5_21rocsparse_index_base_b
; %bb.0:
	s_clause 0x1
	s_load_b64 s[4:5], s[0:1], 0x78
	s_load_b64 s[2:3], s[0:1], 0x30
	v_mov_b32_e32 v1, 0
	s_add_nc_u64 s[6:7], s[0:1], 48
	s_load_b64 s[8:9], s[0:1], 0x60
	s_wait_kmcnt 0x0
	s_bitcmp1_b32 s5, 0
	s_cselect_b32 s3, s7, s3
	s_cselect_b32 s2, s6, s2
	flat_load_b128 v[6:9], v1, s[2:3]
	s_wait_xcnt 0x0
	s_add_nc_u64 s[2:3], s[0:1], 0x60
	s_delay_alu instid0(SALU_CYCLE_1)
	s_cselect_b32 s3, s3, s9
	s_cselect_b32 s2, s2, s8
	flat_load_b128 v[2:5], v1, s[2:3]
	s_wait_loadcnt_dscnt 0x101
	v_cmp_eq_f64_e32 vcc_lo, 0, v[6:7]
	s_wait_xcnt 0x0
	v_cmp_eq_f64_e64 s2, 0, v[8:9]
	s_and_b32 s5, vcc_lo, s2
	s_mov_b32 s2, -1
	s_and_saveexec_b32 s3, s5
	s_cbranch_execz .LBB196_2
; %bb.1:
	s_wait_loadcnt_dscnt 0x0
	v_cmp_neq_f64_e32 vcc_lo, 1.0, v[2:3]
	v_cmp_neq_f64_e64 s2, 0, v[4:5]
	s_or_b32 s2, vcc_lo, s2
	s_delay_alu instid0(SALU_CYCLE_1)
	s_or_not1_b32 s2, s2, exec_lo
.LBB196_2:
	s_or_b32 exec_lo, exec_lo, s3
	s_and_saveexec_b32 s3, s2
	s_cbranch_execz .LBB196_12
; %bb.3:
	s_bfe_u32 s5, ttmp6, 0x4000c
	s_load_b64 s[2:3], s[0:1], 0x10
	s_add_co_i32 s5, s5, 1
	s_and_b32 s6, ttmp6, 15
	s_mul_i32 s5, ttmp9, s5
	s_getreg_b32 s7, hwreg(HW_REG_IB_STS2, 6, 4)
	v_lshrrev_b32_e32 v1, 5, v0
	s_add_co_i32 s6, s6, s5
	s_cmp_eq_u32 s7, 0
	s_cselect_b32 s5, ttmp9, s6
	s_delay_alu instid0(VALU_DEP_1) | instid1(SALU_CYCLE_1)
	v_lshl_or_b32 v10, s5, 3, v1
	s_mov_b32 s5, 0
	s_delay_alu instid0(VALU_DEP_1) | instskip(SKIP_1) | instid1(VALU_DEP_1)
	v_ashrrev_i32_e32 v11, 31, v10
	s_wait_kmcnt 0x0
	v_cmp_gt_i64_e32 vcc_lo, s[2:3], v[10:11]
	s_and_b32 exec_lo, exec_lo, vcc_lo
	s_cbranch_execz .LBB196_12
; %bb.4:
	s_clause 0x1
	s_load_b128 s[8:11], s[0:1], 0x18
	s_load_b32 s2, s[0:1], 0x28
	v_and_b32_e32 v0, 31, v0
	s_wait_kmcnt 0x0
	s_load_b32 s2, s[10:11], s2 offset:0x0 scale_offset
	s_wait_kmcnt 0x0
	v_add_nc_u32_e32 v1, s2, v10
	s_load_b64 s[2:3], s[0:1], 0x40
	global_load_b32 v10, v1, s[8:9] scale_offset
	s_wait_xcnt 0x0
	v_mov_b32_e32 v1, 0
	s_delay_alu instid0(VALU_DEP_1) | instskip(SKIP_3) | instid1(VALU_DEP_1)
	v_sub_nc_u64_e64 v[18:19], v[0:1], s[4:5]
	s_wait_loadcnt 0x0
	v_ashrrev_i32_e32 v11, 31, v10
	s_wait_kmcnt 0x0
	v_lshl_add_u64 v[12:13], v[10:11], 3, s[2:3]
	global_load_b128 v[12:15], v[12:13], off
	s_wait_loadcnt 0x0
	v_sub_nc_u64_e64 v[16:17], v[14:15], s[4:5]
	v_add_nc_u64_e32 v[18:19], v[12:13], v[18:19]
	v_mov_b64_e32 v[12:13], 0
	v_mov_b64_e32 v[14:15], 0
	s_mov_b32 s5, exec_lo
	s_delay_alu instid0(VALU_DEP_3)
	v_cmpx_lt_i64_e64 v[18:19], v[16:17]
	s_cbranch_execz .LBB196_8
; %bb.5:
	v_mul_f64_e32 v[20:21], 0x80000000, v[8:9]
	v_mul_f64_e32 v[22:23], 0, v[6:7]
	s_clause 0x1
	s_load_b128 s[8:11], s[0:1], 0x48
	s_load_b64 s[2:3], s[0:1], 0x58
	v_mov_b64_e32 v[12:13], 0
	v_mov_b64_e32 v[14:15], 0
	s_mov_b32 s6, 0
	s_wait_kmcnt 0x0
	v_lshl_add_u64 v[24:25], v[18:19], 3, s[10:11]
	v_lshl_add_u64 v[26:27], v[18:19], 2, s[8:9]
.LBB196_6:                              ; =>This Inner Loop Header: Depth=1
	global_load_b32 v1, v[26:27], off
	global_load_b64 v[32:33], v[24:25], off
	v_add_nc_u64_e32 v[18:19], 32, v[18:19]
	s_wait_xcnt 0x0
	v_add_nc_u64_e32 v[24:25], 0x100, v[24:25]
	v_add_nc_u64_e32 v[26:27], 0x80, v[26:27]
	s_delay_alu instid0(VALU_DEP_3)
	v_cmp_ge_i64_e32 vcc_lo, v[18:19], v[16:17]
	s_or_b32 s6, vcc_lo, s6
	s_wait_loadcnt 0x1
	v_subrev_nc_u32_e32 v1, s4, v1
	s_wait_loadcnt 0x0
	v_fma_f64 v[34:35], v[6:7], v[32:33], v[20:21]
	v_fma_f64 v[32:33], v[8:9], v[32:33], v[22:23]
	global_load_b128 v[28:31], v1, s[2:3] scale_offset
	s_wait_loadcnt 0x0
	v_fmac_f64_e32 v[14:15], v[34:35], v[28:29]
	v_fmac_f64_e32 v[12:13], v[32:33], v[28:29]
	s_delay_alu instid0(VALU_DEP_2) | instskip(NEXT) | instid1(VALU_DEP_2)
	v_fma_f64 v[14:15], -v[32:33], v[30:31], v[14:15]
	v_fmac_f64_e32 v[12:13], v[34:35], v[30:31]
	s_and_not1_b32 exec_lo, exec_lo, s6
	s_cbranch_execnz .LBB196_6
; %bb.7:
	s_or_b32 exec_lo, exec_lo, s6
.LBB196_8:
	s_delay_alu instid0(SALU_CYCLE_1) | instskip(SKIP_2) | instid1(VALU_DEP_1)
	s_or_b32 exec_lo, exec_lo, s5
	v_mbcnt_lo_u32_b32 v1, -1, 0
	s_load_b64 s[2:3], s[0:1], 0x70
	v_xor_b32_e32 v6, 16, v1
	s_delay_alu instid0(VALU_DEP_1) | instskip(SKIP_1) | instid1(VALU_DEP_1)
	v_cmp_gt_i32_e32 vcc_lo, 32, v6
	v_cndmask_b32_e32 v6, v1, v6, vcc_lo
	v_lshlrev_b32_e32 v9, 2, v6
	ds_bpermute_b32 v6, v9, v14
	ds_bpermute_b32 v7, v9, v15
	;; [unrolled: 1-line block ×4, first 2 shown]
	s_wait_dscnt 0x2
	v_add_f64_e32 v[6:7], v[14:15], v[6:7]
	s_wait_dscnt 0x0
	v_add_f64_e32 v[8:9], v[12:13], v[8:9]
	v_xor_b32_e32 v12, 8, v1
	s_delay_alu instid0(VALU_DEP_1) | instskip(SKIP_1) | instid1(VALU_DEP_1)
	v_cmp_gt_i32_e32 vcc_lo, 32, v12
	v_cndmask_b32_e32 v12, v1, v12, vcc_lo
	v_lshlrev_b32_e32 v15, 2, v12
	ds_bpermute_b32 v12, v15, v6
	ds_bpermute_b32 v13, v15, v7
	;; [unrolled: 1-line block ×4, first 2 shown]
	s_wait_dscnt 0x2
	v_add_f64_e32 v[6:7], v[6:7], v[12:13]
	v_xor_b32_e32 v12, 4, v1
	s_delay_alu instid0(VALU_DEP_1) | instskip(SKIP_2) | instid1(VALU_DEP_1)
	v_cmp_gt_i32_e32 vcc_lo, 32, v12
	v_cndmask_b32_e32 v12, v1, v12, vcc_lo
	s_wait_dscnt 0x0
	v_dual_add_f64 v[8:9], v[8:9], v[14:15] :: v_dual_lshlrev_b32 v15, 2, v12
	ds_bpermute_b32 v12, v15, v6
	ds_bpermute_b32 v13, v15, v7
	;; [unrolled: 1-line block ×4, first 2 shown]
	s_wait_dscnt 0x2
	v_add_f64_e32 v[6:7], v[6:7], v[12:13]
	v_xor_b32_e32 v12, 2, v1
	s_delay_alu instid0(VALU_DEP_1) | instskip(SKIP_2) | instid1(VALU_DEP_1)
	v_cmp_gt_i32_e32 vcc_lo, 32, v12
	v_cndmask_b32_e32 v12, v1, v12, vcc_lo
	s_wait_dscnt 0x0
	v_dual_add_f64 v[8:9], v[8:9], v[14:15] :: v_dual_lshlrev_b32 v15, 2, v12
	ds_bpermute_b32 v12, v15, v6
	ds_bpermute_b32 v13, v15, v7
	s_wait_dscnt 0x0
	v_add_f64_e32 v[6:7], v[6:7], v[12:13]
	v_xor_b32_e32 v12, 1, v1
	ds_bpermute_b32 v14, v15, v8
	ds_bpermute_b32 v15, v15, v9
	v_cmp_gt_i32_e32 vcc_lo, 32, v12
	v_cndmask_b32_e32 v1, v1, v12, vcc_lo
	v_cmp_eq_u32_e32 vcc_lo, 31, v0
	s_wait_dscnt 0x0
	s_delay_alu instid0(VALU_DEP_2)
	v_dual_add_f64 v[8:9], v[8:9], v[14:15] :: v_dual_lshlrev_b32 v1, 2, v1
	ds_bpermute_b32 v12, v1, v6
	ds_bpermute_b32 v13, v1, v7
	;; [unrolled: 1-line block ×4, first 2 shown]
	s_and_b32 exec_lo, exec_lo, vcc_lo
	s_cbranch_execz .LBB196_12
; %bb.9:
	v_cmp_neq_f64_e32 vcc_lo, 0, v[2:3]
	s_wait_xcnt 0x0
	v_cmp_neq_f64_e64 s0, 0, v[4:5]
	s_wait_dscnt 0x2
	v_add_f64_e32 v[6:7], v[6:7], v[12:13]
	s_wait_dscnt 0x0
	v_add_f64_e32 v[8:9], v[8:9], v[14:15]
	s_wait_kmcnt 0x0
	v_lshl_add_u64 v[0:1], v[10:11], 4, s[2:3]
	s_or_b32 s1, vcc_lo, s0
	s_delay_alu instid0(SALU_CYCLE_1)
	s_and_saveexec_b32 s0, s1
	s_cbranch_execz .LBB196_11
; %bb.10:
	global_load_b128 v[10:13], v[0:1], off
	s_wait_loadcnt 0x0
	v_fmac_f64_e32 v[6:7], v[2:3], v[10:11]
	v_fmac_f64_e32 v[8:9], v[4:5], v[10:11]
	s_delay_alu instid0(VALU_DEP_2) | instskip(NEXT) | instid1(VALU_DEP_2)
	v_fma_f64 v[6:7], -v[4:5], v[12:13], v[6:7]
	v_fmac_f64_e32 v[8:9], v[2:3], v[12:13]
.LBB196_11:
	s_or_b32 exec_lo, exec_lo, s0
	global_store_b128 v[0:1], v[6:9], off
.LBB196_12:
	s_endpgm
	.section	.rodata,"a",@progbits
	.p2align	6, 0x0
	.amdhsa_kernel _ZN9rocsparseL41csrmvn_lrb_medium_rows_warp_reduce_kernelILj256ELj32Elid21rocsparse_complex_numIdES2_S2_EEvbT1_lPT2_S5_jNS_24const_host_device_scalarIT6_EEPKS3_PKS4_PKT3_PKT4_S8_PT5_21rocsparse_index_base_b
		.amdhsa_group_segment_fixed_size 0
		.amdhsa_private_segment_fixed_size 0
		.amdhsa_kernarg_size 128
		.amdhsa_user_sgpr_count 2
		.amdhsa_user_sgpr_dispatch_ptr 0
		.amdhsa_user_sgpr_queue_ptr 0
		.amdhsa_user_sgpr_kernarg_segment_ptr 1
		.amdhsa_user_sgpr_dispatch_id 0
		.amdhsa_user_sgpr_kernarg_preload_length 0
		.amdhsa_user_sgpr_kernarg_preload_offset 0
		.amdhsa_user_sgpr_private_segment_size 0
		.amdhsa_wavefront_size32 1
		.amdhsa_uses_dynamic_stack 0
		.amdhsa_enable_private_segment 0
		.amdhsa_system_sgpr_workgroup_id_x 1
		.amdhsa_system_sgpr_workgroup_id_y 0
		.amdhsa_system_sgpr_workgroup_id_z 0
		.amdhsa_system_sgpr_workgroup_info 0
		.amdhsa_system_vgpr_workitem_id 0
		.amdhsa_next_free_vgpr 36
		.amdhsa_next_free_sgpr 12
		.amdhsa_named_barrier_count 0
		.amdhsa_reserve_vcc 1
		.amdhsa_float_round_mode_32 0
		.amdhsa_float_round_mode_16_64 0
		.amdhsa_float_denorm_mode_32 3
		.amdhsa_float_denorm_mode_16_64 3
		.amdhsa_fp16_overflow 0
		.amdhsa_memory_ordered 1
		.amdhsa_forward_progress 1
		.amdhsa_inst_pref_size 9
		.amdhsa_round_robin_scheduling 0
		.amdhsa_exception_fp_ieee_invalid_op 0
		.amdhsa_exception_fp_denorm_src 0
		.amdhsa_exception_fp_ieee_div_zero 0
		.amdhsa_exception_fp_ieee_overflow 0
		.amdhsa_exception_fp_ieee_underflow 0
		.amdhsa_exception_fp_ieee_inexact 0
		.amdhsa_exception_int_div_zero 0
	.end_amdhsa_kernel
	.section	.text._ZN9rocsparseL41csrmvn_lrb_medium_rows_warp_reduce_kernelILj256ELj32Elid21rocsparse_complex_numIdES2_S2_EEvbT1_lPT2_S5_jNS_24const_host_device_scalarIT6_EEPKS3_PKS4_PKT3_PKT4_S8_PT5_21rocsparse_index_base_b,"axG",@progbits,_ZN9rocsparseL41csrmvn_lrb_medium_rows_warp_reduce_kernelILj256ELj32Elid21rocsparse_complex_numIdES2_S2_EEvbT1_lPT2_S5_jNS_24const_host_device_scalarIT6_EEPKS3_PKS4_PKT3_PKT4_S8_PT5_21rocsparse_index_base_b,comdat
.Lfunc_end196:
	.size	_ZN9rocsparseL41csrmvn_lrb_medium_rows_warp_reduce_kernelILj256ELj32Elid21rocsparse_complex_numIdES2_S2_EEvbT1_lPT2_S5_jNS_24const_host_device_scalarIT6_EEPKS3_PKS4_PKT3_PKT4_S8_PT5_21rocsparse_index_base_b, .Lfunc_end196-_ZN9rocsparseL41csrmvn_lrb_medium_rows_warp_reduce_kernelILj256ELj32Elid21rocsparse_complex_numIdES2_S2_EEvbT1_lPT2_S5_jNS_24const_host_device_scalarIT6_EEPKS3_PKS4_PKT3_PKT4_S8_PT5_21rocsparse_index_base_b
                                        ; -- End function
	.set _ZN9rocsparseL41csrmvn_lrb_medium_rows_warp_reduce_kernelILj256ELj32Elid21rocsparse_complex_numIdES2_S2_EEvbT1_lPT2_S5_jNS_24const_host_device_scalarIT6_EEPKS3_PKS4_PKT3_PKT4_S8_PT5_21rocsparse_index_base_b.num_vgpr, 36
	.set _ZN9rocsparseL41csrmvn_lrb_medium_rows_warp_reduce_kernelILj256ELj32Elid21rocsparse_complex_numIdES2_S2_EEvbT1_lPT2_S5_jNS_24const_host_device_scalarIT6_EEPKS3_PKS4_PKT3_PKT4_S8_PT5_21rocsparse_index_base_b.num_agpr, 0
	.set _ZN9rocsparseL41csrmvn_lrb_medium_rows_warp_reduce_kernelILj256ELj32Elid21rocsparse_complex_numIdES2_S2_EEvbT1_lPT2_S5_jNS_24const_host_device_scalarIT6_EEPKS3_PKS4_PKT3_PKT4_S8_PT5_21rocsparse_index_base_b.numbered_sgpr, 12
	.set _ZN9rocsparseL41csrmvn_lrb_medium_rows_warp_reduce_kernelILj256ELj32Elid21rocsparse_complex_numIdES2_S2_EEvbT1_lPT2_S5_jNS_24const_host_device_scalarIT6_EEPKS3_PKS4_PKT3_PKT4_S8_PT5_21rocsparse_index_base_b.num_named_barrier, 0
	.set _ZN9rocsparseL41csrmvn_lrb_medium_rows_warp_reduce_kernelILj256ELj32Elid21rocsparse_complex_numIdES2_S2_EEvbT1_lPT2_S5_jNS_24const_host_device_scalarIT6_EEPKS3_PKS4_PKT3_PKT4_S8_PT5_21rocsparse_index_base_b.private_seg_size, 0
	.set _ZN9rocsparseL41csrmvn_lrb_medium_rows_warp_reduce_kernelILj256ELj32Elid21rocsparse_complex_numIdES2_S2_EEvbT1_lPT2_S5_jNS_24const_host_device_scalarIT6_EEPKS3_PKS4_PKT3_PKT4_S8_PT5_21rocsparse_index_base_b.uses_vcc, 1
	.set _ZN9rocsparseL41csrmvn_lrb_medium_rows_warp_reduce_kernelILj256ELj32Elid21rocsparse_complex_numIdES2_S2_EEvbT1_lPT2_S5_jNS_24const_host_device_scalarIT6_EEPKS3_PKS4_PKT3_PKT4_S8_PT5_21rocsparse_index_base_b.uses_flat_scratch, 0
	.set _ZN9rocsparseL41csrmvn_lrb_medium_rows_warp_reduce_kernelILj256ELj32Elid21rocsparse_complex_numIdES2_S2_EEvbT1_lPT2_S5_jNS_24const_host_device_scalarIT6_EEPKS3_PKS4_PKT3_PKT4_S8_PT5_21rocsparse_index_base_b.has_dyn_sized_stack, 0
	.set _ZN9rocsparseL41csrmvn_lrb_medium_rows_warp_reduce_kernelILj256ELj32Elid21rocsparse_complex_numIdES2_S2_EEvbT1_lPT2_S5_jNS_24const_host_device_scalarIT6_EEPKS3_PKS4_PKT3_PKT4_S8_PT5_21rocsparse_index_base_b.has_recursion, 0
	.set _ZN9rocsparseL41csrmvn_lrb_medium_rows_warp_reduce_kernelILj256ELj32Elid21rocsparse_complex_numIdES2_S2_EEvbT1_lPT2_S5_jNS_24const_host_device_scalarIT6_EEPKS3_PKS4_PKT3_PKT4_S8_PT5_21rocsparse_index_base_b.has_indirect_call, 0
	.section	.AMDGPU.csdata,"",@progbits
; Kernel info:
; codeLenInByte = 1120
; TotalNumSgprs: 14
; NumVgprs: 36
; ScratchSize: 0
; MemoryBound: 0
; FloatMode: 240
; IeeeMode: 1
; LDSByteSize: 0 bytes/workgroup (compile time only)
; SGPRBlocks: 0
; VGPRBlocks: 2
; NumSGPRsForWavesPerEU: 14
; NumVGPRsForWavesPerEU: 36
; NamedBarCnt: 0
; Occupancy: 16
; WaveLimiterHint : 1
; COMPUTE_PGM_RSRC2:SCRATCH_EN: 0
; COMPUTE_PGM_RSRC2:USER_SGPR: 2
; COMPUTE_PGM_RSRC2:TRAP_HANDLER: 0
; COMPUTE_PGM_RSRC2:TGID_X_EN: 1
; COMPUTE_PGM_RSRC2:TGID_Y_EN: 0
; COMPUTE_PGM_RSRC2:TGID_Z_EN: 0
; COMPUTE_PGM_RSRC2:TIDIG_COMP_CNT: 0
	.section	.text._ZN9rocsparseL41csrmvn_lrb_medium_rows_warp_reduce_kernelILj256ELj64Elid21rocsparse_complex_numIdES2_S2_EEvbT1_lPT2_S5_jNS_24const_host_device_scalarIT6_EEPKS3_PKS4_PKT3_PKT4_S8_PT5_21rocsparse_index_base_b,"axG",@progbits,_ZN9rocsparseL41csrmvn_lrb_medium_rows_warp_reduce_kernelILj256ELj64Elid21rocsparse_complex_numIdES2_S2_EEvbT1_lPT2_S5_jNS_24const_host_device_scalarIT6_EEPKS3_PKS4_PKT3_PKT4_S8_PT5_21rocsparse_index_base_b,comdat
	.globl	_ZN9rocsparseL41csrmvn_lrb_medium_rows_warp_reduce_kernelILj256ELj64Elid21rocsparse_complex_numIdES2_S2_EEvbT1_lPT2_S5_jNS_24const_host_device_scalarIT6_EEPKS3_PKS4_PKT3_PKT4_S8_PT5_21rocsparse_index_base_b ; -- Begin function _ZN9rocsparseL41csrmvn_lrb_medium_rows_warp_reduce_kernelILj256ELj64Elid21rocsparse_complex_numIdES2_S2_EEvbT1_lPT2_S5_jNS_24const_host_device_scalarIT6_EEPKS3_PKS4_PKT3_PKT4_S8_PT5_21rocsparse_index_base_b
	.p2align	8
	.type	_ZN9rocsparseL41csrmvn_lrb_medium_rows_warp_reduce_kernelILj256ELj64Elid21rocsparse_complex_numIdES2_S2_EEvbT1_lPT2_S5_jNS_24const_host_device_scalarIT6_EEPKS3_PKS4_PKT3_PKT4_S8_PT5_21rocsparse_index_base_b,@function
_ZN9rocsparseL41csrmvn_lrb_medium_rows_warp_reduce_kernelILj256ELj64Elid21rocsparse_complex_numIdES2_S2_EEvbT1_lPT2_S5_jNS_24const_host_device_scalarIT6_EEPKS3_PKS4_PKT3_PKT4_S8_PT5_21rocsparse_index_base_b: ; @_ZN9rocsparseL41csrmvn_lrb_medium_rows_warp_reduce_kernelILj256ELj64Elid21rocsparse_complex_numIdES2_S2_EEvbT1_lPT2_S5_jNS_24const_host_device_scalarIT6_EEPKS3_PKS4_PKT3_PKT4_S8_PT5_21rocsparse_index_base_b
; %bb.0:
	s_clause 0x1
	s_load_b64 s[4:5], s[0:1], 0x78
	s_load_b64 s[2:3], s[0:1], 0x30
	v_mov_b32_e32 v1, 0
	s_add_nc_u64 s[6:7], s[0:1], 48
	s_load_b64 s[8:9], s[0:1], 0x60
	s_wait_kmcnt 0x0
	s_bitcmp1_b32 s5, 0
	s_cselect_b32 s3, s7, s3
	s_cselect_b32 s2, s6, s2
	flat_load_b128 v[6:9], v1, s[2:3]
	s_wait_xcnt 0x0
	s_add_nc_u64 s[2:3], s[0:1], 0x60
	s_delay_alu instid0(SALU_CYCLE_1)
	s_cselect_b32 s3, s3, s9
	s_cselect_b32 s2, s2, s8
	flat_load_b128 v[2:5], v1, s[2:3]
	s_wait_loadcnt_dscnt 0x101
	v_cmp_eq_f64_e32 vcc_lo, 0, v[6:7]
	s_wait_xcnt 0x0
	v_cmp_eq_f64_e64 s2, 0, v[8:9]
	s_and_b32 s5, vcc_lo, s2
	s_mov_b32 s2, -1
	s_and_saveexec_b32 s3, s5
	s_cbranch_execz .LBB197_2
; %bb.1:
	s_wait_loadcnt_dscnt 0x0
	v_cmp_neq_f64_e32 vcc_lo, 1.0, v[2:3]
	v_cmp_neq_f64_e64 s2, 0, v[4:5]
	s_or_b32 s2, vcc_lo, s2
	s_delay_alu instid0(SALU_CYCLE_1)
	s_or_not1_b32 s2, s2, exec_lo
.LBB197_2:
	s_or_b32 exec_lo, exec_lo, s3
	s_and_saveexec_b32 s3, s2
	s_cbranch_execz .LBB197_12
; %bb.3:
	s_bfe_u32 s5, ttmp6, 0x4000c
	s_load_b64 s[2:3], s[0:1], 0x10
	s_add_co_i32 s5, s5, 1
	s_and_b32 s6, ttmp6, 15
	s_mul_i32 s5, ttmp9, s5
	s_getreg_b32 s7, hwreg(HW_REG_IB_STS2, 6, 4)
	v_lshrrev_b32_e32 v1, 6, v0
	s_add_co_i32 s6, s6, s5
	s_cmp_eq_u32 s7, 0
	s_cselect_b32 s5, ttmp9, s6
	s_delay_alu instid0(VALU_DEP_1) | instid1(SALU_CYCLE_1)
	v_lshl_or_b32 v10, s5, 2, v1
	s_mov_b32 s5, 0
	s_delay_alu instid0(VALU_DEP_1) | instskip(SKIP_1) | instid1(VALU_DEP_1)
	v_ashrrev_i32_e32 v11, 31, v10
	s_wait_kmcnt 0x0
	v_cmp_gt_i64_e32 vcc_lo, s[2:3], v[10:11]
	s_and_b32 exec_lo, exec_lo, vcc_lo
	s_cbranch_execz .LBB197_12
; %bb.4:
	s_clause 0x1
	s_load_b128 s[8:11], s[0:1], 0x18
	s_load_b32 s2, s[0:1], 0x28
	v_and_b32_e32 v0, 63, v0
	s_wait_kmcnt 0x0
	s_load_b32 s2, s[10:11], s2 offset:0x0 scale_offset
	s_wait_kmcnt 0x0
	v_add_nc_u32_e32 v1, s2, v10
	s_load_b64 s[2:3], s[0:1], 0x40
	global_load_b32 v10, v1, s[8:9] scale_offset
	s_wait_xcnt 0x0
	v_mov_b32_e32 v1, 0
	s_delay_alu instid0(VALU_DEP_1) | instskip(SKIP_3) | instid1(VALU_DEP_1)
	v_sub_nc_u64_e64 v[18:19], v[0:1], s[4:5]
	s_wait_loadcnt 0x0
	v_ashrrev_i32_e32 v11, 31, v10
	s_wait_kmcnt 0x0
	v_lshl_add_u64 v[12:13], v[10:11], 3, s[2:3]
	global_load_b128 v[12:15], v[12:13], off
	s_wait_loadcnt 0x0
	v_sub_nc_u64_e64 v[16:17], v[14:15], s[4:5]
	v_add_nc_u64_e32 v[18:19], v[12:13], v[18:19]
	v_mov_b64_e32 v[12:13], 0
	v_mov_b64_e32 v[14:15], 0
	s_mov_b32 s5, exec_lo
	s_delay_alu instid0(VALU_DEP_3)
	v_cmpx_lt_i64_e64 v[18:19], v[16:17]
	s_cbranch_execz .LBB197_8
; %bb.5:
	v_mul_f64_e32 v[20:21], 0x80000000, v[8:9]
	v_mul_f64_e32 v[22:23], 0, v[6:7]
	s_clause 0x1
	s_load_b128 s[8:11], s[0:1], 0x48
	s_load_b64 s[2:3], s[0:1], 0x58
	v_mov_b64_e32 v[12:13], 0
	v_mov_b64_e32 v[14:15], 0
	s_mov_b32 s6, 0
	s_wait_kmcnt 0x0
	v_lshl_add_u64 v[24:25], v[18:19], 3, s[10:11]
	v_lshl_add_u64 v[26:27], v[18:19], 2, s[8:9]
.LBB197_6:                              ; =>This Inner Loop Header: Depth=1
	global_load_b32 v1, v[26:27], off
	global_load_b64 v[32:33], v[24:25], off
	v_add_nc_u64_e32 v[18:19], 64, v[18:19]
	s_wait_xcnt 0x0
	v_add_nc_u64_e32 v[24:25], 0x200, v[24:25]
	v_add_nc_u64_e32 v[26:27], 0x100, v[26:27]
	s_delay_alu instid0(VALU_DEP_3)
	v_cmp_ge_i64_e32 vcc_lo, v[18:19], v[16:17]
	s_or_b32 s6, vcc_lo, s6
	s_wait_loadcnt 0x1
	v_subrev_nc_u32_e32 v1, s4, v1
	s_wait_loadcnt 0x0
	v_fma_f64 v[34:35], v[6:7], v[32:33], v[20:21]
	v_fma_f64 v[32:33], v[8:9], v[32:33], v[22:23]
	global_load_b128 v[28:31], v1, s[2:3] scale_offset
	s_wait_loadcnt 0x0
	v_fmac_f64_e32 v[14:15], v[34:35], v[28:29]
	v_fmac_f64_e32 v[12:13], v[32:33], v[28:29]
	s_delay_alu instid0(VALU_DEP_2) | instskip(NEXT) | instid1(VALU_DEP_2)
	v_fma_f64 v[14:15], -v[32:33], v[30:31], v[14:15]
	v_fmac_f64_e32 v[12:13], v[34:35], v[30:31]
	s_and_not1_b32 exec_lo, exec_lo, s6
	s_cbranch_execnz .LBB197_6
; %bb.7:
	s_or_b32 exec_lo, exec_lo, s6
.LBB197_8:
	s_delay_alu instid0(SALU_CYCLE_1) | instskip(SKIP_2) | instid1(VALU_DEP_1)
	s_or_b32 exec_lo, exec_lo, s5
	v_mbcnt_lo_u32_b32 v1, -1, 0
	s_load_b64 s[2:3], s[0:1], 0x70
	v_or_b32_e32 v6, 32, v1
	s_delay_alu instid0(VALU_DEP_1) | instskip(SKIP_1) | instid1(VALU_DEP_1)
	v_cmp_gt_i32_e32 vcc_lo, 32, v6
	v_cndmask_b32_e32 v6, v1, v6, vcc_lo
	v_lshlrev_b32_e32 v9, 2, v6
	ds_bpermute_b32 v6, v9, v14
	ds_bpermute_b32 v7, v9, v15
	;; [unrolled: 1-line block ×4, first 2 shown]
	s_wait_dscnt 0x2
	v_add_f64_e32 v[6:7], v[14:15], v[6:7]
	s_wait_dscnt 0x0
	v_add_f64_e32 v[8:9], v[12:13], v[8:9]
	v_xor_b32_e32 v12, 16, v1
	s_delay_alu instid0(VALU_DEP_1) | instskip(SKIP_1) | instid1(VALU_DEP_1)
	v_cmp_gt_i32_e32 vcc_lo, 32, v12
	v_cndmask_b32_e32 v12, v1, v12, vcc_lo
	v_lshlrev_b32_e32 v15, 2, v12
	ds_bpermute_b32 v12, v15, v6
	ds_bpermute_b32 v13, v15, v7
	;; [unrolled: 1-line block ×4, first 2 shown]
	s_wait_dscnt 0x2
	v_add_f64_e32 v[6:7], v[6:7], v[12:13]
	v_xor_b32_e32 v12, 8, v1
	s_delay_alu instid0(VALU_DEP_1) | instskip(SKIP_2) | instid1(VALU_DEP_1)
	v_cmp_gt_i32_e32 vcc_lo, 32, v12
	v_cndmask_b32_e32 v12, v1, v12, vcc_lo
	s_wait_dscnt 0x0
	v_dual_add_f64 v[8:9], v[8:9], v[14:15] :: v_dual_lshlrev_b32 v15, 2, v12
	ds_bpermute_b32 v12, v15, v6
	ds_bpermute_b32 v13, v15, v7
	;; [unrolled: 1-line block ×4, first 2 shown]
	s_wait_dscnt 0x2
	v_add_f64_e32 v[6:7], v[6:7], v[12:13]
	v_xor_b32_e32 v12, 4, v1
	s_delay_alu instid0(VALU_DEP_1) | instskip(SKIP_2) | instid1(VALU_DEP_1)
	v_cmp_gt_i32_e32 vcc_lo, 32, v12
	v_cndmask_b32_e32 v12, v1, v12, vcc_lo
	s_wait_dscnt 0x0
	v_dual_add_f64 v[8:9], v[8:9], v[14:15] :: v_dual_lshlrev_b32 v15, 2, v12
	ds_bpermute_b32 v12, v15, v6
	ds_bpermute_b32 v13, v15, v7
	s_wait_dscnt 0x0
	v_add_f64_e32 v[6:7], v[6:7], v[12:13]
	v_xor_b32_e32 v12, 2, v1
	ds_bpermute_b32 v14, v15, v8
	ds_bpermute_b32 v15, v15, v9
	v_cmp_gt_i32_e32 vcc_lo, 32, v12
	v_cndmask_b32_e32 v12, v1, v12, vcc_lo
	s_wait_dscnt 0x0
	s_delay_alu instid0(VALU_DEP_1)
	v_dual_add_f64 v[8:9], v[8:9], v[14:15] :: v_dual_lshlrev_b32 v15, 2, v12
	ds_bpermute_b32 v12, v15, v6
	ds_bpermute_b32 v13, v15, v7
	s_wait_dscnt 0x0
	v_add_f64_e32 v[6:7], v[6:7], v[12:13]
	v_xor_b32_e32 v12, 1, v1
	ds_bpermute_b32 v14, v15, v8
	ds_bpermute_b32 v15, v15, v9
	v_cmp_gt_i32_e32 vcc_lo, 32, v12
	v_cndmask_b32_e32 v1, v1, v12, vcc_lo
	v_cmp_eq_u32_e32 vcc_lo, 63, v0
	s_wait_dscnt 0x0
	s_delay_alu instid0(VALU_DEP_2)
	v_dual_add_f64 v[8:9], v[8:9], v[14:15] :: v_dual_lshlrev_b32 v1, 2, v1
	ds_bpermute_b32 v12, v1, v6
	ds_bpermute_b32 v13, v1, v7
	;; [unrolled: 1-line block ×4, first 2 shown]
	s_and_b32 exec_lo, exec_lo, vcc_lo
	s_cbranch_execz .LBB197_12
; %bb.9:
	v_cmp_neq_f64_e32 vcc_lo, 0, v[2:3]
	s_wait_xcnt 0x0
	v_cmp_neq_f64_e64 s0, 0, v[4:5]
	s_wait_dscnt 0x2
	v_add_f64_e32 v[6:7], v[6:7], v[12:13]
	s_wait_dscnt 0x0
	v_add_f64_e32 v[8:9], v[8:9], v[14:15]
	s_wait_kmcnt 0x0
	v_lshl_add_u64 v[0:1], v[10:11], 4, s[2:3]
	s_or_b32 s1, vcc_lo, s0
	s_delay_alu instid0(SALU_CYCLE_1)
	s_and_saveexec_b32 s0, s1
	s_cbranch_execz .LBB197_11
; %bb.10:
	global_load_b128 v[10:13], v[0:1], off
	s_wait_loadcnt 0x0
	v_fmac_f64_e32 v[6:7], v[2:3], v[10:11]
	v_fmac_f64_e32 v[8:9], v[4:5], v[10:11]
	s_delay_alu instid0(VALU_DEP_2) | instskip(NEXT) | instid1(VALU_DEP_2)
	v_fma_f64 v[6:7], -v[4:5], v[12:13], v[6:7]
	v_fmac_f64_e32 v[8:9], v[2:3], v[12:13]
.LBB197_11:
	s_or_b32 exec_lo, exec_lo, s0
	global_store_b128 v[0:1], v[6:9], off
.LBB197_12:
	s_endpgm
	.section	.rodata,"a",@progbits
	.p2align	6, 0x0
	.amdhsa_kernel _ZN9rocsparseL41csrmvn_lrb_medium_rows_warp_reduce_kernelILj256ELj64Elid21rocsparse_complex_numIdES2_S2_EEvbT1_lPT2_S5_jNS_24const_host_device_scalarIT6_EEPKS3_PKS4_PKT3_PKT4_S8_PT5_21rocsparse_index_base_b
		.amdhsa_group_segment_fixed_size 0
		.amdhsa_private_segment_fixed_size 0
		.amdhsa_kernarg_size 128
		.amdhsa_user_sgpr_count 2
		.amdhsa_user_sgpr_dispatch_ptr 0
		.amdhsa_user_sgpr_queue_ptr 0
		.amdhsa_user_sgpr_kernarg_segment_ptr 1
		.amdhsa_user_sgpr_dispatch_id 0
		.amdhsa_user_sgpr_kernarg_preload_length 0
		.amdhsa_user_sgpr_kernarg_preload_offset 0
		.amdhsa_user_sgpr_private_segment_size 0
		.amdhsa_wavefront_size32 1
		.amdhsa_uses_dynamic_stack 0
		.amdhsa_enable_private_segment 0
		.amdhsa_system_sgpr_workgroup_id_x 1
		.amdhsa_system_sgpr_workgroup_id_y 0
		.amdhsa_system_sgpr_workgroup_id_z 0
		.amdhsa_system_sgpr_workgroup_info 0
		.amdhsa_system_vgpr_workitem_id 0
		.amdhsa_next_free_vgpr 36
		.amdhsa_next_free_sgpr 12
		.amdhsa_named_barrier_count 0
		.amdhsa_reserve_vcc 1
		.amdhsa_float_round_mode_32 0
		.amdhsa_float_round_mode_16_64 0
		.amdhsa_float_denorm_mode_32 3
		.amdhsa_float_denorm_mode_16_64 3
		.amdhsa_fp16_overflow 0
		.amdhsa_memory_ordered 1
		.amdhsa_forward_progress 1
		.amdhsa_inst_pref_size 10
		.amdhsa_round_robin_scheduling 0
		.amdhsa_exception_fp_ieee_invalid_op 0
		.amdhsa_exception_fp_denorm_src 0
		.amdhsa_exception_fp_ieee_div_zero 0
		.amdhsa_exception_fp_ieee_overflow 0
		.amdhsa_exception_fp_ieee_underflow 0
		.amdhsa_exception_fp_ieee_inexact 0
		.amdhsa_exception_int_div_zero 0
	.end_amdhsa_kernel
	.section	.text._ZN9rocsparseL41csrmvn_lrb_medium_rows_warp_reduce_kernelILj256ELj64Elid21rocsparse_complex_numIdES2_S2_EEvbT1_lPT2_S5_jNS_24const_host_device_scalarIT6_EEPKS3_PKS4_PKT3_PKT4_S8_PT5_21rocsparse_index_base_b,"axG",@progbits,_ZN9rocsparseL41csrmvn_lrb_medium_rows_warp_reduce_kernelILj256ELj64Elid21rocsparse_complex_numIdES2_S2_EEvbT1_lPT2_S5_jNS_24const_host_device_scalarIT6_EEPKS3_PKS4_PKT3_PKT4_S8_PT5_21rocsparse_index_base_b,comdat
.Lfunc_end197:
	.size	_ZN9rocsparseL41csrmvn_lrb_medium_rows_warp_reduce_kernelILj256ELj64Elid21rocsparse_complex_numIdES2_S2_EEvbT1_lPT2_S5_jNS_24const_host_device_scalarIT6_EEPKS3_PKS4_PKT3_PKT4_S8_PT5_21rocsparse_index_base_b, .Lfunc_end197-_ZN9rocsparseL41csrmvn_lrb_medium_rows_warp_reduce_kernelILj256ELj64Elid21rocsparse_complex_numIdES2_S2_EEvbT1_lPT2_S5_jNS_24const_host_device_scalarIT6_EEPKS3_PKS4_PKT3_PKT4_S8_PT5_21rocsparse_index_base_b
                                        ; -- End function
	.set _ZN9rocsparseL41csrmvn_lrb_medium_rows_warp_reduce_kernelILj256ELj64Elid21rocsparse_complex_numIdES2_S2_EEvbT1_lPT2_S5_jNS_24const_host_device_scalarIT6_EEPKS3_PKS4_PKT3_PKT4_S8_PT5_21rocsparse_index_base_b.num_vgpr, 36
	.set _ZN9rocsparseL41csrmvn_lrb_medium_rows_warp_reduce_kernelILj256ELj64Elid21rocsparse_complex_numIdES2_S2_EEvbT1_lPT2_S5_jNS_24const_host_device_scalarIT6_EEPKS3_PKS4_PKT3_PKT4_S8_PT5_21rocsparse_index_base_b.num_agpr, 0
	.set _ZN9rocsparseL41csrmvn_lrb_medium_rows_warp_reduce_kernelILj256ELj64Elid21rocsparse_complex_numIdES2_S2_EEvbT1_lPT2_S5_jNS_24const_host_device_scalarIT6_EEPKS3_PKS4_PKT3_PKT4_S8_PT5_21rocsparse_index_base_b.numbered_sgpr, 12
	.set _ZN9rocsparseL41csrmvn_lrb_medium_rows_warp_reduce_kernelILj256ELj64Elid21rocsparse_complex_numIdES2_S2_EEvbT1_lPT2_S5_jNS_24const_host_device_scalarIT6_EEPKS3_PKS4_PKT3_PKT4_S8_PT5_21rocsparse_index_base_b.num_named_barrier, 0
	.set _ZN9rocsparseL41csrmvn_lrb_medium_rows_warp_reduce_kernelILj256ELj64Elid21rocsparse_complex_numIdES2_S2_EEvbT1_lPT2_S5_jNS_24const_host_device_scalarIT6_EEPKS3_PKS4_PKT3_PKT4_S8_PT5_21rocsparse_index_base_b.private_seg_size, 0
	.set _ZN9rocsparseL41csrmvn_lrb_medium_rows_warp_reduce_kernelILj256ELj64Elid21rocsparse_complex_numIdES2_S2_EEvbT1_lPT2_S5_jNS_24const_host_device_scalarIT6_EEPKS3_PKS4_PKT3_PKT4_S8_PT5_21rocsparse_index_base_b.uses_vcc, 1
	.set _ZN9rocsparseL41csrmvn_lrb_medium_rows_warp_reduce_kernelILj256ELj64Elid21rocsparse_complex_numIdES2_S2_EEvbT1_lPT2_S5_jNS_24const_host_device_scalarIT6_EEPKS3_PKS4_PKT3_PKT4_S8_PT5_21rocsparse_index_base_b.uses_flat_scratch, 0
	.set _ZN9rocsparseL41csrmvn_lrb_medium_rows_warp_reduce_kernelILj256ELj64Elid21rocsparse_complex_numIdES2_S2_EEvbT1_lPT2_S5_jNS_24const_host_device_scalarIT6_EEPKS3_PKS4_PKT3_PKT4_S8_PT5_21rocsparse_index_base_b.has_dyn_sized_stack, 0
	.set _ZN9rocsparseL41csrmvn_lrb_medium_rows_warp_reduce_kernelILj256ELj64Elid21rocsparse_complex_numIdES2_S2_EEvbT1_lPT2_S5_jNS_24const_host_device_scalarIT6_EEPKS3_PKS4_PKT3_PKT4_S8_PT5_21rocsparse_index_base_b.has_recursion, 0
	.set _ZN9rocsparseL41csrmvn_lrb_medium_rows_warp_reduce_kernelILj256ELj64Elid21rocsparse_complex_numIdES2_S2_EEvbT1_lPT2_S5_jNS_24const_host_device_scalarIT6_EEPKS3_PKS4_PKT3_PKT4_S8_PT5_21rocsparse_index_base_b.has_indirect_call, 0
	.section	.AMDGPU.csdata,"",@progbits
; Kernel info:
; codeLenInByte = 1192
; TotalNumSgprs: 14
; NumVgprs: 36
; ScratchSize: 0
; MemoryBound: 0
; FloatMode: 240
; IeeeMode: 1
; LDSByteSize: 0 bytes/workgroup (compile time only)
; SGPRBlocks: 0
; VGPRBlocks: 2
; NumSGPRsForWavesPerEU: 14
; NumVGPRsForWavesPerEU: 36
; NamedBarCnt: 0
; Occupancy: 16
; WaveLimiterHint : 1
; COMPUTE_PGM_RSRC2:SCRATCH_EN: 0
; COMPUTE_PGM_RSRC2:USER_SGPR: 2
; COMPUTE_PGM_RSRC2:TRAP_HANDLER: 0
; COMPUTE_PGM_RSRC2:TGID_X_EN: 1
; COMPUTE_PGM_RSRC2:TGID_Y_EN: 0
; COMPUTE_PGM_RSRC2:TGID_Z_EN: 0
; COMPUTE_PGM_RSRC2:TIDIG_COMP_CNT: 0
	.section	.text._ZN9rocsparseL29csrmvn_lrb_medium_rows_kernelILj256Elid21rocsparse_complex_numIdES2_S2_EEvbT0_PT1_S5_jNS_24const_host_device_scalarIT5_EEPKS3_PKS4_PKT2_PKT3_S8_PT4_21rocsparse_index_base_b,"axG",@progbits,_ZN9rocsparseL29csrmvn_lrb_medium_rows_kernelILj256Elid21rocsparse_complex_numIdES2_S2_EEvbT0_PT1_S5_jNS_24const_host_device_scalarIT5_EEPKS3_PKS4_PKT2_PKT3_S8_PT4_21rocsparse_index_base_b,comdat
	.globl	_ZN9rocsparseL29csrmvn_lrb_medium_rows_kernelILj256Elid21rocsparse_complex_numIdES2_S2_EEvbT0_PT1_S5_jNS_24const_host_device_scalarIT5_EEPKS3_PKS4_PKT2_PKT3_S8_PT4_21rocsparse_index_base_b ; -- Begin function _ZN9rocsparseL29csrmvn_lrb_medium_rows_kernelILj256Elid21rocsparse_complex_numIdES2_S2_EEvbT0_PT1_S5_jNS_24const_host_device_scalarIT5_EEPKS3_PKS4_PKT2_PKT3_S8_PT4_21rocsparse_index_base_b
	.p2align	8
	.type	_ZN9rocsparseL29csrmvn_lrb_medium_rows_kernelILj256Elid21rocsparse_complex_numIdES2_S2_EEvbT0_PT1_S5_jNS_24const_host_device_scalarIT5_EEPKS3_PKS4_PKT2_PKT3_S8_PT4_21rocsparse_index_base_b,@function
_ZN9rocsparseL29csrmvn_lrb_medium_rows_kernelILj256Elid21rocsparse_complex_numIdES2_S2_EEvbT0_PT1_S5_jNS_24const_host_device_scalarIT5_EEPKS3_PKS4_PKT2_PKT3_S8_PT4_21rocsparse_index_base_b: ; @_ZN9rocsparseL29csrmvn_lrb_medium_rows_kernelILj256Elid21rocsparse_complex_numIdES2_S2_EEvbT0_PT1_S5_jNS_24const_host_device_scalarIT5_EEPKS3_PKS4_PKT2_PKT3_S8_PT4_21rocsparse_index_base_b
; %bb.0:
	s_clause 0x1
	s_load_b64 s[4:5], s[0:1], 0x70
	s_load_b64 s[2:3], s[0:1], 0x28
	v_mov_b32_e32 v1, 0
	s_add_nc_u64 s[6:7], s[0:1], 40
	s_load_b64 s[8:9], s[0:1], 0x58
	s_wait_kmcnt 0x0
	s_bitcmp1_b32 s5, 0
	s_cselect_b32 s3, s7, s3
	s_cselect_b32 s2, s6, s2
	flat_load_b128 v[6:9], v1, s[2:3]
	s_wait_xcnt 0x0
	s_add_nc_u64 s[2:3], s[0:1], 0x58
	s_delay_alu instid0(SALU_CYCLE_1)
	s_cselect_b32 s3, s3, s9
	s_cselect_b32 s2, s2, s8
	flat_load_b128 v[2:5], v1, s[2:3]
	s_wait_loadcnt_dscnt 0x101
	v_cmp_eq_f64_e32 vcc_lo, 0, v[6:7]
	s_wait_xcnt 0x0
	v_cmp_eq_f64_e64 s2, 0, v[8:9]
	s_and_b32 s5, vcc_lo, s2
	s_mov_b32 s2, -1
	s_and_saveexec_b32 s3, s5
	s_cbranch_execz .LBB198_2
; %bb.1:
	s_wait_loadcnt_dscnt 0x0
	v_cmp_neq_f64_e32 vcc_lo, 1.0, v[2:3]
	v_cmp_neq_f64_e64 s2, 0, v[4:5]
	s_or_b32 s2, vcc_lo, s2
	s_delay_alu instid0(SALU_CYCLE_1)
	s_or_not1_b32 s2, s2, exec_lo
.LBB198_2:
	s_or_b32 exec_lo, exec_lo, s3
	s_and_saveexec_b32 s3, s2
	s_cbranch_execz .LBB198_27
; %bb.3:
	s_clause 0x1
	s_load_b128 s[8:11], s[0:1], 0x10
	s_load_b32 s2, s[0:1], 0x20
	s_bfe_u32 s3, ttmp6, 0x4000c
	s_and_b32 s5, ttmp6, 15
	s_add_co_i32 s3, s3, 1
	s_getreg_b32 s6, hwreg(HW_REG_IB_STS2, 6, 4)
	s_mul_i32 s3, ttmp9, s3
	v_mov_b32_e32 v1, 0
	s_add_co_i32 s5, s5, s3
	s_cmp_eq_u32 s6, 0
	v_mov_b64_e32 v[12:13], 0
	s_cselect_b32 s3, ttmp9, s5
	s_mov_b32 s5, 0
	s_delay_alu instid0(SALU_CYCLE_1) | instskip(SKIP_4) | instid1(SALU_CYCLE_1)
	v_sub_nc_u64_e64 v[10:11], v[0:1], s[4:5]
	s_wait_kmcnt 0x0
	s_load_b32 s2, s[10:11], s2 offset:0x0 scale_offset
	s_wait_kmcnt 0x0
	s_add_co_i32 s2, s2, s3
	s_ashr_i32 s3, s2, 31
	s_delay_alu instid0(SALU_CYCLE_1) | instskip(NEXT) | instid1(SALU_CYCLE_1)
	s_lshl_b64 s[2:3], s[2:3], 2
	s_add_nc_u64 s[6:7], s[8:9], s[2:3]
	s_load_b32 s2, s[6:7], 0x0
	s_load_b64 s[8:9], s[0:1], 0x38
	s_wait_kmcnt 0x0
	s_ashr_i32 s3, s2, 31
	s_delay_alu instid0(SALU_CYCLE_1) | instskip(NEXT) | instid1(SALU_CYCLE_1)
	s_lshl_b64 s[6:7], s[2:3], 3
	s_add_nc_u64 s[6:7], s[8:9], s[6:7]
	s_load_b128 s[8:11], s[6:7], 0x0
	s_wait_kmcnt 0x0
	v_add_nc_u64_e32 v[14:15], s[8:9], v[10:11]
	v_mov_b64_e32 v[10:11], 0
	s_sub_nc_u64 s[6:7], s[10:11], s[4:5]
	s_mov_b32 s10, exec_lo
	s_delay_alu instid0(VALU_DEP_2)
	v_cmpx_gt_i64_e64 s[6:7], v[14:15]
	s_cbranch_execz .LBB198_7
; %bb.4:
	v_mul_f64_e32 v[16:17], 0x80000000, v[8:9]
	v_mul_f64_e32 v[18:19], 0, v[6:7]
	s_clause 0x1
	s_load_b128 s[12:15], s[0:1], 0x40
	s_load_b64 s[8:9], s[0:1], 0x50
	v_mov_b64_e32 v[12:13], 0
	s_delay_alu instid0(VALU_DEP_1)
	v_mov_b64_e32 v[10:11], v[12:13]
	s_wait_kmcnt 0x0
	v_lshl_add_u64 v[20:21], v[14:15], 3, s[14:15]
	v_lshl_add_u64 v[22:23], v[14:15], 2, s[12:13]
.LBB198_5:                              ; =>This Inner Loop Header: Depth=1
	global_load_b32 v1, v[22:23], off
	global_load_b64 v[28:29], v[20:21], off
	v_add_nc_u64_e32 v[14:15], 0x100, v[14:15]
	s_wait_xcnt 0x0
	v_add_nc_u64_e32 v[20:21], 0x800, v[20:21]
	v_add_nc_u64_e32 v[22:23], 0x400, v[22:23]
	s_delay_alu instid0(VALU_DEP_3)
	v_cmp_le_i64_e32 vcc_lo, s[6:7], v[14:15]
	s_or_b32 s5, vcc_lo, s5
	s_wait_loadcnt 0x1
	v_subrev_nc_u32_e32 v1, s4, v1
	s_wait_loadcnt 0x0
	v_fma_f64 v[30:31], v[6:7], v[28:29], v[16:17]
	v_fma_f64 v[28:29], v[8:9], v[28:29], v[18:19]
	global_load_b128 v[24:27], v1, s[8:9] scale_offset
	s_wait_loadcnt 0x0
	v_fmac_f64_e32 v[10:11], v[30:31], v[24:25]
	v_fmac_f64_e32 v[12:13], v[28:29], v[24:25]
	s_delay_alu instid0(VALU_DEP_2) | instskip(NEXT) | instid1(VALU_DEP_2)
	v_fma_f64 v[10:11], -v[28:29], v[26:27], v[10:11]
	v_fmac_f64_e32 v[12:13], v[30:31], v[26:27]
	s_and_not1_b32 exec_lo, exec_lo, s5
	s_cbranch_execnz .LBB198_5
; %bb.6:
	s_or_b32 exec_lo, exec_lo, s5
.LBB198_7:
	s_delay_alu instid0(SALU_CYCLE_1)
	s_or_b32 exec_lo, exec_lo, s10
	s_load_b64 s[4:5], s[0:1], 0x68
	v_lshlrev_b32_e32 v1, 4, v0
	s_wait_xcnt 0x0
	s_mov_b32 s0, exec_lo
	ds_store_b128 v1, v[10:13]
	s_wait_loadcnt_dscnt 0x0
	s_barrier_signal -1
	s_barrier_wait -1
	v_cmpx_gt_u32_e32 0x80, v0
	s_cbranch_execz .LBB198_9
; %bb.8:
	ds_load_b128 v[6:9], v1 offset:2048
	ds_load_b128 v[10:13], v1
	s_wait_dscnt 0x0
	v_add_f64_e32 v[6:7], v[6:7], v[10:11]
	v_add_f64_e32 v[8:9], v[8:9], v[12:13]
	ds_store_b128 v1, v[6:9]
.LBB198_9:
	s_or_b32 exec_lo, exec_lo, s0
	s_delay_alu instid0(SALU_CYCLE_1)
	s_mov_b32 s0, exec_lo
	s_wait_dscnt 0x0
	s_barrier_signal -1
	s_barrier_wait -1
	v_cmpx_gt_u32_e32 64, v0
	s_cbranch_execz .LBB198_11
; %bb.10:
	ds_load_b128 v[6:9], v1 offset:1024
	ds_load_b128 v[10:13], v1
	s_wait_dscnt 0x0
	v_add_f64_e32 v[6:7], v[6:7], v[10:11]
	v_add_f64_e32 v[8:9], v[8:9], v[12:13]
	ds_store_b128 v1, v[6:9]
.LBB198_11:
	s_or_b32 exec_lo, exec_lo, s0
	s_delay_alu instid0(SALU_CYCLE_1)
	s_mov_b32 s0, exec_lo
	s_wait_dscnt 0x0
	;; [unrolled: 16-line block ×6, first 2 shown]
	s_barrier_signal -1
	s_barrier_wait -1
	v_cmpx_gt_u32_e32 2, v0
	s_cbranch_execz .LBB198_21
; %bb.20:
	ds_load_b128 v[6:9], v1
	ds_load_b128 v[10:13], v1 offset:32
	s_wait_dscnt 0x0
	v_add_f64_e32 v[6:7], v[10:11], v[6:7]
	v_add_f64_e32 v[8:9], v[12:13], v[8:9]
	ds_store_b128 v1, v[6:9]
.LBB198_21:
	s_or_b32 exec_lo, exec_lo, s0
	v_cmp_eq_u32_e32 vcc_lo, 0, v0
	s_wait_dscnt 0x0
	s_barrier_signal -1
	s_barrier_wait -1
	s_and_saveexec_b32 s0, vcc_lo
	s_cbranch_execz .LBB198_23
; %bb.22:
	v_mov_b32_e32 v0, 0
	ds_load_b128 v[6:9], v0
	ds_load_b128 v[10:13], v0 offset:16
	s_wait_dscnt 0x0
	v_add_f64_e32 v[6:7], v[10:11], v[6:7]
	v_add_f64_e32 v[8:9], v[12:13], v[8:9]
	ds_store_b128 v0, v[6:9]
.LBB198_23:
	s_or_b32 exec_lo, exec_lo, s0
	s_wait_dscnt 0x0
	s_barrier_signal -1
	s_barrier_wait -1
	s_and_b32 exec_lo, exec_lo, vcc_lo
	s_cbranch_execz .LBB198_27
; %bb.24:
	v_cmp_neq_f64_e32 vcc_lo, 0, v[2:3]
	v_cmp_neq_f64_e64 s0, 0, v[4:5]
	v_mov_b32_e32 v0, 0
	ds_load_b128 v[6:9], v0
	s_or_b32 s1, vcc_lo, s0
	s_delay_alu instid0(SALU_CYCLE_1)
	s_and_saveexec_b32 s0, s1
	s_cbranch_execz .LBB198_26
; %bb.25:
	s_lshl_b64 s[6:7], s[2:3], 4
	s_wait_kmcnt 0x0
	s_add_nc_u64 s[6:7], s[4:5], s[6:7]
	s_load_b128 s[8:11], s[6:7], 0x0
	s_wait_dscnt 0x0
	s_wait_kmcnt 0x0
	v_fmac_f64_e32 v[6:7], s[8:9], v[2:3]
	v_fmac_f64_e32 v[8:9], s[8:9], v[4:5]
	s_delay_alu instid0(VALU_DEP_2) | instskip(NEXT) | instid1(VALU_DEP_2)
	v_fma_f64 v[6:7], -v[4:5], s[10:11], v[6:7]
	v_fmac_f64_e32 v[8:9], s[10:11], v[2:3]
.LBB198_26:
	s_or_b32 exec_lo, exec_lo, s0
	s_lshl_b64 s[0:1], s[2:3], 4
	s_wait_kmcnt 0x0
	s_add_nc_u64 s[0:1], s[4:5], s[0:1]
	s_wait_dscnt 0x0
	global_store_b128 v0, v[6:9], s[0:1]
.LBB198_27:
	s_endpgm
	.section	.rodata,"a",@progbits
	.p2align	6, 0x0
	.amdhsa_kernel _ZN9rocsparseL29csrmvn_lrb_medium_rows_kernelILj256Elid21rocsparse_complex_numIdES2_S2_EEvbT0_PT1_S5_jNS_24const_host_device_scalarIT5_EEPKS3_PKS4_PKT2_PKT3_S8_PT4_21rocsparse_index_base_b
		.amdhsa_group_segment_fixed_size 4096
		.amdhsa_private_segment_fixed_size 0
		.amdhsa_kernarg_size 120
		.amdhsa_user_sgpr_count 2
		.amdhsa_user_sgpr_dispatch_ptr 0
		.amdhsa_user_sgpr_queue_ptr 0
		.amdhsa_user_sgpr_kernarg_segment_ptr 1
		.amdhsa_user_sgpr_dispatch_id 0
		.amdhsa_user_sgpr_kernarg_preload_length 0
		.amdhsa_user_sgpr_kernarg_preload_offset 0
		.amdhsa_user_sgpr_private_segment_size 0
		.amdhsa_wavefront_size32 1
		.amdhsa_uses_dynamic_stack 0
		.amdhsa_enable_private_segment 0
		.amdhsa_system_sgpr_workgroup_id_x 1
		.amdhsa_system_sgpr_workgroup_id_y 0
		.amdhsa_system_sgpr_workgroup_id_z 0
		.amdhsa_system_sgpr_workgroup_info 0
		.amdhsa_system_vgpr_workitem_id 0
		.amdhsa_next_free_vgpr 32
		.amdhsa_next_free_sgpr 16
		.amdhsa_named_barrier_count 0
		.amdhsa_reserve_vcc 1
		.amdhsa_float_round_mode_32 0
		.amdhsa_float_round_mode_16_64 0
		.amdhsa_float_denorm_mode_32 3
		.amdhsa_float_denorm_mode_16_64 3
		.amdhsa_fp16_overflow 0
		.amdhsa_memory_ordered 1
		.amdhsa_forward_progress 1
		.amdhsa_inst_pref_size 11
		.amdhsa_round_robin_scheduling 0
		.amdhsa_exception_fp_ieee_invalid_op 0
		.amdhsa_exception_fp_denorm_src 0
		.amdhsa_exception_fp_ieee_div_zero 0
		.amdhsa_exception_fp_ieee_overflow 0
		.amdhsa_exception_fp_ieee_underflow 0
		.amdhsa_exception_fp_ieee_inexact 0
		.amdhsa_exception_int_div_zero 0
	.end_amdhsa_kernel
	.section	.text._ZN9rocsparseL29csrmvn_lrb_medium_rows_kernelILj256Elid21rocsparse_complex_numIdES2_S2_EEvbT0_PT1_S5_jNS_24const_host_device_scalarIT5_EEPKS3_PKS4_PKT2_PKT3_S8_PT4_21rocsparse_index_base_b,"axG",@progbits,_ZN9rocsparseL29csrmvn_lrb_medium_rows_kernelILj256Elid21rocsparse_complex_numIdES2_S2_EEvbT0_PT1_S5_jNS_24const_host_device_scalarIT5_EEPKS3_PKS4_PKT2_PKT3_S8_PT4_21rocsparse_index_base_b,comdat
.Lfunc_end198:
	.size	_ZN9rocsparseL29csrmvn_lrb_medium_rows_kernelILj256Elid21rocsparse_complex_numIdES2_S2_EEvbT0_PT1_S5_jNS_24const_host_device_scalarIT5_EEPKS3_PKS4_PKT2_PKT3_S8_PT4_21rocsparse_index_base_b, .Lfunc_end198-_ZN9rocsparseL29csrmvn_lrb_medium_rows_kernelILj256Elid21rocsparse_complex_numIdES2_S2_EEvbT0_PT1_S5_jNS_24const_host_device_scalarIT5_EEPKS3_PKS4_PKT2_PKT3_S8_PT4_21rocsparse_index_base_b
                                        ; -- End function
	.set _ZN9rocsparseL29csrmvn_lrb_medium_rows_kernelILj256Elid21rocsparse_complex_numIdES2_S2_EEvbT0_PT1_S5_jNS_24const_host_device_scalarIT5_EEPKS3_PKS4_PKT2_PKT3_S8_PT4_21rocsparse_index_base_b.num_vgpr, 32
	.set _ZN9rocsparseL29csrmvn_lrb_medium_rows_kernelILj256Elid21rocsparse_complex_numIdES2_S2_EEvbT0_PT1_S5_jNS_24const_host_device_scalarIT5_EEPKS3_PKS4_PKT2_PKT3_S8_PT4_21rocsparse_index_base_b.num_agpr, 0
	.set _ZN9rocsparseL29csrmvn_lrb_medium_rows_kernelILj256Elid21rocsparse_complex_numIdES2_S2_EEvbT0_PT1_S5_jNS_24const_host_device_scalarIT5_EEPKS3_PKS4_PKT2_PKT3_S8_PT4_21rocsparse_index_base_b.numbered_sgpr, 16
	.set _ZN9rocsparseL29csrmvn_lrb_medium_rows_kernelILj256Elid21rocsparse_complex_numIdES2_S2_EEvbT0_PT1_S5_jNS_24const_host_device_scalarIT5_EEPKS3_PKS4_PKT2_PKT3_S8_PT4_21rocsparse_index_base_b.num_named_barrier, 0
	.set _ZN9rocsparseL29csrmvn_lrb_medium_rows_kernelILj256Elid21rocsparse_complex_numIdES2_S2_EEvbT0_PT1_S5_jNS_24const_host_device_scalarIT5_EEPKS3_PKS4_PKT2_PKT3_S8_PT4_21rocsparse_index_base_b.private_seg_size, 0
	.set _ZN9rocsparseL29csrmvn_lrb_medium_rows_kernelILj256Elid21rocsparse_complex_numIdES2_S2_EEvbT0_PT1_S5_jNS_24const_host_device_scalarIT5_EEPKS3_PKS4_PKT2_PKT3_S8_PT4_21rocsparse_index_base_b.uses_vcc, 1
	.set _ZN9rocsparseL29csrmvn_lrb_medium_rows_kernelILj256Elid21rocsparse_complex_numIdES2_S2_EEvbT0_PT1_S5_jNS_24const_host_device_scalarIT5_EEPKS3_PKS4_PKT2_PKT3_S8_PT4_21rocsparse_index_base_b.uses_flat_scratch, 0
	.set _ZN9rocsparseL29csrmvn_lrb_medium_rows_kernelILj256Elid21rocsparse_complex_numIdES2_S2_EEvbT0_PT1_S5_jNS_24const_host_device_scalarIT5_EEPKS3_PKS4_PKT2_PKT3_S8_PT4_21rocsparse_index_base_b.has_dyn_sized_stack, 0
	.set _ZN9rocsparseL29csrmvn_lrb_medium_rows_kernelILj256Elid21rocsparse_complex_numIdES2_S2_EEvbT0_PT1_S5_jNS_24const_host_device_scalarIT5_EEPKS3_PKS4_PKT2_PKT3_S8_PT4_21rocsparse_index_base_b.has_recursion, 0
	.set _ZN9rocsparseL29csrmvn_lrb_medium_rows_kernelILj256Elid21rocsparse_complex_numIdES2_S2_EEvbT0_PT1_S5_jNS_24const_host_device_scalarIT5_EEPKS3_PKS4_PKT2_PKT3_S8_PT4_21rocsparse_index_base_b.has_indirect_call, 0
	.section	.AMDGPU.csdata,"",@progbits
; Kernel info:
; codeLenInByte = 1304
; TotalNumSgprs: 18
; NumVgprs: 32
; ScratchSize: 0
; MemoryBound: 0
; FloatMode: 240
; IeeeMode: 1
; LDSByteSize: 4096 bytes/workgroup (compile time only)
; SGPRBlocks: 0
; VGPRBlocks: 1
; NumSGPRsForWavesPerEU: 18
; NumVGPRsForWavesPerEU: 32
; NamedBarCnt: 0
; Occupancy: 16
; WaveLimiterHint : 1
; COMPUTE_PGM_RSRC2:SCRATCH_EN: 0
; COMPUTE_PGM_RSRC2:USER_SGPR: 2
; COMPUTE_PGM_RSRC2:TRAP_HANDLER: 0
; COMPUTE_PGM_RSRC2:TGID_X_EN: 1
; COMPUTE_PGM_RSRC2:TGID_Y_EN: 0
; COMPUTE_PGM_RSRC2:TGID_Z_EN: 0
; COMPUTE_PGM_RSRC2:TIDIG_COMP_CNT: 0
	.section	.text._ZN9rocsparseL27csrmvn_lrb_long_rows_kernelIlid21rocsparse_complex_numIdES2_S2_EEvbT_PjPT0_S6_jNS_24const_host_device_scalarIT4_EEPKS3_PKS5_PKT1_PKT2_S9_PT3_21rocsparse_index_base_b,"axG",@progbits,_ZN9rocsparseL27csrmvn_lrb_long_rows_kernelIlid21rocsparse_complex_numIdES2_S2_EEvbT_PjPT0_S6_jNS_24const_host_device_scalarIT4_EEPKS3_PKS5_PKT1_PKT2_S9_PT3_21rocsparse_index_base_b,comdat
	.globl	_ZN9rocsparseL27csrmvn_lrb_long_rows_kernelIlid21rocsparse_complex_numIdES2_S2_EEvbT_PjPT0_S6_jNS_24const_host_device_scalarIT4_EEPKS3_PKS5_PKT1_PKT2_S9_PT3_21rocsparse_index_base_b ; -- Begin function _ZN9rocsparseL27csrmvn_lrb_long_rows_kernelIlid21rocsparse_complex_numIdES2_S2_EEvbT_PjPT0_S6_jNS_24const_host_device_scalarIT4_EEPKS3_PKS5_PKT1_PKT2_S9_PT3_21rocsparse_index_base_b
	.p2align	8
	.type	_ZN9rocsparseL27csrmvn_lrb_long_rows_kernelIlid21rocsparse_complex_numIdES2_S2_EEvbT_PjPT0_S6_jNS_24const_host_device_scalarIT4_EEPKS3_PKS5_PKT1_PKT2_S9_PT3_21rocsparse_index_base_b,@function
_ZN9rocsparseL27csrmvn_lrb_long_rows_kernelIlid21rocsparse_complex_numIdES2_S2_EEvbT_PjPT0_S6_jNS_24const_host_device_scalarIT4_EEPKS3_PKS5_PKT1_PKT2_S9_PT3_21rocsparse_index_base_b: ; @_ZN9rocsparseL27csrmvn_lrb_long_rows_kernelIlid21rocsparse_complex_numIdES2_S2_EEvbT_PjPT0_S6_jNS_24const_host_device_scalarIT4_EEPKS3_PKS5_PKT1_PKT2_S9_PT3_21rocsparse_index_base_b
; %bb.0:
	s_clause 0x1
	s_load_b64 s[20:21], s[0:1], 0x78
	s_load_b64 s[2:3], s[0:1], 0x30
	v_mov_b32_e32 v1, 0
	s_add_nc_u64 s[4:5], s[0:1], 48
	s_load_b64 s[6:7], s[0:1], 0x60
	s_wait_kmcnt 0x0
	s_bitcmp1_b32 s21, 0
	s_cselect_b32 s3, s5, s3
	s_cselect_b32 s2, s4, s2
	flat_load_b128 v[2:5], v1, s[2:3]
	s_wait_xcnt 0x0
	s_add_nc_u64 s[2:3], s[0:1], 0x60
	s_delay_alu instid0(SALU_CYCLE_1)
	s_cselect_b32 s3, s3, s7
	s_cselect_b32 s2, s2, s6
	flat_load_b128 v[6:9], v1, s[2:3]
	s_wait_loadcnt_dscnt 0x101
	v_cmp_eq_f64_e32 vcc_lo, 0, v[2:3]
	s_wait_xcnt 0x0
	v_cmp_eq_f64_e64 s2, 0, v[4:5]
	s_and_b32 s4, vcc_lo, s2
	s_mov_b32 s2, -1
	s_and_saveexec_b32 s3, s4
	s_cbranch_execz .LBB199_2
; %bb.1:
	s_wait_loadcnt_dscnt 0x0
	v_cmp_neq_f64_e32 vcc_lo, 1.0, v[6:7]
	v_cmp_neq_f64_e64 s2, 0, v[8:9]
	s_or_b32 s2, vcc_lo, s2
	s_delay_alu instid0(SALU_CYCLE_1)
	s_or_not1_b32 s2, s2, exec_lo
.LBB199_2:
	s_or_b32 exec_lo, exec_lo, s3
	s_and_saveexec_b32 s3, s2
	s_cbranch_execz .LBB199_38
; %bb.3:
	s_load_b96 s[4:6], s[0:1], 0x20
	s_bfe_u32 s8, ttmp6, 0x4000c
	s_and_b32 s7, ttmp6, 15
	s_add_co_i32 s8, s8, 1
	s_getreg_b32 s9, hwreg(HW_REG_IB_STS2, 6, 4)
	s_mul_i32 s8, ttmp9, s8
	v_mov_b64_e32 v[10:11], 0
	s_add_co_i32 s7, s7, s8
	v_mov_b64_e32 v[12:13], 0
	s_mov_b32 s23, 0
	s_wait_kmcnt 0x0
	s_lshl_b32 s2, -1, s6
	s_load_b32 s8, s[4:5], s6 offset:0x0 scale_offset
	s_not_b32 s2, s2
	s_delay_alu instid0(SALU_CYCLE_1) | instskip(NEXT) | instid1(SALU_CYCLE_1)
	s_mul_hi_u32 s2, s2, 0x2aaaaaab
	s_lshr_b32 s2, s2, 7
	s_delay_alu instid0(SALU_CYCLE_1) | instskip(SKIP_2) | instid1(SALU_CYCLE_3)
	s_add_co_i32 s21, s2, 1
	s_not_b32 s2, s2
	s_cvt_f32_u32 s3, s21
	v_rcp_iflag_f32_e32 v1, s3
	v_nop
	s_delay_alu instid0(TRANS32_DEP_1) | instskip(SKIP_1) | instid1(SALU_CYCLE_3)
	v_readfirstlane_b32 s3, v1
	s_mul_f32 s3, s3, 0x4f7ffffe
	s_cvt_u32_f32 s3, s3
	s_delay_alu instid0(SALU_CYCLE_3) | instskip(NEXT) | instid1(SALU_CYCLE_1)
	s_mul_i32 s2, s2, s3
	s_mul_hi_u32 s2, s3, s2
	s_delay_alu instid0(SALU_CYCLE_1)
	s_add_co_i32 s3, s3, s2
	s_cmp_eq_u32 s9, 0
	s_cselect_b32 s12, ttmp9, s7
	s_wait_xcnt 0x0
	s_load_b128 s[4:7], s[0:1], 0x10
	s_mul_hi_u32 s2, s12, s3
	s_delay_alu instid0(SALU_CYCLE_1) | instskip(SKIP_2) | instid1(SALU_CYCLE_1)
	s_mul_i32 s3, s2, s21
	s_add_co_i32 s9, s2, 1
	s_sub_co_i32 s3, s12, s3
	s_sub_co_i32 s10, s3, s21
	s_cmp_ge_u32 s3, s21
	s_cselect_b32 s2, s9, s2
	s_cselect_b32 s3, s10, s3
	s_add_co_i32 s9, s2, 1
	s_cmp_ge_u32 s3, s21
	s_cselect_b32 s22, s9, s2
	s_ashr_i32 s13, s12, 31
	s_wait_kmcnt 0x0
	s_add_co_i32 s2, s22, s8
	s_lshl_b64 s[14:15], s[12:13], 2
	s_ashr_i32 s3, s2, 31
	s_add_nc_u64 s[16:17], s[4:5], s[14:15]
	s_lshl_b64 s[2:3], s[2:3], 2
	s_delay_alu instid0(SALU_CYCLE_1)
	s_add_nc_u64 s[8:9], s[6:7], s[2:3]
	s_load_b32 s2, s[8:9], 0x0
	s_clause 0x1
	s_load_b64 s[10:11], s[0:1], 0x40
	s_load_b64 s[6:7], s[0:1], 0x70
	s_wait_kmcnt 0x0
	s_ashr_i32 s3, s2, 31
	s_delay_alu instid0(SALU_CYCLE_1) | instskip(NEXT) | instid1(SALU_CYCLE_1)
	s_lshl_b64 s[8:9], s[2:3], 3
	s_add_nc_u64 s[18:19], s[10:11], s[8:9]
	s_load_b128 s[8:11], s[18:19], 0x0
	s_load_b32 s24, s[16:17], 0x0
	s_wait_xcnt 0x0
	s_mul_i32 s18, s22, s21
	s_mov_b32 s21, exec_lo
	s_sub_co_i32 s19, s12, s18
	s_delay_alu instid0(SALU_CYCLE_1) | instskip(NEXT) | instid1(VALU_DEP_1)
	v_or_b32_e32 v1, s19, v0
	v_cmpx_eq_u32_e32 0, v1
	s_cbranch_execz .LBB199_7
; %bb.4:
	s_wait_loadcnt_dscnt 0x0
	v_add_f64_e32 v[6:7], -1.0, v[6:7]
	s_lshl_b64 s[12:13], s[2:3], 4
	s_mov_b32 s22, exec_lo
	s_add_nc_u64 s[26:27], s[6:7], s[12:13]
	v_mbcnt_lo_u32_b32 v1, s22, 0
	s_load_b128 s[12:15], s[26:27], 0x0
	global_wb scope:SCOPE_DEV
	s_wait_storecnt 0x0
	global_inv scope:SCOPE_DEV
	s_wait_kmcnt 0x0
	v_mul_f64_e64 v[10:11], s[14:15], -v[8:9]
	v_mul_f64_e32 v[12:13], s[14:15], v[6:7]
	s_mov_b32 s14, exec_lo
	v_cmpx_eq_u32_e32 0, v1
	s_cbranch_execz .LBB199_6
; %bb.5:
	s_bcnt1_i32_b32 s15, s22
	s_delay_alu instid0(SALU_CYCLE_1) | instskip(NEXT) | instid1(SALU_CYCLE_1)
	s_and_b32 s15, s15, 1
	v_dual_mov_b32 v1, s18 :: v_dual_mov_b32 v14, s15
	global_atomic_xor_b32 v1, v14, s[4:5] scale_offset scope:SCOPE_DEV
.LBB199_6:
	s_wait_xcnt 0x0
	s_or_b32 exec_lo, exec_lo, s14
	s_delay_alu instid0(VALU_DEP_3) | instskip(NEXT) | instid1(VALU_DEP_3)
	v_fmac_f64_e32 v[10:11], s[12:13], v[6:7]
	v_fmac_f64_e32 v[12:13], s[12:13], v[8:9]
.LBB199_7:
	s_or_b32 exec_lo, exec_lo, s21
	s_mul_i32 s22, s19, 3
	s_mov_b32 s21, s23
	s_lshl_b64 s[12:13], s[22:23], 8
	s_wait_kmcnt 0x0
	s_sub_nc_u64 s[8:9], s[8:9], s[20:21]
	s_sub_nc_u64 s[10:11], s[10:11], s[20:21]
	s_add_nc_u64 s[8:9], s[8:9], s[12:13]
	v_mov_b32_e32 v1, 0
	s_add_nc_u64 s[12:13], s[8:9], 0x300
	s_wait_loadcnt_dscnt 0x0
	v_min_i64 v[6:7], s[12:13], s[10:11]
	s_mov_b32 s10, exec_lo
	v_add_nc_u64_e32 v[8:9], s[8:9], v[0:1]
	s_delay_alu instid0(VALU_DEP_1)
	v_cmpx_lt_i64_e64 v[8:9], v[6:7]
	s_cbranch_execz .LBB199_11
; %bb.8:
	v_mul_f64_e32 v[14:15], 0x80000000, v[4:5]
	v_mul_f64_e32 v[16:17], 0, v[2:3]
	s_clause 0x1
	s_load_b128 s[12:15], s[0:1], 0x48
	s_load_b64 s[8:9], s[0:1], 0x58
	s_wait_xcnt 0x0
	s_mov_b32 s0, 0
	s_wait_kmcnt 0x0
	v_lshl_add_u64 v[18:19], v[8:9], 3, s[14:15]
	v_lshl_add_u64 v[20:21], v[8:9], 2, s[12:13]
.LBB199_9:                              ; =>This Inner Loop Header: Depth=1
	global_load_b32 v1, v[20:21], off
	global_load_b64 v[26:27], v[18:19], off
	v_add_nc_u64_e32 v[8:9], 0x100, v[8:9]
	s_wait_xcnt 0x0
	v_add_nc_u64_e32 v[18:19], 0x800, v[18:19]
	v_add_nc_u64_e32 v[20:21], 0x400, v[20:21]
	s_delay_alu instid0(VALU_DEP_3)
	v_cmp_ge_i64_e32 vcc_lo, v[8:9], v[6:7]
	s_or_b32 s0, vcc_lo, s0
	s_wait_loadcnt 0x1
	v_subrev_nc_u32_e32 v1, s20, v1
	s_wait_loadcnt 0x0
	v_fma_f64 v[28:29], v[2:3], v[26:27], v[14:15]
	v_fma_f64 v[26:27], v[4:5], v[26:27], v[16:17]
	global_load_b128 v[22:25], v1, s[8:9] scale_offset
	s_wait_loadcnt 0x0
	v_fmac_f64_e32 v[10:11], v[28:29], v[22:23]
	v_fmac_f64_e32 v[12:13], v[26:27], v[22:23]
	s_delay_alu instid0(VALU_DEP_2) | instskip(NEXT) | instid1(VALU_DEP_2)
	v_fma_f64 v[10:11], -v[26:27], v[24:25], v[10:11]
	v_fmac_f64_e32 v[12:13], v[28:29], v[24:25]
	s_wait_xcnt 0x0
	s_and_not1_b32 exec_lo, exec_lo, s0
	s_cbranch_execnz .LBB199_9
; %bb.10:
	s_or_b32 exec_lo, exec_lo, s0
.LBB199_11:
	s_delay_alu instid0(SALU_CYCLE_1)
	s_or_b32 exec_lo, exec_lo, s10
	v_lshlrev_b32_e32 v1, 4, v0
	s_mov_b32 s0, exec_lo
	ds_store_b128 v1, v[10:13]
	s_wait_storecnt_dscnt 0x0
	s_barrier_signal -1
	s_barrier_wait -1
	v_cmpx_gt_u32_e32 0x80, v0
	s_cbranch_execz .LBB199_13
; %bb.12:
	ds_load_b128 v[2:5], v1 offset:2048
	ds_load_b128 v[6:9], v1
	s_wait_dscnt 0x0
	v_add_f64_e32 v[2:3], v[2:3], v[6:7]
	v_add_f64_e32 v[4:5], v[4:5], v[8:9]
	ds_store_b128 v1, v[2:5]
.LBB199_13:
	s_or_b32 exec_lo, exec_lo, s0
	s_delay_alu instid0(SALU_CYCLE_1)
	s_mov_b32 s0, exec_lo
	s_wait_dscnt 0x0
	s_barrier_signal -1
	s_barrier_wait -1
	v_cmpx_gt_u32_e32 64, v0
	s_cbranch_execz .LBB199_15
; %bb.14:
	ds_load_b128 v[2:5], v1 offset:1024
	ds_load_b128 v[6:9], v1
	s_wait_dscnt 0x0
	v_add_f64_e32 v[2:3], v[2:3], v[6:7]
	v_add_f64_e32 v[4:5], v[4:5], v[8:9]
	ds_store_b128 v1, v[2:5]
.LBB199_15:
	s_or_b32 exec_lo, exec_lo, s0
	s_delay_alu instid0(SALU_CYCLE_1)
	s_mov_b32 s0, exec_lo
	s_wait_dscnt 0x0
	;; [unrolled: 16-line block ×6, first 2 shown]
	s_barrier_signal -1
	s_barrier_wait -1
	v_cmpx_gt_u32_e32 2, v0
	s_cbranch_execz .LBB199_25
; %bb.24:
	ds_load_b128 v[2:5], v1
	ds_load_b128 v[6:9], v1 offset:32
	s_wait_dscnt 0x0
	v_add_f64_e32 v[2:3], v[6:7], v[2:3]
	v_add_f64_e32 v[4:5], v[8:9], v[4:5]
	ds_store_b128 v1, v[2:5]
.LBB199_25:
	s_or_b32 exec_lo, exec_lo, s0
	v_cmp_eq_u32_e32 vcc_lo, 0, v0
	s_wait_dscnt 0x0
	s_barrier_signal -1
	s_barrier_wait -1
	s_and_saveexec_b32 s0, vcc_lo
	s_cbranch_execz .LBB199_27
; %bb.26:
	v_mov_b32_e32 v8, 0
	ds_load_b128 v[0:3], v8
	ds_load_b128 v[4:7], v8 offset:16
	s_wait_dscnt 0x0
	v_add_f64_e32 v[0:1], v[4:5], v[0:1]
	v_add_f64_e32 v[2:3], v[6:7], v[2:3]
	ds_store_b128 v8, v[0:3]
.LBB199_27:
	s_or_b32 exec_lo, exec_lo, s0
	s_wait_dscnt 0x0
	s_barrier_signal -1
	s_barrier_wait -1
	s_and_b32 exec_lo, exec_lo, vcc_lo
	s_cbranch_execz .LBB199_38
; %bb.28:
	s_cmp_eq_u32 s19, 0
	s_cbranch_scc1 .LBB199_34
; %bb.29:
	s_ashr_i32 s19, s18, 31
	v_mov_b32_e32 v0, 0
	s_lshl_b64 s[0:1], s[18:19], 2
	s_delay_alu instid0(SALU_CYCLE_1)
	s_add_nc_u64 s[0:1], s[4:5], s[0:1]
	s_branch .LBB199_31
.LBB199_30:                             ;   in Loop: Header=BB199_31 Depth=1
	s_wait_xcnt 0x0
	s_or_b32 exec_lo, exec_lo, s4
	s_wait_loadcnt 0x0
	v_readfirstlane_b32 s4, v1
	s_cmp_eq_u32 s4, s24
	s_cbranch_scc0 .LBB199_33
.LBB199_31:                             ; =>This Inner Loop Header: Depth=1
	v_mbcnt_lo_u32_b32 v1, exec_lo, 0
	s_delay_alu instid0(VALU_DEP_1)
	v_cmp_eq_u32_e32 vcc_lo, 0, v1
                                        ; implicit-def: $vgpr1
	s_and_saveexec_b32 s4, vcc_lo
	s_cbranch_execz .LBB199_30
; %bb.32:                               ;   in Loop: Header=BB199_31 Depth=1
	global_load_b32 v1, v0, s[0:1] scope:SCOPE_DEV
	s_branch .LBB199_30
.LBB199_33:
	v_mov_b32_e32 v0, 0
	global_load_u16 v1, v0, s[16:17]
	s_wait_loadcnt 0x0
	v_xor_b32_e32 v1, 1, v1
	global_store_b16 v0, v1, s[16:17]
.LBB199_34:
	v_mov_b32_e32 v4, 0
	s_mov_b32 s4, exec_lo
	s_lshl_b64 s[0:1], s[2:3], 4
	v_mbcnt_lo_u32_b32 v5, s4, 0
	s_add_nc_u64 s[0:1], s[6:7], s[0:1]
	s_wait_xcnt 0x0
	ds_load_b128 v[0:3], v4
	s_mov_b32 s2, exec_lo
	v_cmpx_eq_u32_e32 0, v5
	s_cbranch_execz .LBB199_36
; %bb.35:
	s_bcnt1_i32_b32 s3, s4
	s_delay_alu instid0(SALU_CYCLE_1) | instskip(SKIP_1) | instid1(VALU_DEP_1)
	v_cvt_f64_u32_e32 v[6:7], s3
	s_wait_dscnt 0x0
	v_mul_f64_e32 v[0:1], v[0:1], v[6:7]
	global_atomic_add_f64 v4, v[0:1], s[0:1] scope:SCOPE_DEV
.LBB199_36:
	s_wait_xcnt 0x0
	s_or_b32 exec_lo, exec_lo, s2
	s_delay_alu instid0(SALU_CYCLE_1) | instskip(SKIP_2) | instid1(VALU_DEP_1)
	s_mov_b32 s2, exec_lo
	s_wait_dscnt 0x0
	v_mbcnt_lo_u32_b32 v0, s2, 0
	v_cmp_eq_u32_e32 vcc_lo, 0, v0
	s_and_b32 s3, exec_lo, vcc_lo
	s_delay_alu instid0(SALU_CYCLE_1)
	s_mov_b32 exec_lo, s3
	s_cbranch_execz .LBB199_38
; %bb.37:
	s_bcnt1_i32_b32 s2, s2
	s_delay_alu instid0(SALU_CYCLE_1) | instskip(NEXT) | instid1(VALU_DEP_1)
	v_cvt_f64_u32_e32 v[0:1], s2
	v_dual_mul_f64 v[0:1], v[2:3], v[0:1] :: v_dual_mov_b32 v2, 0
	global_atomic_add_f64 v2, v[0:1], s[0:1] offset:8 scope:SCOPE_DEV
.LBB199_38:
	s_endpgm
	.section	.rodata,"a",@progbits
	.p2align	6, 0x0
	.amdhsa_kernel _ZN9rocsparseL27csrmvn_lrb_long_rows_kernelIlid21rocsparse_complex_numIdES2_S2_EEvbT_PjPT0_S6_jNS_24const_host_device_scalarIT4_EEPKS3_PKS5_PKT1_PKT2_S9_PT3_21rocsparse_index_base_b
		.amdhsa_group_segment_fixed_size 4096
		.amdhsa_private_segment_fixed_size 0
		.amdhsa_kernarg_size 128
		.amdhsa_user_sgpr_count 2
		.amdhsa_user_sgpr_dispatch_ptr 0
		.amdhsa_user_sgpr_queue_ptr 0
		.amdhsa_user_sgpr_kernarg_segment_ptr 1
		.amdhsa_user_sgpr_dispatch_id 0
		.amdhsa_user_sgpr_kernarg_preload_length 0
		.amdhsa_user_sgpr_kernarg_preload_offset 0
		.amdhsa_user_sgpr_private_segment_size 0
		.amdhsa_wavefront_size32 1
		.amdhsa_uses_dynamic_stack 0
		.amdhsa_enable_private_segment 0
		.amdhsa_system_sgpr_workgroup_id_x 1
		.amdhsa_system_sgpr_workgroup_id_y 0
		.amdhsa_system_sgpr_workgroup_id_z 0
		.amdhsa_system_sgpr_workgroup_info 0
		.amdhsa_system_vgpr_workitem_id 0
		.amdhsa_next_free_vgpr 30
		.amdhsa_next_free_sgpr 28
		.amdhsa_named_barrier_count 0
		.amdhsa_reserve_vcc 1
		.amdhsa_float_round_mode_32 0
		.amdhsa_float_round_mode_16_64 0
		.amdhsa_float_denorm_mode_32 3
		.amdhsa_float_denorm_mode_16_64 3
		.amdhsa_fp16_overflow 0
		.amdhsa_memory_ordered 1
		.amdhsa_forward_progress 1
		.amdhsa_inst_pref_size 15
		.amdhsa_round_robin_scheduling 0
		.amdhsa_exception_fp_ieee_invalid_op 0
		.amdhsa_exception_fp_denorm_src 0
		.amdhsa_exception_fp_ieee_div_zero 0
		.amdhsa_exception_fp_ieee_overflow 0
		.amdhsa_exception_fp_ieee_underflow 0
		.amdhsa_exception_fp_ieee_inexact 0
		.amdhsa_exception_int_div_zero 0
	.end_amdhsa_kernel
	.section	.text._ZN9rocsparseL27csrmvn_lrb_long_rows_kernelIlid21rocsparse_complex_numIdES2_S2_EEvbT_PjPT0_S6_jNS_24const_host_device_scalarIT4_EEPKS3_PKS5_PKT1_PKT2_S9_PT3_21rocsparse_index_base_b,"axG",@progbits,_ZN9rocsparseL27csrmvn_lrb_long_rows_kernelIlid21rocsparse_complex_numIdES2_S2_EEvbT_PjPT0_S6_jNS_24const_host_device_scalarIT4_EEPKS3_PKS5_PKT1_PKT2_S9_PT3_21rocsparse_index_base_b,comdat
.Lfunc_end199:
	.size	_ZN9rocsparseL27csrmvn_lrb_long_rows_kernelIlid21rocsparse_complex_numIdES2_S2_EEvbT_PjPT0_S6_jNS_24const_host_device_scalarIT4_EEPKS3_PKS5_PKT1_PKT2_S9_PT3_21rocsparse_index_base_b, .Lfunc_end199-_ZN9rocsparseL27csrmvn_lrb_long_rows_kernelIlid21rocsparse_complex_numIdES2_S2_EEvbT_PjPT0_S6_jNS_24const_host_device_scalarIT4_EEPKS3_PKS5_PKT1_PKT2_S9_PT3_21rocsparse_index_base_b
                                        ; -- End function
	.set _ZN9rocsparseL27csrmvn_lrb_long_rows_kernelIlid21rocsparse_complex_numIdES2_S2_EEvbT_PjPT0_S6_jNS_24const_host_device_scalarIT4_EEPKS3_PKS5_PKT1_PKT2_S9_PT3_21rocsparse_index_base_b.num_vgpr, 30
	.set _ZN9rocsparseL27csrmvn_lrb_long_rows_kernelIlid21rocsparse_complex_numIdES2_S2_EEvbT_PjPT0_S6_jNS_24const_host_device_scalarIT4_EEPKS3_PKS5_PKT1_PKT2_S9_PT3_21rocsparse_index_base_b.num_agpr, 0
	.set _ZN9rocsparseL27csrmvn_lrb_long_rows_kernelIlid21rocsparse_complex_numIdES2_S2_EEvbT_PjPT0_S6_jNS_24const_host_device_scalarIT4_EEPKS3_PKS5_PKT1_PKT2_S9_PT3_21rocsparse_index_base_b.numbered_sgpr, 28
	.set _ZN9rocsparseL27csrmvn_lrb_long_rows_kernelIlid21rocsparse_complex_numIdES2_S2_EEvbT_PjPT0_S6_jNS_24const_host_device_scalarIT4_EEPKS3_PKS5_PKT1_PKT2_S9_PT3_21rocsparse_index_base_b.num_named_barrier, 0
	.set _ZN9rocsparseL27csrmvn_lrb_long_rows_kernelIlid21rocsparse_complex_numIdES2_S2_EEvbT_PjPT0_S6_jNS_24const_host_device_scalarIT4_EEPKS3_PKS5_PKT1_PKT2_S9_PT3_21rocsparse_index_base_b.private_seg_size, 0
	.set _ZN9rocsparseL27csrmvn_lrb_long_rows_kernelIlid21rocsparse_complex_numIdES2_S2_EEvbT_PjPT0_S6_jNS_24const_host_device_scalarIT4_EEPKS3_PKS5_PKT1_PKT2_S9_PT3_21rocsparse_index_base_b.uses_vcc, 1
	.set _ZN9rocsparseL27csrmvn_lrb_long_rows_kernelIlid21rocsparse_complex_numIdES2_S2_EEvbT_PjPT0_S6_jNS_24const_host_device_scalarIT4_EEPKS3_PKS5_PKT1_PKT2_S9_PT3_21rocsparse_index_base_b.uses_flat_scratch, 0
	.set _ZN9rocsparseL27csrmvn_lrb_long_rows_kernelIlid21rocsparse_complex_numIdES2_S2_EEvbT_PjPT0_S6_jNS_24const_host_device_scalarIT4_EEPKS3_PKS5_PKT1_PKT2_S9_PT3_21rocsparse_index_base_b.has_dyn_sized_stack, 0
	.set _ZN9rocsparseL27csrmvn_lrb_long_rows_kernelIlid21rocsparse_complex_numIdES2_S2_EEvbT_PjPT0_S6_jNS_24const_host_device_scalarIT4_EEPKS3_PKS5_PKT1_PKT2_S9_PT3_21rocsparse_index_base_b.has_recursion, 0
	.set _ZN9rocsparseL27csrmvn_lrb_long_rows_kernelIlid21rocsparse_complex_numIdES2_S2_EEvbT_PjPT0_S6_jNS_24const_host_device_scalarIT4_EEPKS3_PKS5_PKT1_PKT2_S9_PT3_21rocsparse_index_base_b.has_indirect_call, 0
	.section	.AMDGPU.csdata,"",@progbits
; Kernel info:
; codeLenInByte = 1840
; TotalNumSgprs: 30
; NumVgprs: 30
; ScratchSize: 0
; MemoryBound: 0
; FloatMode: 240
; IeeeMode: 1
; LDSByteSize: 4096 bytes/workgroup (compile time only)
; SGPRBlocks: 0
; VGPRBlocks: 1
; NumSGPRsForWavesPerEU: 30
; NumVGPRsForWavesPerEU: 30
; NamedBarCnt: 0
; Occupancy: 16
; WaveLimiterHint : 1
; COMPUTE_PGM_RSRC2:SCRATCH_EN: 0
; COMPUTE_PGM_RSRC2:USER_SGPR: 2
; COMPUTE_PGM_RSRC2:TRAP_HANDLER: 0
; COMPUTE_PGM_RSRC2:TGID_X_EN: 1
; COMPUTE_PGM_RSRC2:TGID_Y_EN: 0
; COMPUTE_PGM_RSRC2:TGID_Z_EN: 0
; COMPUTE_PGM_RSRC2:TIDIG_COMP_CNT: 0
	.section	.text._ZN9rocsparseL28csrmvn_lrb_short_rows_kernelIlld21rocsparse_complex_numIdES2_S2_EEvbT_PT0_S5_jNS_24const_host_device_scalarIT4_EEPKS3_PKS4_PKT1_PKT2_S8_PT3_21rocsparse_index_base_b,"axG",@progbits,_ZN9rocsparseL28csrmvn_lrb_short_rows_kernelIlld21rocsparse_complex_numIdES2_S2_EEvbT_PT0_S5_jNS_24const_host_device_scalarIT4_EEPKS3_PKS4_PKT1_PKT2_S8_PT3_21rocsparse_index_base_b,comdat
	.globl	_ZN9rocsparseL28csrmvn_lrb_short_rows_kernelIlld21rocsparse_complex_numIdES2_S2_EEvbT_PT0_S5_jNS_24const_host_device_scalarIT4_EEPKS3_PKS4_PKT1_PKT2_S8_PT3_21rocsparse_index_base_b ; -- Begin function _ZN9rocsparseL28csrmvn_lrb_short_rows_kernelIlld21rocsparse_complex_numIdES2_S2_EEvbT_PT0_S5_jNS_24const_host_device_scalarIT4_EEPKS3_PKS4_PKT1_PKT2_S8_PT3_21rocsparse_index_base_b
	.p2align	8
	.type	_ZN9rocsparseL28csrmvn_lrb_short_rows_kernelIlld21rocsparse_complex_numIdES2_S2_EEvbT_PT0_S5_jNS_24const_host_device_scalarIT4_EEPKS3_PKS4_PKT1_PKT2_S8_PT3_21rocsparse_index_base_b,@function
_ZN9rocsparseL28csrmvn_lrb_short_rows_kernelIlld21rocsparse_complex_numIdES2_S2_EEvbT_PT0_S5_jNS_24const_host_device_scalarIT4_EEPKS3_PKS4_PKT1_PKT2_S8_PT3_21rocsparse_index_base_b: ; @_ZN9rocsparseL28csrmvn_lrb_short_rows_kernelIlld21rocsparse_complex_numIdES2_S2_EEvbT_PT0_S5_jNS_24const_host_device_scalarIT4_EEPKS3_PKS4_PKT1_PKT2_S8_PT3_21rocsparse_index_base_b
; %bb.0:
	s_clause 0x1
	s_load_b64 s[16:17], s[0:1], 0x70
	s_load_b64 s[2:3], s[0:1], 0x28
	v_mov_b32_e32 v1, 0
	s_add_nc_u64 s[4:5], s[0:1], 40
	s_load_b64 s[6:7], s[0:1], 0x58
	s_wait_kmcnt 0x0
	s_bitcmp1_b32 s17, 0
	s_cselect_b32 s3, s5, s3
	s_cselect_b32 s2, s4, s2
	flat_load_b128 v[6:9], v1, s[2:3]
	s_wait_xcnt 0x0
	s_add_nc_u64 s[2:3], s[0:1], 0x58
	s_delay_alu instid0(SALU_CYCLE_1)
	s_cselect_b32 s3, s3, s7
	s_cselect_b32 s2, s2, s6
	flat_load_b128 v[2:5], v1, s[2:3]
	s_wait_loadcnt_dscnt 0x101
	v_cmp_eq_f64_e32 vcc_lo, 0, v[6:7]
	s_wait_xcnt 0x0
	v_cmp_eq_f64_e64 s2, 0, v[8:9]
	s_and_b32 s4, vcc_lo, s2
	s_mov_b32 s2, -1
	s_and_saveexec_b32 s3, s4
	s_cbranch_execz .LBB200_2
; %bb.1:
	s_wait_loadcnt_dscnt 0x0
	v_cmp_neq_f64_e32 vcc_lo, 1.0, v[2:3]
	v_cmp_neq_f64_e64 s2, 0, v[4:5]
	s_or_b32 s2, vcc_lo, s2
	s_delay_alu instid0(SALU_CYCLE_1)
	s_or_not1_b32 s2, s2, exec_lo
.LBB200_2:
	s_or_b32 exec_lo, exec_lo, s3
	s_and_saveexec_b32 s3, s2
	s_cbranch_execz .LBB200_16
; %bb.3:
	s_clause 0x1
	s_load_b32 s20, s[0:1], 0x20
	s_load_b128 s[12:15], s[0:1], 0x10
	s_mov_b32 s17, 0
	s_getreg_b32 s7, hwreg(HW_REG_IB_STS2, 6, 4)
	s_mov_b32 s3, s17
	s_wait_kmcnt 0x0
	s_add_co_i32 s2, s20, 1
	s_delay_alu instid0(SALU_CYCLE_1) | instskip(NEXT) | instid1(SALU_CYCLE_1)
	s_lshl_b64 s[2:3], s[2:3], 3
	s_add_nc_u64 s[4:5], s[14:15], s[2:3]
	s_clause 0x1
	s_load_b64 s[2:3], s[14:15], s20 offset:0x0 scale_offset
	s_load_b32 s6, s[4:5], 0x0
	s_wait_xcnt 0x0
	s_bfe_u32 s4, ttmp6, 0x4000c
	s_and_b32 s5, ttmp6, 15
	s_add_co_i32 s4, s4, 1
	s_delay_alu instid0(SALU_CYCLE_1) | instskip(NEXT) | instid1(SALU_CYCLE_1)
	s_mul_i32 s4, ttmp9, s4
	s_add_co_i32 s5, s5, s4
	s_wait_kmcnt 0x0
	s_sub_co_i32 s6, s6, s2
	s_cmp_eq_u32 s7, 0
	s_cselect_b32 s4, ttmp9, s5
	s_delay_alu instid0(SALU_CYCLE_1) | instskip(NEXT) | instid1(SALU_CYCLE_1)
	s_lshl_b32 s14, s4, 8
	s_add_co_i32 s4, s14, 0x100
	s_delay_alu instid0(SALU_CYCLE_1)
	s_min_u32 s15, s6, s4
	s_cmp_gt_u32 s20, 23
	s_cbranch_scc1 .LBB200_10
; %bb.4:
	v_mul_f64_e32 v[14:15], 0x80000000, v[8:9]
	v_dual_mul_f64 v[16:17], 0, v[6:7] :: v_dual_mov_b32 v19, 0
	s_load_b256 s[4:11], s[0:1], 0x38
	v_bfe_u32 v18, v0, 0, s20
	v_lshl_add_u32 v1, v0, 4, 0
	s_lshl_b64 s[18:19], s[2:3], 3
	s_lshl_b32 s21, 0x100, s20
	s_add_nc_u64 s[18:19], s[12:13], s[18:19]
	s_mov_b32 s22, s17
	s_branch .LBB200_7
.LBB200_5:                              ;   in Loop: Header=BB200_7 Depth=1
	s_or_b32 exec_lo, exec_lo, s24
	ds_store_2addr_b64 v1, v[12:13], v[20:21] offset1:1
.LBB200_6:                              ;   in Loop: Header=BB200_7 Depth=1
	s_or_b32 exec_lo, exec_lo, s23
	v_add_nc_u32_e32 v1, 0x1000, v1
	s_addk_co_i32 s22, 0x100
	s_delay_alu instid0(SALU_CYCLE_1)
	s_cmp_ge_u32 s22, s21
	s_cbranch_scc1 .LBB200_10
.LBB200_7:                              ; =>This Inner Loop Header: Depth=1
	v_add_nc_u32_e32 v10, s22, v0
	s_mov_b32 s23, exec_lo
	s_delay_alu instid0(VALU_DEP_1) | instskip(NEXT) | instid1(VALU_DEP_1)
	v_lshrrev_b32_e32 v10, s20, v10
	v_add_nc_u32_e32 v10, s14, v10
	s_delay_alu instid0(VALU_DEP_1)
	v_cmpx_gt_u32_e64 s15, v10
	s_cbranch_execz .LBB200_6
; %bb.8:                                ;   in Loop: Header=BB200_7 Depth=1
	global_load_b64 v[10:11], v10, s[18:19] scale_offset
	s_wait_loadcnt 0x0
	s_wait_kmcnt 0x0
	s_wait_xcnt 0x0
	v_lshl_add_u64 v[10:11], v[10:11], 3, s[4:5]
	global_load_b128 v[10:13], v[10:11], off
	s_wait_loadcnt 0x0
	v_sub_nc_u64_e32 v[20:21], v[12:13], v[10:11]
	v_mov_b64_e32 v[12:13], 0
	s_delay_alu instid0(VALU_DEP_2)
	v_cmp_gt_i64_e32 vcc_lo, v[20:21], v[18:19]
	v_mov_b64_e32 v[20:21], 0
	s_wait_xcnt 0x0
	s_and_saveexec_b32 s24, vcc_lo
	s_cbranch_execz .LBB200_5
; %bb.9:                                ;   in Loop: Header=BB200_7 Depth=1
	v_sub_nc_u64_e64 v[10:11], v[10:11], s[16:17]
	s_delay_alu instid0(VALU_DEP_1) | instskip(NEXT) | instid1(VALU_DEP_1)
	v_add_nc_u64_e32 v[10:11], v[10:11], v[18:19]
	v_lshlrev_b64_e32 v[10:11], 3, v[10:11]
	s_delay_alu instid0(VALU_DEP_1)
	v_add_nc_u64_e32 v[12:13], s[6:7], v[10:11]
	v_add_nc_u64_e32 v[10:11], s[8:9], v[10:11]
	global_load_b64 v[12:13], v[12:13], off
	global_load_b64 v[10:11], v[10:11], off
	s_wait_loadcnt 0x1
	s_wait_xcnt 0x1
	v_sub_nc_u64_e64 v[12:13], v[12:13], s[16:17]
	s_wait_loadcnt 0x0
	v_fma_f64 v[26:27], v[8:9], v[10:11], v[16:17]
	s_wait_xcnt 0x0
	v_fma_f64 v[10:11], v[6:7], v[10:11], v[14:15]
	s_delay_alu instid0(VALU_DEP_3)
	v_lshl_add_u64 v[12:13], v[12:13], 4, s[10:11]
	global_load_b128 v[22:25], v[12:13], off
	s_wait_loadcnt 0x0
	s_wait_xcnt 0x0
	v_mul_f64_e64 v[12:13], v[24:25], -v[26:27]
	v_mul_f64_e32 v[20:21], v[10:11], v[24:25]
	s_delay_alu instid0(VALU_DEP_2) | instskip(NEXT) | instid1(VALU_DEP_2)
	v_fmac_f64_e32 v[12:13], v[10:11], v[22:23]
	v_fmac_f64_e32 v[20:21], v[26:27], v[22:23]
	s_branch .LBB200_5
.LBB200_10:
	s_wait_kmcnt 0x0
	s_sub_co_i32 s4, s15, s14
	s_wait_loadcnt_dscnt 0x0
	v_cmp_gt_u32_e32 vcc_lo, s4, v0
	s_barrier_signal -1
	s_barrier_wait -1
	s_and_b32 exec_lo, exec_lo, vcc_lo
	s_cbranch_execz .LBB200_16
; %bb.11:
	s_lshl_b64 s[2:3], s[2:3], 3
	s_mov_b32 s15, 0
	s_add_nc_u64 s[2:3], s[12:13], s[2:3]
	s_lshl_b64 s[4:5], s[14:15], 3
	v_mov_b64_e32 v[8:9], 0
	s_add_nc_u64 s[2:3], s[2:3], s[4:5]
	global_load_b64 v[10:11], v0, s[2:3] scale_offset
	s_wait_xcnt 0x0
	s_load_b64 s[2:3], s[0:1], 0x68
	v_lshlrev_b32_e32 v0, s20, v0
	s_wait_xcnt 0x0
	s_mov_b32 s0, 1
	v_mov_b64_e32 v[6:7], v[8:9]
	s_delay_alu instid0(VALU_DEP_2)
	v_lshl_add_u32 v0, v0, 4, 0
.LBB200_12:                             ; =>This Inner Loop Header: Depth=1
	ds_load_2addr_b64 v[12:15], v0 offset1:1
	s_lshr_b32 s1, s0, s20
	s_add_co_i32 s0, s0, 1
	s_cmp_lg_u32 s1, 0
	s_wait_dscnt 0x0
	v_dual_add_f64 v[8:9], v[8:9], v[14:15] :: v_dual_add_nc_u32 v0, 16, v0
	v_add_f64_e32 v[6:7], v[6:7], v[12:13]
	s_cbranch_scc0 .LBB200_12
; %bb.13:
	v_cmp_neq_f64_e32 vcc_lo, 0, v[2:3]
	v_cmp_neq_f64_e64 s0, 0, v[4:5]
	s_wait_loadcnt 0x0
	s_wait_kmcnt 0x0
	v_lshl_add_u64 v[0:1], v[10:11], 4, s[2:3]
	s_or_b32 s1, vcc_lo, s0
	s_delay_alu instid0(SALU_CYCLE_1)
	s_and_saveexec_b32 s0, s1
	s_cbranch_execz .LBB200_15
; %bb.14:
	global_load_b128 v[10:13], v[0:1], off
	s_wait_loadcnt 0x0
	v_fmac_f64_e32 v[6:7], v[2:3], v[10:11]
	v_fmac_f64_e32 v[8:9], v[4:5], v[10:11]
	s_delay_alu instid0(VALU_DEP_2) | instskip(NEXT) | instid1(VALU_DEP_2)
	v_fma_f64 v[6:7], -v[4:5], v[12:13], v[6:7]
	v_fmac_f64_e32 v[8:9], v[2:3], v[12:13]
.LBB200_15:
	s_or_b32 exec_lo, exec_lo, s0
	global_store_b128 v[0:1], v[6:9], off
.LBB200_16:
	s_endpgm
	.section	.rodata,"a",@progbits
	.p2align	6, 0x0
	.amdhsa_kernel _ZN9rocsparseL28csrmvn_lrb_short_rows_kernelIlld21rocsparse_complex_numIdES2_S2_EEvbT_PT0_S5_jNS_24const_host_device_scalarIT4_EEPKS3_PKS4_PKT1_PKT2_S8_PT3_21rocsparse_index_base_b
		.amdhsa_group_segment_fixed_size 0
		.amdhsa_private_segment_fixed_size 0
		.amdhsa_kernarg_size 120
		.amdhsa_user_sgpr_count 2
		.amdhsa_user_sgpr_dispatch_ptr 0
		.amdhsa_user_sgpr_queue_ptr 0
		.amdhsa_user_sgpr_kernarg_segment_ptr 1
		.amdhsa_user_sgpr_dispatch_id 0
		.amdhsa_user_sgpr_kernarg_preload_length 0
		.amdhsa_user_sgpr_kernarg_preload_offset 0
		.amdhsa_user_sgpr_private_segment_size 0
		.amdhsa_wavefront_size32 1
		.amdhsa_uses_dynamic_stack 0
		.amdhsa_enable_private_segment 0
		.amdhsa_system_sgpr_workgroup_id_x 1
		.amdhsa_system_sgpr_workgroup_id_y 0
		.amdhsa_system_sgpr_workgroup_id_z 0
		.amdhsa_system_sgpr_workgroup_info 0
		.amdhsa_system_vgpr_workitem_id 0
		.amdhsa_next_free_vgpr 28
		.amdhsa_next_free_sgpr 25
		.amdhsa_named_barrier_count 0
		.amdhsa_reserve_vcc 1
		.amdhsa_float_round_mode_32 0
		.amdhsa_float_round_mode_16_64 0
		.amdhsa_float_denorm_mode_32 3
		.amdhsa_float_denorm_mode_16_64 3
		.amdhsa_fp16_overflow 0
		.amdhsa_memory_ordered 1
		.amdhsa_forward_progress 1
		.amdhsa_inst_pref_size 8
		.amdhsa_round_robin_scheduling 0
		.amdhsa_exception_fp_ieee_invalid_op 0
		.amdhsa_exception_fp_denorm_src 0
		.amdhsa_exception_fp_ieee_div_zero 0
		.amdhsa_exception_fp_ieee_overflow 0
		.amdhsa_exception_fp_ieee_underflow 0
		.amdhsa_exception_fp_ieee_inexact 0
		.amdhsa_exception_int_div_zero 0
	.end_amdhsa_kernel
	.section	.text._ZN9rocsparseL28csrmvn_lrb_short_rows_kernelIlld21rocsparse_complex_numIdES2_S2_EEvbT_PT0_S5_jNS_24const_host_device_scalarIT4_EEPKS3_PKS4_PKT1_PKT2_S8_PT3_21rocsparse_index_base_b,"axG",@progbits,_ZN9rocsparseL28csrmvn_lrb_short_rows_kernelIlld21rocsparse_complex_numIdES2_S2_EEvbT_PT0_S5_jNS_24const_host_device_scalarIT4_EEPKS3_PKS4_PKT1_PKT2_S8_PT3_21rocsparse_index_base_b,comdat
.Lfunc_end200:
	.size	_ZN9rocsparseL28csrmvn_lrb_short_rows_kernelIlld21rocsparse_complex_numIdES2_S2_EEvbT_PT0_S5_jNS_24const_host_device_scalarIT4_EEPKS3_PKS4_PKT1_PKT2_S8_PT3_21rocsparse_index_base_b, .Lfunc_end200-_ZN9rocsparseL28csrmvn_lrb_short_rows_kernelIlld21rocsparse_complex_numIdES2_S2_EEvbT_PT0_S5_jNS_24const_host_device_scalarIT4_EEPKS3_PKS4_PKT1_PKT2_S8_PT3_21rocsparse_index_base_b
                                        ; -- End function
	.set _ZN9rocsparseL28csrmvn_lrb_short_rows_kernelIlld21rocsparse_complex_numIdES2_S2_EEvbT_PT0_S5_jNS_24const_host_device_scalarIT4_EEPKS3_PKS4_PKT1_PKT2_S8_PT3_21rocsparse_index_base_b.num_vgpr, 28
	.set _ZN9rocsparseL28csrmvn_lrb_short_rows_kernelIlld21rocsparse_complex_numIdES2_S2_EEvbT_PT0_S5_jNS_24const_host_device_scalarIT4_EEPKS3_PKS4_PKT1_PKT2_S8_PT3_21rocsparse_index_base_b.num_agpr, 0
	.set _ZN9rocsparseL28csrmvn_lrb_short_rows_kernelIlld21rocsparse_complex_numIdES2_S2_EEvbT_PT0_S5_jNS_24const_host_device_scalarIT4_EEPKS3_PKS4_PKT1_PKT2_S8_PT3_21rocsparse_index_base_b.numbered_sgpr, 25
	.set _ZN9rocsparseL28csrmvn_lrb_short_rows_kernelIlld21rocsparse_complex_numIdES2_S2_EEvbT_PT0_S5_jNS_24const_host_device_scalarIT4_EEPKS3_PKS4_PKT1_PKT2_S8_PT3_21rocsparse_index_base_b.num_named_barrier, 0
	.set _ZN9rocsparseL28csrmvn_lrb_short_rows_kernelIlld21rocsparse_complex_numIdES2_S2_EEvbT_PT0_S5_jNS_24const_host_device_scalarIT4_EEPKS3_PKS4_PKT1_PKT2_S8_PT3_21rocsparse_index_base_b.private_seg_size, 0
	.set _ZN9rocsparseL28csrmvn_lrb_short_rows_kernelIlld21rocsparse_complex_numIdES2_S2_EEvbT_PT0_S5_jNS_24const_host_device_scalarIT4_EEPKS3_PKS4_PKT1_PKT2_S8_PT3_21rocsparse_index_base_b.uses_vcc, 1
	.set _ZN9rocsparseL28csrmvn_lrb_short_rows_kernelIlld21rocsparse_complex_numIdES2_S2_EEvbT_PT0_S5_jNS_24const_host_device_scalarIT4_EEPKS3_PKS4_PKT1_PKT2_S8_PT3_21rocsparse_index_base_b.uses_flat_scratch, 0
	.set _ZN9rocsparseL28csrmvn_lrb_short_rows_kernelIlld21rocsparse_complex_numIdES2_S2_EEvbT_PT0_S5_jNS_24const_host_device_scalarIT4_EEPKS3_PKS4_PKT1_PKT2_S8_PT3_21rocsparse_index_base_b.has_dyn_sized_stack, 0
	.set _ZN9rocsparseL28csrmvn_lrb_short_rows_kernelIlld21rocsparse_complex_numIdES2_S2_EEvbT_PT0_S5_jNS_24const_host_device_scalarIT4_EEPKS3_PKS4_PKT1_PKT2_S8_PT3_21rocsparse_index_base_b.has_recursion, 0
	.set _ZN9rocsparseL28csrmvn_lrb_short_rows_kernelIlld21rocsparse_complex_numIdES2_S2_EEvbT_PT0_S5_jNS_24const_host_device_scalarIT4_EEPKS3_PKS4_PKT1_PKT2_S8_PT3_21rocsparse_index_base_b.has_indirect_call, 0
	.section	.AMDGPU.csdata,"",@progbits
; Kernel info:
; codeLenInByte = 964
; TotalNumSgprs: 27
; NumVgprs: 28
; ScratchSize: 0
; MemoryBound: 0
; FloatMode: 240
; IeeeMode: 1
; LDSByteSize: 0 bytes/workgroup (compile time only)
; SGPRBlocks: 0
; VGPRBlocks: 1
; NumSGPRsForWavesPerEU: 27
; NumVGPRsForWavesPerEU: 28
; NamedBarCnt: 0
; Occupancy: 16
; WaveLimiterHint : 1
; COMPUTE_PGM_RSRC2:SCRATCH_EN: 0
; COMPUTE_PGM_RSRC2:USER_SGPR: 2
; COMPUTE_PGM_RSRC2:TRAP_HANDLER: 0
; COMPUTE_PGM_RSRC2:TGID_X_EN: 1
; COMPUTE_PGM_RSRC2:TGID_Y_EN: 0
; COMPUTE_PGM_RSRC2:TGID_Z_EN: 0
; COMPUTE_PGM_RSRC2:TIDIG_COMP_CNT: 0
	.section	.text._ZN9rocsparseL30csrmvn_lrb_short_rows_2_kernelIlld21rocsparse_complex_numIdES2_S2_EEvbT_PT0_S5_jNS_24const_host_device_scalarIT4_EEPKS3_PKS4_PKT1_PKT2_S8_PT3_21rocsparse_index_base_b,"axG",@progbits,_ZN9rocsparseL30csrmvn_lrb_short_rows_2_kernelIlld21rocsparse_complex_numIdES2_S2_EEvbT_PT0_S5_jNS_24const_host_device_scalarIT4_EEPKS3_PKS4_PKT1_PKT2_S8_PT3_21rocsparse_index_base_b,comdat
	.globl	_ZN9rocsparseL30csrmvn_lrb_short_rows_2_kernelIlld21rocsparse_complex_numIdES2_S2_EEvbT_PT0_S5_jNS_24const_host_device_scalarIT4_EEPKS3_PKS4_PKT1_PKT2_S8_PT3_21rocsparse_index_base_b ; -- Begin function _ZN9rocsparseL30csrmvn_lrb_short_rows_2_kernelIlld21rocsparse_complex_numIdES2_S2_EEvbT_PT0_S5_jNS_24const_host_device_scalarIT4_EEPKS3_PKS4_PKT1_PKT2_S8_PT3_21rocsparse_index_base_b
	.p2align	8
	.type	_ZN9rocsparseL30csrmvn_lrb_short_rows_2_kernelIlld21rocsparse_complex_numIdES2_S2_EEvbT_PT0_S5_jNS_24const_host_device_scalarIT4_EEPKS3_PKS4_PKT1_PKT2_S8_PT3_21rocsparse_index_base_b,@function
_ZN9rocsparseL30csrmvn_lrb_short_rows_2_kernelIlld21rocsparse_complex_numIdES2_S2_EEvbT_PT0_S5_jNS_24const_host_device_scalarIT4_EEPKS3_PKS4_PKT1_PKT2_S8_PT3_21rocsparse_index_base_b: ; @_ZN9rocsparseL30csrmvn_lrb_short_rows_2_kernelIlld21rocsparse_complex_numIdES2_S2_EEvbT_PT0_S5_jNS_24const_host_device_scalarIT4_EEPKS3_PKS4_PKT1_PKT2_S8_PT3_21rocsparse_index_base_b
; %bb.0:
	s_clause 0x1
	s_load_b64 s[16:17], s[0:1], 0x70
	s_load_b64 s[2:3], s[0:1], 0x28
	v_mov_b32_e32 v1, 0
	s_add_nc_u64 s[4:5], s[0:1], 40
	s_load_b64 s[6:7], s[0:1], 0x58
	s_wait_kmcnt 0x0
	s_bitcmp1_b32 s17, 0
	s_cselect_b32 s3, s5, s3
	s_cselect_b32 s2, s4, s2
	flat_load_b128 v[6:9], v1, s[2:3]
	s_wait_xcnt 0x0
	s_add_nc_u64 s[2:3], s[0:1], 0x58
	s_delay_alu instid0(SALU_CYCLE_1)
	s_cselect_b32 s3, s3, s7
	s_cselect_b32 s2, s2, s6
	flat_load_b128 v[2:5], v1, s[2:3]
	s_wait_loadcnt_dscnt 0x101
	v_cmp_eq_f64_e32 vcc_lo, 0, v[6:7]
	s_wait_xcnt 0x0
	v_cmp_eq_f64_e64 s2, 0, v[8:9]
	s_and_b32 s4, vcc_lo, s2
	s_mov_b32 s2, -1
	s_and_saveexec_b32 s3, s4
	s_cbranch_execz .LBB201_2
; %bb.1:
	s_wait_loadcnt_dscnt 0x0
	v_cmp_neq_f64_e32 vcc_lo, 1.0, v[2:3]
	v_cmp_neq_f64_e64 s2, 0, v[4:5]
	s_or_b32 s2, vcc_lo, s2
	s_delay_alu instid0(SALU_CYCLE_1)
	s_or_not1_b32 s2, s2, exec_lo
.LBB201_2:
	s_or_b32 exec_lo, exec_lo, s3
	s_and_saveexec_b32 s3, s2
	s_cbranch_execz .LBB201_28
; %bb.3:
	s_clause 0x1
	s_load_b32 s18, s[0:1], 0x20
	s_load_b128 s[12:15], s[0:1], 0x10
	s_mov_b32 s3, 0
	v_mul_f64_e32 v[20:21], 0x80000000, v[8:9]
	v_mul_f64_e32 v[18:19], 0, v[6:7]
	s_getreg_b32 s17, hwreg(HW_REG_IB_STS2, 6, 4)
	v_mov_b32_e32 v23, 0
	s_wait_kmcnt 0x0
	s_add_co_i32 s2, s18, 1
	s_lshr_b32 s19, 0x400, s18
	s_lshl_b64 s[4:5], s[2:3], 3
	v_lshrrev_b32_e32 v1, s18, v0
	s_add_nc_u64 s[4:5], s[14:15], s[4:5]
	s_clause 0x1
	s_load_b64 s[22:23], s[14:15], s18 offset:0x0 scale_offset
	s_load_b32 s2, s[4:5], 0x0
	s_wait_xcnt 0x0
	s_bfe_u32 s14, ttmp6, 0x4000c
	s_load_b256 s[4:11], s[0:1], 0x38
	s_add_co_i32 s14, s14, 1
	s_and_b32 s15, ttmp6, 15
	s_mul_i32 s14, ttmp9, s14
	v_bfe_u32 v22, v0, 0, s18
	s_add_co_i32 s15, s15, s14
	s_wait_kmcnt 0x0
	s_sub_co_i32 s14, s2, s22
	s_cmp_eq_u32 s17, 0
	s_mov_b32 s17, s3
	s_cselect_b32 s2, ttmp9, s15
	s_mov_b32 s3, exec_lo
	s_mul_i32 s2, s19, s2
	s_delay_alu instid0(SALU_CYCLE_1) | instskip(SKIP_3) | instid1(SALU_CYCLE_1)
	s_add_co_i32 s15, s2, s19
	v_add_nc_u32_e32 v1, s2, v1
	s_min_u32 s20, s14, s15
	s_lshl_b64 s[14:15], s[22:23], 3
	s_add_nc_u64 s[14:15], s[12:13], s[14:15]
	s_delay_alu instid0(VALU_DEP_1)
	v_cmpx_gt_u32_e64 s20, v1
	s_cbranch_execz .LBB201_7
; %bb.4:
	global_load_b64 v[10:11], v1, s[14:15] scale_offset
	s_wait_loadcnt 0x0
	v_lshl_add_u64 v[10:11], v[10:11], 3, s[4:5]
	global_load_b128 v[14:17], v[10:11], off
	s_wait_xcnt 0x0
	v_mov_b64_e32 v[10:11], 0
	s_wait_loadcnt 0x0
	v_sub_nc_u64_e32 v[12:13], v[16:17], v[14:15]
	s_delay_alu instid0(VALU_DEP_1)
	v_cmp_gt_i64_e32 vcc_lo, v[12:13], v[22:23]
	v_mov_b64_e32 v[12:13], 0
	s_and_saveexec_b32 s12, vcc_lo
	s_cbranch_execz .LBB201_6
; %bb.5:
	v_sub_nc_u64_e64 v[10:11], v[14:15], s[16:17]
	s_delay_alu instid0(VALU_DEP_1) | instskip(NEXT) | instid1(VALU_DEP_1)
	v_add_nc_u64_e32 v[10:11], v[10:11], v[22:23]
	v_lshlrev_b64_e32 v[10:11], 3, v[10:11]
	s_delay_alu instid0(VALU_DEP_1)
	v_add_nc_u64_e32 v[12:13], s[6:7], v[10:11]
	v_add_nc_u64_e32 v[10:11], s[8:9], v[10:11]
	global_load_b64 v[12:13], v[12:13], off
	global_load_b64 v[10:11], v[10:11], off
	s_wait_loadcnt 0x1
	s_wait_xcnt 0x1
	v_sub_nc_u64_e64 v[12:13], v[12:13], s[16:17]
	s_wait_loadcnt 0x0
	v_fma_f64 v[24:25], v[8:9], v[10:11], v[18:19]
	v_fma_f64 v[26:27], v[6:7], v[10:11], v[20:21]
	s_delay_alu instid0(VALU_DEP_3) | instskip(SKIP_4) | instid1(VALU_DEP_2)
	v_lshl_add_u64 v[12:13], v[12:13], 4, s[10:11]
	global_load_b128 v[14:17], v[12:13], off
	s_wait_loadcnt 0x0
	v_mul_f64_e64 v[10:11], v[16:17], -v[24:25]
	v_mul_f64_e32 v[12:13], v[26:27], v[16:17]
	v_fmac_f64_e32 v[10:11], v[26:27], v[14:15]
	s_delay_alu instid0(VALU_DEP_2)
	v_fmac_f64_e32 v[12:13], v[24:25], v[14:15]
.LBB201_6:
	s_or_b32 exec_lo, exec_lo, s12
	v_lshlrev_b32_e32 v1, 4, v0
	ds_store_b128 v1, v[10:13]
.LBB201_7:
	s_or_b32 exec_lo, exec_lo, s3
	s_load_b64 s[12:13], s[0:1], 0x68
	v_or_b32_e32 v1, 0x100, v0
	s_wait_xcnt 0x0
	s_mov_b32 s0, exec_lo
	s_delay_alu instid0(VALU_DEP_1) | instskip(NEXT) | instid1(VALU_DEP_1)
	v_lshrrev_b32_e32 v1, s18, v1
	v_add_nc_u32_e32 v1, s2, v1
	s_delay_alu instid0(VALU_DEP_1)
	v_cmpx_gt_u32_e64 s20, v1
	s_cbranch_execz .LBB201_11
; %bb.8:
	global_load_b64 v[10:11], v1, s[14:15] scale_offset
	s_wait_loadcnt 0x0
	v_lshl_add_u64 v[10:11], v[10:11], 3, s[4:5]
	global_load_b128 v[14:17], v[10:11], off
	s_wait_xcnt 0x0
	v_mov_b64_e32 v[10:11], 0
	s_wait_loadcnt 0x0
	v_sub_nc_u64_e32 v[12:13], v[16:17], v[14:15]
	s_delay_alu instid0(VALU_DEP_1)
	v_cmp_gt_i64_e32 vcc_lo, v[12:13], v[22:23]
	v_mov_b64_e32 v[12:13], 0
	s_and_saveexec_b32 s1, vcc_lo
	s_cbranch_execz .LBB201_10
; %bb.9:
	v_sub_nc_u64_e64 v[10:11], v[14:15], s[16:17]
	s_delay_alu instid0(VALU_DEP_1) | instskip(NEXT) | instid1(VALU_DEP_1)
	v_add_nc_u64_e32 v[10:11], v[10:11], v[22:23]
	v_lshlrev_b64_e32 v[10:11], 3, v[10:11]
	s_delay_alu instid0(VALU_DEP_1)
	v_add_nc_u64_e32 v[12:13], s[6:7], v[10:11]
	v_add_nc_u64_e32 v[10:11], s[8:9], v[10:11]
	global_load_b64 v[12:13], v[12:13], off
	global_load_b64 v[10:11], v[10:11], off
	s_wait_loadcnt 0x1
	s_wait_xcnt 0x1
	v_sub_nc_u64_e64 v[12:13], v[12:13], s[16:17]
	s_wait_loadcnt 0x0
	v_fma_f64 v[24:25], v[8:9], v[10:11], v[18:19]
	v_fma_f64 v[26:27], v[6:7], v[10:11], v[20:21]
	s_delay_alu instid0(VALU_DEP_3) | instskip(SKIP_4) | instid1(VALU_DEP_2)
	v_lshl_add_u64 v[12:13], v[12:13], 4, s[10:11]
	global_load_b128 v[14:17], v[12:13], off
	s_wait_loadcnt 0x0
	v_mul_f64_e64 v[10:11], v[16:17], -v[24:25]
	v_mul_f64_e32 v[12:13], v[26:27], v[16:17]
	v_fmac_f64_e32 v[10:11], v[26:27], v[14:15]
	s_delay_alu instid0(VALU_DEP_2)
	v_fmac_f64_e32 v[12:13], v[24:25], v[14:15]
.LBB201_10:
	s_or_b32 exec_lo, exec_lo, s1
	v_lshlrev_b32_e32 v1, 4, v0
	ds_store_b128 v1, v[10:13] offset:4096
.LBB201_11:
	s_or_b32 exec_lo, exec_lo, s0
	v_or_b32_e32 v1, 0x200, v0
	s_mov_b32 s0, exec_lo
	s_delay_alu instid0(VALU_DEP_1) | instskip(NEXT) | instid1(VALU_DEP_1)
	v_lshrrev_b32_e32 v1, s18, v1
	v_add_nc_u32_e32 v1, s2, v1
	s_delay_alu instid0(VALU_DEP_1)
	v_cmpx_gt_u32_e64 s20, v1
	s_cbranch_execz .LBB201_15
; %bb.12:
	global_load_b64 v[10:11], v1, s[14:15] scale_offset
	s_wait_loadcnt 0x0
	v_lshl_add_u64 v[10:11], v[10:11], 3, s[4:5]
	global_load_b128 v[14:17], v[10:11], off
	s_wait_xcnt 0x0
	v_mov_b64_e32 v[10:11], 0
	s_wait_loadcnt 0x0
	v_sub_nc_u64_e32 v[12:13], v[16:17], v[14:15]
	s_delay_alu instid0(VALU_DEP_1)
	v_cmp_gt_i64_e32 vcc_lo, v[12:13], v[22:23]
	v_mov_b64_e32 v[12:13], 0
	s_and_saveexec_b32 s1, vcc_lo
	s_cbranch_execz .LBB201_14
; %bb.13:
	v_sub_nc_u64_e64 v[10:11], v[14:15], s[16:17]
	s_delay_alu instid0(VALU_DEP_1) | instskip(NEXT) | instid1(VALU_DEP_1)
	v_add_nc_u64_e32 v[10:11], v[10:11], v[22:23]
	v_lshlrev_b64_e32 v[10:11], 3, v[10:11]
	s_delay_alu instid0(VALU_DEP_1)
	v_add_nc_u64_e32 v[12:13], s[6:7], v[10:11]
	v_add_nc_u64_e32 v[10:11], s[8:9], v[10:11]
	global_load_b64 v[12:13], v[12:13], off
	global_load_b64 v[10:11], v[10:11], off
	s_wait_loadcnt 0x1
	s_wait_xcnt 0x1
	v_sub_nc_u64_e64 v[12:13], v[12:13], s[16:17]
	s_wait_loadcnt 0x0
	v_fma_f64 v[24:25], v[8:9], v[10:11], v[18:19]
	v_fma_f64 v[26:27], v[6:7], v[10:11], v[20:21]
	s_delay_alu instid0(VALU_DEP_3) | instskip(SKIP_4) | instid1(VALU_DEP_2)
	v_lshl_add_u64 v[12:13], v[12:13], 4, s[10:11]
	global_load_b128 v[14:17], v[12:13], off
	s_wait_loadcnt 0x0
	v_mul_f64_e64 v[10:11], v[16:17], -v[24:25]
	v_mul_f64_e32 v[12:13], v[26:27], v[16:17]
	v_fmac_f64_e32 v[10:11], v[26:27], v[14:15]
	s_delay_alu instid0(VALU_DEP_2)
	v_fmac_f64_e32 v[12:13], v[24:25], v[14:15]
.LBB201_14:
	s_or_b32 exec_lo, exec_lo, s1
	v_lshlrev_b32_e32 v1, 4, v0
	ds_store_b128 v1, v[10:13] offset:8192
.LBB201_15:
	s_or_b32 exec_lo, exec_lo, s0
	v_or_b32_e32 v1, 0x300, v0
	s_mov_b32 s0, exec_lo
	s_delay_alu instid0(VALU_DEP_1) | instskip(NEXT) | instid1(VALU_DEP_1)
	v_lshrrev_b32_e32 v1, s18, v1
	v_add_nc_u32_e32 v1, s2, v1
	s_delay_alu instid0(VALU_DEP_1)
	v_cmpx_gt_u32_e64 s20, v1
	s_cbranch_execz .LBB201_19
; %bb.16:
	global_load_b64 v[10:11], v1, s[14:15] scale_offset
	s_wait_loadcnt 0x0
	v_lshl_add_u64 v[10:11], v[10:11], 3, s[4:5]
	global_load_b128 v[14:17], v[10:11], off
	s_wait_xcnt 0x0
	v_mov_b64_e32 v[10:11], 0
	s_wait_loadcnt 0x0
	v_sub_nc_u64_e32 v[12:13], v[16:17], v[14:15]
	s_delay_alu instid0(VALU_DEP_1)
	v_cmp_gt_i64_e32 vcc_lo, v[12:13], v[22:23]
	v_mov_b64_e32 v[12:13], 0
	s_and_saveexec_b32 s1, vcc_lo
	s_cbranch_execz .LBB201_18
; %bb.17:
	v_sub_nc_u64_e64 v[10:11], v[14:15], s[16:17]
	s_delay_alu instid0(VALU_DEP_1) | instskip(NEXT) | instid1(VALU_DEP_1)
	v_add_nc_u64_e32 v[10:11], v[10:11], v[22:23]
	v_lshlrev_b64_e32 v[10:11], 3, v[10:11]
	s_delay_alu instid0(VALU_DEP_1)
	v_add_nc_u64_e32 v[12:13], s[6:7], v[10:11]
	v_add_nc_u64_e32 v[10:11], s[8:9], v[10:11]
	global_load_b64 v[12:13], v[12:13], off
	global_load_b64 v[10:11], v[10:11], off
	s_wait_loadcnt 0x1
	s_wait_xcnt 0x1
	v_sub_nc_u64_e64 v[12:13], v[12:13], s[16:17]
	s_wait_loadcnt 0x0
	v_fmac_f64_e32 v[18:19], v[8:9], v[10:11]
	v_fmac_f64_e32 v[20:21], v[6:7], v[10:11]
	s_delay_alu instid0(VALU_DEP_3) | instskip(SKIP_4) | instid1(VALU_DEP_2)
	v_lshl_add_u64 v[12:13], v[12:13], 4, s[10:11]
	global_load_b128 v[14:17], v[12:13], off
	s_wait_loadcnt 0x0
	v_mul_f64_e64 v[10:11], v[16:17], -v[18:19]
	v_mul_f64_e32 v[12:13], v[20:21], v[16:17]
	v_fmac_f64_e32 v[10:11], v[20:21], v[14:15]
	s_delay_alu instid0(VALU_DEP_2)
	v_fmac_f64_e32 v[12:13], v[18:19], v[14:15]
.LBB201_18:
	s_or_b32 exec_lo, exec_lo, s1
	v_lshlrev_b32_e32 v1, 4, v0
	ds_store_b128 v1, v[10:13] offset:12288
.LBB201_19:
	s_or_b32 exec_lo, exec_lo, s0
	s_cmp_lt_u32 s18, 11
	s_wait_loadcnt_dscnt 0x0
	s_barrier_signal -1
	s_barrier_wait -1
	s_cbranch_scc0 .LBB201_28
; %bb.20:
	v_cmp_neq_f64_e32 vcc_lo, 0, v[2:3]
	v_cmp_neq_f64_e64 s0, 0, v[4:5]
	s_mov_b32 s3, 0
	s_sub_co_i32 s1, s20, s2
	s_lshl_b64 s[4:5], s[2:3], 3
	s_delay_alu instid0(SALU_CYCLE_1)
	s_add_nc_u64 s[4:5], s[14:15], s[4:5]
	s_or_b32 s0, vcc_lo, s0
	s_branch .LBB201_23
.LBB201_21:                             ;   in Loop: Header=BB201_23 Depth=1
	s_wait_xcnt 0x0
	s_or_b32 exec_lo, exec_lo, s6
	global_store_b128 v[10:11], v[6:9], off
.LBB201_22:                             ;   in Loop: Header=BB201_23 Depth=1
	s_wait_xcnt 0x0
	s_or_b32 exec_lo, exec_lo, s2
	s_addk_co_i32 s3, 0x100
	s_delay_alu instid0(SALU_CYCLE_1)
	s_cmp_lt_u32 s3, s19
	s_cbranch_scc0 .LBB201_28
.LBB201_23:                             ; =>This Loop Header: Depth=1
                                        ;     Child Loop BB201_25 Depth 2
	v_add_nc_u32_e32 v1, s3, v0
	s_mov_b32 s2, exec_lo
	s_delay_alu instid0(VALU_DEP_1)
	v_cmpx_gt_u32_e64 s1, v1
	s_cbranch_execz .LBB201_22
; %bb.24:                               ;   in Loop: Header=BB201_23 Depth=1
	global_load_b64 v[10:11], v1, s[4:5] scale_offset
	v_mov_b64_e32 v[8:9], 0
	s_wait_xcnt 0x0
	v_lshlrev_b32_e32 v1, s18, v1
	s_mov_b32 s6, 1
	s_delay_alu instid0(VALU_DEP_1) | instskip(NEXT) | instid1(VALU_DEP_3)
	v_lshlrev_b32_e32 v1, 4, v1
	v_mov_b64_e32 v[6:7], v[8:9]
.LBB201_25:                             ;   Parent Loop BB201_23 Depth=1
                                        ; =>  This Inner Loop Header: Depth=2
	ds_load_b128 v[12:15], v1
	s_lshr_b32 s7, s6, s18
	s_add_co_i32 s6, s6, 1
	s_cmp_lg_u32 s7, 0
	s_wait_dscnt 0x0
	v_dual_add_f64 v[8:9], v[8:9], v[14:15] :: v_dual_add_nc_u32 v1, 16, v1
	v_add_f64_e32 v[6:7], v[6:7], v[12:13]
	s_cbranch_scc0 .LBB201_25
; %bb.26:                               ;   in Loop: Header=BB201_23 Depth=1
	s_wait_loadcnt 0x0
	s_wait_kmcnt 0x0
	v_lshl_add_u64 v[10:11], v[10:11], 4, s[12:13]
	s_and_saveexec_b32 s6, s0
	s_cbranch_execz .LBB201_21
; %bb.27:                               ;   in Loop: Header=BB201_23 Depth=1
	global_load_b128 v[12:15], v[10:11], off
	s_wait_loadcnt 0x0
	v_fmac_f64_e32 v[6:7], v[2:3], v[12:13]
	v_fmac_f64_e32 v[8:9], v[4:5], v[12:13]
	s_delay_alu instid0(VALU_DEP_2) | instskip(NEXT) | instid1(VALU_DEP_2)
	v_fma_f64 v[6:7], -v[4:5], v[14:15], v[6:7]
	v_fmac_f64_e32 v[8:9], v[2:3], v[14:15]
	s_branch .LBB201_21
.LBB201_28:
	s_endpgm
	.section	.rodata,"a",@progbits
	.p2align	6, 0x0
	.amdhsa_kernel _ZN9rocsparseL30csrmvn_lrb_short_rows_2_kernelIlld21rocsparse_complex_numIdES2_S2_EEvbT_PT0_S5_jNS_24const_host_device_scalarIT4_EEPKS3_PKS4_PKT1_PKT2_S8_PT3_21rocsparse_index_base_b
		.amdhsa_group_segment_fixed_size 16384
		.amdhsa_private_segment_fixed_size 0
		.amdhsa_kernarg_size 120
		.amdhsa_user_sgpr_count 2
		.amdhsa_user_sgpr_dispatch_ptr 0
		.amdhsa_user_sgpr_queue_ptr 0
		.amdhsa_user_sgpr_kernarg_segment_ptr 1
		.amdhsa_user_sgpr_dispatch_id 0
		.amdhsa_user_sgpr_kernarg_preload_length 0
		.amdhsa_user_sgpr_kernarg_preload_offset 0
		.amdhsa_user_sgpr_private_segment_size 0
		.amdhsa_wavefront_size32 1
		.amdhsa_uses_dynamic_stack 0
		.amdhsa_enable_private_segment 0
		.amdhsa_system_sgpr_workgroup_id_x 1
		.amdhsa_system_sgpr_workgroup_id_y 0
		.amdhsa_system_sgpr_workgroup_id_z 0
		.amdhsa_system_sgpr_workgroup_info 0
		.amdhsa_system_vgpr_workitem_id 0
		.amdhsa_next_free_vgpr 28
		.amdhsa_next_free_sgpr 24
		.amdhsa_named_barrier_count 0
		.amdhsa_reserve_vcc 1
		.amdhsa_float_round_mode_32 0
		.amdhsa_float_round_mode_16_64 0
		.amdhsa_float_denorm_mode_32 3
		.amdhsa_float_denorm_mode_16_64 3
		.amdhsa_fp16_overflow 0
		.amdhsa_memory_ordered 1
		.amdhsa_forward_progress 1
		.amdhsa_inst_pref_size 14
		.amdhsa_round_robin_scheduling 0
		.amdhsa_exception_fp_ieee_invalid_op 0
		.amdhsa_exception_fp_denorm_src 0
		.amdhsa_exception_fp_ieee_div_zero 0
		.amdhsa_exception_fp_ieee_overflow 0
		.amdhsa_exception_fp_ieee_underflow 0
		.amdhsa_exception_fp_ieee_inexact 0
		.amdhsa_exception_int_div_zero 0
	.end_amdhsa_kernel
	.section	.text._ZN9rocsparseL30csrmvn_lrb_short_rows_2_kernelIlld21rocsparse_complex_numIdES2_S2_EEvbT_PT0_S5_jNS_24const_host_device_scalarIT4_EEPKS3_PKS4_PKT1_PKT2_S8_PT3_21rocsparse_index_base_b,"axG",@progbits,_ZN9rocsparseL30csrmvn_lrb_short_rows_2_kernelIlld21rocsparse_complex_numIdES2_S2_EEvbT_PT0_S5_jNS_24const_host_device_scalarIT4_EEPKS3_PKS4_PKT1_PKT2_S8_PT3_21rocsparse_index_base_b,comdat
.Lfunc_end201:
	.size	_ZN9rocsparseL30csrmvn_lrb_short_rows_2_kernelIlld21rocsparse_complex_numIdES2_S2_EEvbT_PT0_S5_jNS_24const_host_device_scalarIT4_EEPKS3_PKS4_PKT1_PKT2_S8_PT3_21rocsparse_index_base_b, .Lfunc_end201-_ZN9rocsparseL30csrmvn_lrb_short_rows_2_kernelIlld21rocsparse_complex_numIdES2_S2_EEvbT_PT0_S5_jNS_24const_host_device_scalarIT4_EEPKS3_PKS4_PKT1_PKT2_S8_PT3_21rocsparse_index_base_b
                                        ; -- End function
	.set _ZN9rocsparseL30csrmvn_lrb_short_rows_2_kernelIlld21rocsparse_complex_numIdES2_S2_EEvbT_PT0_S5_jNS_24const_host_device_scalarIT4_EEPKS3_PKS4_PKT1_PKT2_S8_PT3_21rocsparse_index_base_b.num_vgpr, 28
	.set _ZN9rocsparseL30csrmvn_lrb_short_rows_2_kernelIlld21rocsparse_complex_numIdES2_S2_EEvbT_PT0_S5_jNS_24const_host_device_scalarIT4_EEPKS3_PKS4_PKT1_PKT2_S8_PT3_21rocsparse_index_base_b.num_agpr, 0
	.set _ZN9rocsparseL30csrmvn_lrb_short_rows_2_kernelIlld21rocsparse_complex_numIdES2_S2_EEvbT_PT0_S5_jNS_24const_host_device_scalarIT4_EEPKS3_PKS4_PKT1_PKT2_S8_PT3_21rocsparse_index_base_b.numbered_sgpr, 24
	.set _ZN9rocsparseL30csrmvn_lrb_short_rows_2_kernelIlld21rocsparse_complex_numIdES2_S2_EEvbT_PT0_S5_jNS_24const_host_device_scalarIT4_EEPKS3_PKS4_PKT1_PKT2_S8_PT3_21rocsparse_index_base_b.num_named_barrier, 0
	.set _ZN9rocsparseL30csrmvn_lrb_short_rows_2_kernelIlld21rocsparse_complex_numIdES2_S2_EEvbT_PT0_S5_jNS_24const_host_device_scalarIT4_EEPKS3_PKS4_PKT1_PKT2_S8_PT3_21rocsparse_index_base_b.private_seg_size, 0
	.set _ZN9rocsparseL30csrmvn_lrb_short_rows_2_kernelIlld21rocsparse_complex_numIdES2_S2_EEvbT_PT0_S5_jNS_24const_host_device_scalarIT4_EEPKS3_PKS4_PKT1_PKT2_S8_PT3_21rocsparse_index_base_b.uses_vcc, 1
	.set _ZN9rocsparseL30csrmvn_lrb_short_rows_2_kernelIlld21rocsparse_complex_numIdES2_S2_EEvbT_PT0_S5_jNS_24const_host_device_scalarIT4_EEPKS3_PKS4_PKT1_PKT2_S8_PT3_21rocsparse_index_base_b.uses_flat_scratch, 0
	.set _ZN9rocsparseL30csrmvn_lrb_short_rows_2_kernelIlld21rocsparse_complex_numIdES2_S2_EEvbT_PT0_S5_jNS_24const_host_device_scalarIT4_EEPKS3_PKS4_PKT1_PKT2_S8_PT3_21rocsparse_index_base_b.has_dyn_sized_stack, 0
	.set _ZN9rocsparseL30csrmvn_lrb_short_rows_2_kernelIlld21rocsparse_complex_numIdES2_S2_EEvbT_PT0_S5_jNS_24const_host_device_scalarIT4_EEPKS3_PKS4_PKT1_PKT2_S8_PT3_21rocsparse_index_base_b.has_recursion, 0
	.set _ZN9rocsparseL30csrmvn_lrb_short_rows_2_kernelIlld21rocsparse_complex_numIdES2_S2_EEvbT_PT0_S5_jNS_24const_host_device_scalarIT4_EEPKS3_PKS4_PKT1_PKT2_S8_PT3_21rocsparse_index_base_b.has_indirect_call, 0
	.section	.AMDGPU.csdata,"",@progbits
; Kernel info:
; codeLenInByte = 1732
; TotalNumSgprs: 26
; NumVgprs: 28
; ScratchSize: 0
; MemoryBound: 0
; FloatMode: 240
; IeeeMode: 1
; LDSByteSize: 16384 bytes/workgroup (compile time only)
; SGPRBlocks: 0
; VGPRBlocks: 1
; NumSGPRsForWavesPerEU: 26
; NumVGPRsForWavesPerEU: 28
; NamedBarCnt: 0
; Occupancy: 16
; WaveLimiterHint : 1
; COMPUTE_PGM_RSRC2:SCRATCH_EN: 0
; COMPUTE_PGM_RSRC2:USER_SGPR: 2
; COMPUTE_PGM_RSRC2:TRAP_HANDLER: 0
; COMPUTE_PGM_RSRC2:TGID_X_EN: 1
; COMPUTE_PGM_RSRC2:TGID_Y_EN: 0
; COMPUTE_PGM_RSRC2:TGID_Z_EN: 0
; COMPUTE_PGM_RSRC2:TIDIG_COMP_CNT: 0
	.section	.text._ZN9rocsparseL41csrmvn_lrb_medium_rows_warp_reduce_kernelILj256ELj32Elld21rocsparse_complex_numIdES2_S2_EEvbT1_lPT2_S5_jNS_24const_host_device_scalarIT6_EEPKS3_PKS4_PKT3_PKT4_S8_PT5_21rocsparse_index_base_b,"axG",@progbits,_ZN9rocsparseL41csrmvn_lrb_medium_rows_warp_reduce_kernelILj256ELj32Elld21rocsparse_complex_numIdES2_S2_EEvbT1_lPT2_S5_jNS_24const_host_device_scalarIT6_EEPKS3_PKS4_PKT3_PKT4_S8_PT5_21rocsparse_index_base_b,comdat
	.globl	_ZN9rocsparseL41csrmvn_lrb_medium_rows_warp_reduce_kernelILj256ELj32Elld21rocsparse_complex_numIdES2_S2_EEvbT1_lPT2_S5_jNS_24const_host_device_scalarIT6_EEPKS3_PKS4_PKT3_PKT4_S8_PT5_21rocsparse_index_base_b ; -- Begin function _ZN9rocsparseL41csrmvn_lrb_medium_rows_warp_reduce_kernelILj256ELj32Elld21rocsparse_complex_numIdES2_S2_EEvbT1_lPT2_S5_jNS_24const_host_device_scalarIT6_EEPKS3_PKS4_PKT3_PKT4_S8_PT5_21rocsparse_index_base_b
	.p2align	8
	.type	_ZN9rocsparseL41csrmvn_lrb_medium_rows_warp_reduce_kernelILj256ELj32Elld21rocsparse_complex_numIdES2_S2_EEvbT1_lPT2_S5_jNS_24const_host_device_scalarIT6_EEPKS3_PKS4_PKT3_PKT4_S8_PT5_21rocsparse_index_base_b,@function
_ZN9rocsparseL41csrmvn_lrb_medium_rows_warp_reduce_kernelILj256ELj32Elld21rocsparse_complex_numIdES2_S2_EEvbT1_lPT2_S5_jNS_24const_host_device_scalarIT6_EEPKS3_PKS4_PKT3_PKT4_S8_PT5_21rocsparse_index_base_b: ; @_ZN9rocsparseL41csrmvn_lrb_medium_rows_warp_reduce_kernelILj256ELj32Elld21rocsparse_complex_numIdES2_S2_EEvbT1_lPT2_S5_jNS_24const_host_device_scalarIT6_EEPKS3_PKS4_PKT3_PKT4_S8_PT5_21rocsparse_index_base_b
; %bb.0:
	s_clause 0x1
	s_load_b64 s[4:5], s[0:1], 0x78
	s_load_b64 s[2:3], s[0:1], 0x30
	v_mov_b32_e32 v1, 0
	s_add_nc_u64 s[6:7], s[0:1], 48
	s_load_b64 s[8:9], s[0:1], 0x60
	s_wait_kmcnt 0x0
	s_bitcmp1_b32 s5, 0
	s_cselect_b32 s3, s7, s3
	s_cselect_b32 s2, s6, s2
	flat_load_b128 v[6:9], v1, s[2:3]
	s_wait_xcnt 0x0
	s_add_nc_u64 s[2:3], s[0:1], 0x60
	s_delay_alu instid0(SALU_CYCLE_1)
	s_cselect_b32 s3, s3, s9
	s_cselect_b32 s2, s2, s8
	flat_load_b128 v[2:5], v1, s[2:3]
	s_wait_loadcnt_dscnt 0x101
	v_cmp_eq_f64_e32 vcc_lo, 0, v[6:7]
	s_wait_xcnt 0x0
	v_cmp_eq_f64_e64 s2, 0, v[8:9]
	s_and_b32 s5, vcc_lo, s2
	s_mov_b32 s2, -1
	s_and_saveexec_b32 s3, s5
	s_cbranch_execz .LBB202_2
; %bb.1:
	s_wait_loadcnt_dscnt 0x0
	v_cmp_neq_f64_e32 vcc_lo, 1.0, v[2:3]
	v_cmp_neq_f64_e64 s2, 0, v[4:5]
	s_or_b32 s2, vcc_lo, s2
	s_delay_alu instid0(SALU_CYCLE_1)
	s_or_not1_b32 s2, s2, exec_lo
.LBB202_2:
	s_or_b32 exec_lo, exec_lo, s3
	s_and_saveexec_b32 s3, s2
	s_cbranch_execz .LBB202_12
; %bb.3:
	s_bfe_u32 s5, ttmp6, 0x4000c
	s_load_b64 s[2:3], s[0:1], 0x10
	s_add_co_i32 s5, s5, 1
	s_and_b32 s6, ttmp6, 15
	s_mul_i32 s5, ttmp9, s5
	s_getreg_b32 s7, hwreg(HW_REG_IB_STS2, 6, 4)
	v_lshrrev_b32_e32 v1, 5, v0
	s_add_co_i32 s6, s6, s5
	s_cmp_eq_u32 s7, 0
	s_cselect_b32 s5, ttmp9, s6
	s_delay_alu instid0(VALU_DEP_1) | instid1(SALU_CYCLE_1)
	v_lshl_or_b32 v10, s5, 3, v1
	s_mov_b32 s5, 0
	s_delay_alu instid0(VALU_DEP_1) | instskip(SKIP_1) | instid1(VALU_DEP_1)
	v_ashrrev_i32_e32 v11, 31, v10
	s_wait_kmcnt 0x0
	v_cmp_gt_i64_e32 vcc_lo, s[2:3], v[10:11]
	s_and_b32 exec_lo, exec_lo, vcc_lo
	s_cbranch_execz .LBB202_12
; %bb.4:
	s_clause 0x1
	s_load_b128 s[8:11], s[0:1], 0x18
	s_load_b32 s2, s[0:1], 0x28
	v_dual_mov_b32 v1, 0 :: v_dual_bitop2_b32 v0, 31, v0 bitop3:0x40
	s_mov_b32 s6, exec_lo
	s_delay_alu instid0(VALU_DEP_1) | instskip(SKIP_4) | instid1(SALU_CYCLE_1)
	v_sub_nc_u64_e64 v[18:19], v[0:1], s[4:5]
	s_wait_kmcnt 0x0
	s_load_b64 s[2:3], s[10:11], s2 offset:0x0 scale_offset
	s_wait_kmcnt 0x0
	s_lshl_b64 s[2:3], s[2:3], 3
	s_add_nc_u64 s[2:3], s[8:9], s[2:3]
	s_delay_alu instid0(SALU_CYCLE_1)
	v_lshl_add_u64 v[10:11], v[10:11], 3, s[2:3]
	s_load_b64 s[2:3], s[0:1], 0x40
	global_load_b64 v[10:11], v[10:11], off
	s_wait_loadcnt 0x0
	s_wait_kmcnt 0x0
	v_lshl_add_u64 v[12:13], v[10:11], 3, s[2:3]
	global_load_b128 v[12:15], v[12:13], off
	s_wait_loadcnt 0x0
	v_sub_nc_u64_e64 v[16:17], v[14:15], s[4:5]
	v_add_nc_u64_e32 v[18:19], v[12:13], v[18:19]
	v_mov_b64_e32 v[12:13], 0
	v_mov_b64_e32 v[14:15], 0
	s_delay_alu instid0(VALU_DEP_3)
	v_cmpx_lt_i64_e64 v[18:19], v[16:17]
	s_cbranch_execz .LBB202_8
; %bb.5:
	v_mul_f64_e32 v[20:21], 0x80000000, v[8:9]
	v_mul_f64_e32 v[22:23], 0, v[6:7]
	s_clause 0x1
	s_load_b128 s[8:11], s[0:1], 0x48
	s_load_b64 s[2:3], s[0:1], 0x58
	v_lshlrev_b64_e32 v[14:15], 3, v[18:19]
	v_mov_b64_e32 v[12:13], 0
	s_mov_b32 s7, 0
	s_wait_kmcnt 0x0
	s_delay_alu instid0(VALU_DEP_2)
	v_add_nc_u64_e32 v[24:25], s[10:11], v[14:15]
	v_add_nc_u64_e32 v[26:27], s[8:9], v[14:15]
	v_mov_b64_e32 v[14:15], 0
.LBB202_6:                              ; =>This Inner Loop Header: Depth=1
	global_load_b64 v[28:29], v[26:27], off
	global_load_b64 v[32:33], v[24:25], off
	v_add_nc_u64_e32 v[18:19], 32, v[18:19]
	s_wait_xcnt 0x0
	v_add_nc_u64_e32 v[24:25], 0x100, v[24:25]
	v_add_nc_u64_e32 v[26:27], 0x100, v[26:27]
	s_delay_alu instid0(VALU_DEP_3)
	v_cmp_ge_i64_e32 vcc_lo, v[18:19], v[16:17]
	s_or_b32 s7, vcc_lo, s7
	s_wait_loadcnt 0x1
	v_sub_nc_u64_e64 v[28:29], v[28:29], s[4:5]
	s_wait_loadcnt 0x0
	v_fma_f64 v[34:35], v[6:7], v[32:33], v[20:21]
	v_fma_f64 v[32:33], v[8:9], v[32:33], v[22:23]
	s_delay_alu instid0(VALU_DEP_3) | instskip(SKIP_4) | instid1(VALU_DEP_2)
	v_lshl_add_u64 v[28:29], v[28:29], 4, s[2:3]
	global_load_b128 v[28:31], v[28:29], off
	s_wait_loadcnt 0x0
	v_fmac_f64_e32 v[14:15], v[34:35], v[28:29]
	v_fmac_f64_e32 v[12:13], v[32:33], v[28:29]
	v_fma_f64 v[14:15], -v[32:33], v[30:31], v[14:15]
	s_delay_alu instid0(VALU_DEP_2)
	v_fmac_f64_e32 v[12:13], v[34:35], v[30:31]
	s_and_not1_b32 exec_lo, exec_lo, s7
	s_cbranch_execnz .LBB202_6
; %bb.7:
	s_or_b32 exec_lo, exec_lo, s7
.LBB202_8:
	s_delay_alu instid0(SALU_CYCLE_1) | instskip(SKIP_2) | instid1(VALU_DEP_1)
	s_or_b32 exec_lo, exec_lo, s6
	v_mbcnt_lo_u32_b32 v1, -1, 0
	s_load_b64 s[2:3], s[0:1], 0x70
	v_xor_b32_e32 v6, 16, v1
	s_delay_alu instid0(VALU_DEP_1) | instskip(SKIP_1) | instid1(VALU_DEP_1)
	v_cmp_gt_i32_e32 vcc_lo, 32, v6
	v_cndmask_b32_e32 v6, v1, v6, vcc_lo
	v_lshlrev_b32_e32 v9, 2, v6
	ds_bpermute_b32 v6, v9, v14
	ds_bpermute_b32 v7, v9, v15
	;; [unrolled: 1-line block ×4, first 2 shown]
	s_wait_dscnt 0x2
	v_add_f64_e32 v[6:7], v[14:15], v[6:7]
	s_wait_dscnt 0x0
	v_add_f64_e32 v[8:9], v[12:13], v[8:9]
	v_xor_b32_e32 v12, 8, v1
	s_delay_alu instid0(VALU_DEP_1) | instskip(SKIP_1) | instid1(VALU_DEP_1)
	v_cmp_gt_i32_e32 vcc_lo, 32, v12
	v_cndmask_b32_e32 v12, v1, v12, vcc_lo
	v_lshlrev_b32_e32 v15, 2, v12
	ds_bpermute_b32 v12, v15, v6
	ds_bpermute_b32 v13, v15, v7
	;; [unrolled: 1-line block ×4, first 2 shown]
	s_wait_dscnt 0x2
	v_add_f64_e32 v[6:7], v[6:7], v[12:13]
	v_xor_b32_e32 v12, 4, v1
	s_delay_alu instid0(VALU_DEP_1) | instskip(SKIP_2) | instid1(VALU_DEP_1)
	v_cmp_gt_i32_e32 vcc_lo, 32, v12
	v_cndmask_b32_e32 v12, v1, v12, vcc_lo
	s_wait_dscnt 0x0
	v_dual_add_f64 v[8:9], v[8:9], v[14:15] :: v_dual_lshlrev_b32 v15, 2, v12
	ds_bpermute_b32 v12, v15, v6
	ds_bpermute_b32 v13, v15, v7
	;; [unrolled: 1-line block ×4, first 2 shown]
	s_wait_dscnt 0x2
	v_add_f64_e32 v[6:7], v[6:7], v[12:13]
	v_xor_b32_e32 v12, 2, v1
	s_delay_alu instid0(VALU_DEP_1) | instskip(SKIP_2) | instid1(VALU_DEP_1)
	v_cmp_gt_i32_e32 vcc_lo, 32, v12
	v_cndmask_b32_e32 v12, v1, v12, vcc_lo
	s_wait_dscnt 0x0
	v_dual_add_f64 v[8:9], v[8:9], v[14:15] :: v_dual_lshlrev_b32 v15, 2, v12
	ds_bpermute_b32 v12, v15, v6
	ds_bpermute_b32 v13, v15, v7
	s_wait_dscnt 0x0
	v_add_f64_e32 v[6:7], v[6:7], v[12:13]
	v_xor_b32_e32 v12, 1, v1
	ds_bpermute_b32 v14, v15, v8
	ds_bpermute_b32 v15, v15, v9
	v_cmp_gt_i32_e32 vcc_lo, 32, v12
	v_cndmask_b32_e32 v1, v1, v12, vcc_lo
	v_cmp_eq_u32_e32 vcc_lo, 31, v0
	s_wait_dscnt 0x0
	s_delay_alu instid0(VALU_DEP_2)
	v_dual_add_f64 v[8:9], v[8:9], v[14:15] :: v_dual_lshlrev_b32 v1, 2, v1
	ds_bpermute_b32 v12, v1, v6
	ds_bpermute_b32 v13, v1, v7
	;; [unrolled: 1-line block ×4, first 2 shown]
	s_and_b32 exec_lo, exec_lo, vcc_lo
	s_cbranch_execz .LBB202_12
; %bb.9:
	v_cmp_neq_f64_e32 vcc_lo, 0, v[2:3]
	s_wait_xcnt 0x0
	v_cmp_neq_f64_e64 s0, 0, v[4:5]
	s_wait_dscnt 0x2
	v_add_f64_e32 v[6:7], v[6:7], v[12:13]
	s_wait_dscnt 0x0
	v_add_f64_e32 v[8:9], v[8:9], v[14:15]
	s_wait_kmcnt 0x0
	v_lshl_add_u64 v[0:1], v[10:11], 4, s[2:3]
	s_or_b32 s1, vcc_lo, s0
	s_delay_alu instid0(SALU_CYCLE_1)
	s_and_saveexec_b32 s0, s1
	s_cbranch_execz .LBB202_11
; %bb.10:
	global_load_b128 v[10:13], v[0:1], off
	s_wait_loadcnt 0x0
	v_fmac_f64_e32 v[6:7], v[2:3], v[10:11]
	v_fmac_f64_e32 v[8:9], v[4:5], v[10:11]
	s_delay_alu instid0(VALU_DEP_2) | instskip(NEXT) | instid1(VALU_DEP_2)
	v_fma_f64 v[6:7], -v[4:5], v[12:13], v[6:7]
	v_fmac_f64_e32 v[8:9], v[2:3], v[12:13]
.LBB202_11:
	s_or_b32 exec_lo, exec_lo, s0
	global_store_b128 v[0:1], v[6:9], off
.LBB202_12:
	s_endpgm
	.section	.rodata,"a",@progbits
	.p2align	6, 0x0
	.amdhsa_kernel _ZN9rocsparseL41csrmvn_lrb_medium_rows_warp_reduce_kernelILj256ELj32Elld21rocsparse_complex_numIdES2_S2_EEvbT1_lPT2_S5_jNS_24const_host_device_scalarIT6_EEPKS3_PKS4_PKT3_PKT4_S8_PT5_21rocsparse_index_base_b
		.amdhsa_group_segment_fixed_size 0
		.amdhsa_private_segment_fixed_size 0
		.amdhsa_kernarg_size 128
		.amdhsa_user_sgpr_count 2
		.amdhsa_user_sgpr_dispatch_ptr 0
		.amdhsa_user_sgpr_queue_ptr 0
		.amdhsa_user_sgpr_kernarg_segment_ptr 1
		.amdhsa_user_sgpr_dispatch_id 0
		.amdhsa_user_sgpr_kernarg_preload_length 0
		.amdhsa_user_sgpr_kernarg_preload_offset 0
		.amdhsa_user_sgpr_private_segment_size 0
		.amdhsa_wavefront_size32 1
		.amdhsa_uses_dynamic_stack 0
		.amdhsa_enable_private_segment 0
		.amdhsa_system_sgpr_workgroup_id_x 1
		.amdhsa_system_sgpr_workgroup_id_y 0
		.amdhsa_system_sgpr_workgroup_id_z 0
		.amdhsa_system_sgpr_workgroup_info 0
		.amdhsa_system_vgpr_workitem_id 0
		.amdhsa_next_free_vgpr 36
		.amdhsa_next_free_sgpr 12
		.amdhsa_named_barrier_count 0
		.amdhsa_reserve_vcc 1
		.amdhsa_float_round_mode_32 0
		.amdhsa_float_round_mode_16_64 0
		.amdhsa_float_denorm_mode_32 3
		.amdhsa_float_denorm_mode_16_64 3
		.amdhsa_fp16_overflow 0
		.amdhsa_memory_ordered 1
		.amdhsa_forward_progress 1
		.amdhsa_inst_pref_size 9
		.amdhsa_round_robin_scheduling 0
		.amdhsa_exception_fp_ieee_invalid_op 0
		.amdhsa_exception_fp_denorm_src 0
		.amdhsa_exception_fp_ieee_div_zero 0
		.amdhsa_exception_fp_ieee_overflow 0
		.amdhsa_exception_fp_ieee_underflow 0
		.amdhsa_exception_fp_ieee_inexact 0
		.amdhsa_exception_int_div_zero 0
	.end_amdhsa_kernel
	.section	.text._ZN9rocsparseL41csrmvn_lrb_medium_rows_warp_reduce_kernelILj256ELj32Elld21rocsparse_complex_numIdES2_S2_EEvbT1_lPT2_S5_jNS_24const_host_device_scalarIT6_EEPKS3_PKS4_PKT3_PKT4_S8_PT5_21rocsparse_index_base_b,"axG",@progbits,_ZN9rocsparseL41csrmvn_lrb_medium_rows_warp_reduce_kernelILj256ELj32Elld21rocsparse_complex_numIdES2_S2_EEvbT1_lPT2_S5_jNS_24const_host_device_scalarIT6_EEPKS3_PKS4_PKT3_PKT4_S8_PT5_21rocsparse_index_base_b,comdat
.Lfunc_end202:
	.size	_ZN9rocsparseL41csrmvn_lrb_medium_rows_warp_reduce_kernelILj256ELj32Elld21rocsparse_complex_numIdES2_S2_EEvbT1_lPT2_S5_jNS_24const_host_device_scalarIT6_EEPKS3_PKS4_PKT3_PKT4_S8_PT5_21rocsparse_index_base_b, .Lfunc_end202-_ZN9rocsparseL41csrmvn_lrb_medium_rows_warp_reduce_kernelILj256ELj32Elld21rocsparse_complex_numIdES2_S2_EEvbT1_lPT2_S5_jNS_24const_host_device_scalarIT6_EEPKS3_PKS4_PKT3_PKT4_S8_PT5_21rocsparse_index_base_b
                                        ; -- End function
	.set _ZN9rocsparseL41csrmvn_lrb_medium_rows_warp_reduce_kernelILj256ELj32Elld21rocsparse_complex_numIdES2_S2_EEvbT1_lPT2_S5_jNS_24const_host_device_scalarIT6_EEPKS3_PKS4_PKT3_PKT4_S8_PT5_21rocsparse_index_base_b.num_vgpr, 36
	.set _ZN9rocsparseL41csrmvn_lrb_medium_rows_warp_reduce_kernelILj256ELj32Elld21rocsparse_complex_numIdES2_S2_EEvbT1_lPT2_S5_jNS_24const_host_device_scalarIT6_EEPKS3_PKS4_PKT3_PKT4_S8_PT5_21rocsparse_index_base_b.num_agpr, 0
	.set _ZN9rocsparseL41csrmvn_lrb_medium_rows_warp_reduce_kernelILj256ELj32Elld21rocsparse_complex_numIdES2_S2_EEvbT1_lPT2_S5_jNS_24const_host_device_scalarIT6_EEPKS3_PKS4_PKT3_PKT4_S8_PT5_21rocsparse_index_base_b.numbered_sgpr, 12
	.set _ZN9rocsparseL41csrmvn_lrb_medium_rows_warp_reduce_kernelILj256ELj32Elld21rocsparse_complex_numIdES2_S2_EEvbT1_lPT2_S5_jNS_24const_host_device_scalarIT6_EEPKS3_PKS4_PKT3_PKT4_S8_PT5_21rocsparse_index_base_b.num_named_barrier, 0
	.set _ZN9rocsparseL41csrmvn_lrb_medium_rows_warp_reduce_kernelILj256ELj32Elld21rocsparse_complex_numIdES2_S2_EEvbT1_lPT2_S5_jNS_24const_host_device_scalarIT6_EEPKS3_PKS4_PKT3_PKT4_S8_PT5_21rocsparse_index_base_b.private_seg_size, 0
	.set _ZN9rocsparseL41csrmvn_lrb_medium_rows_warp_reduce_kernelILj256ELj32Elld21rocsparse_complex_numIdES2_S2_EEvbT1_lPT2_S5_jNS_24const_host_device_scalarIT6_EEPKS3_PKS4_PKT3_PKT4_S8_PT5_21rocsparse_index_base_b.uses_vcc, 1
	.set _ZN9rocsparseL41csrmvn_lrb_medium_rows_warp_reduce_kernelILj256ELj32Elld21rocsparse_complex_numIdES2_S2_EEvbT1_lPT2_S5_jNS_24const_host_device_scalarIT6_EEPKS3_PKS4_PKT3_PKT4_S8_PT5_21rocsparse_index_base_b.uses_flat_scratch, 0
	.set _ZN9rocsparseL41csrmvn_lrb_medium_rows_warp_reduce_kernelILj256ELj32Elld21rocsparse_complex_numIdES2_S2_EEvbT1_lPT2_S5_jNS_24const_host_device_scalarIT6_EEPKS3_PKS4_PKT3_PKT4_S8_PT5_21rocsparse_index_base_b.has_dyn_sized_stack, 0
	.set _ZN9rocsparseL41csrmvn_lrb_medium_rows_warp_reduce_kernelILj256ELj32Elld21rocsparse_complex_numIdES2_S2_EEvbT1_lPT2_S5_jNS_24const_host_device_scalarIT6_EEPKS3_PKS4_PKT3_PKT4_S8_PT5_21rocsparse_index_base_b.has_recursion, 0
	.set _ZN9rocsparseL41csrmvn_lrb_medium_rows_warp_reduce_kernelILj256ELj32Elld21rocsparse_complex_numIdES2_S2_EEvbT1_lPT2_S5_jNS_24const_host_device_scalarIT6_EEPKS3_PKS4_PKT3_PKT4_S8_PT5_21rocsparse_index_base_b.has_indirect_call, 0
	.section	.AMDGPU.csdata,"",@progbits
; Kernel info:
; codeLenInByte = 1148
; TotalNumSgprs: 14
; NumVgprs: 36
; ScratchSize: 0
; MemoryBound: 0
; FloatMode: 240
; IeeeMode: 1
; LDSByteSize: 0 bytes/workgroup (compile time only)
; SGPRBlocks: 0
; VGPRBlocks: 2
; NumSGPRsForWavesPerEU: 14
; NumVGPRsForWavesPerEU: 36
; NamedBarCnt: 0
; Occupancy: 16
; WaveLimiterHint : 1
; COMPUTE_PGM_RSRC2:SCRATCH_EN: 0
; COMPUTE_PGM_RSRC2:USER_SGPR: 2
; COMPUTE_PGM_RSRC2:TRAP_HANDLER: 0
; COMPUTE_PGM_RSRC2:TGID_X_EN: 1
; COMPUTE_PGM_RSRC2:TGID_Y_EN: 0
; COMPUTE_PGM_RSRC2:TGID_Z_EN: 0
; COMPUTE_PGM_RSRC2:TIDIG_COMP_CNT: 0
	.section	.text._ZN9rocsparseL41csrmvn_lrb_medium_rows_warp_reduce_kernelILj256ELj64Elld21rocsparse_complex_numIdES2_S2_EEvbT1_lPT2_S5_jNS_24const_host_device_scalarIT6_EEPKS3_PKS4_PKT3_PKT4_S8_PT5_21rocsparse_index_base_b,"axG",@progbits,_ZN9rocsparseL41csrmvn_lrb_medium_rows_warp_reduce_kernelILj256ELj64Elld21rocsparse_complex_numIdES2_S2_EEvbT1_lPT2_S5_jNS_24const_host_device_scalarIT6_EEPKS3_PKS4_PKT3_PKT4_S8_PT5_21rocsparse_index_base_b,comdat
	.globl	_ZN9rocsparseL41csrmvn_lrb_medium_rows_warp_reduce_kernelILj256ELj64Elld21rocsparse_complex_numIdES2_S2_EEvbT1_lPT2_S5_jNS_24const_host_device_scalarIT6_EEPKS3_PKS4_PKT3_PKT4_S8_PT5_21rocsparse_index_base_b ; -- Begin function _ZN9rocsparseL41csrmvn_lrb_medium_rows_warp_reduce_kernelILj256ELj64Elld21rocsparse_complex_numIdES2_S2_EEvbT1_lPT2_S5_jNS_24const_host_device_scalarIT6_EEPKS3_PKS4_PKT3_PKT4_S8_PT5_21rocsparse_index_base_b
	.p2align	8
	.type	_ZN9rocsparseL41csrmvn_lrb_medium_rows_warp_reduce_kernelILj256ELj64Elld21rocsparse_complex_numIdES2_S2_EEvbT1_lPT2_S5_jNS_24const_host_device_scalarIT6_EEPKS3_PKS4_PKT3_PKT4_S8_PT5_21rocsparse_index_base_b,@function
_ZN9rocsparseL41csrmvn_lrb_medium_rows_warp_reduce_kernelILj256ELj64Elld21rocsparse_complex_numIdES2_S2_EEvbT1_lPT2_S5_jNS_24const_host_device_scalarIT6_EEPKS3_PKS4_PKT3_PKT4_S8_PT5_21rocsparse_index_base_b: ; @_ZN9rocsparseL41csrmvn_lrb_medium_rows_warp_reduce_kernelILj256ELj64Elld21rocsparse_complex_numIdES2_S2_EEvbT1_lPT2_S5_jNS_24const_host_device_scalarIT6_EEPKS3_PKS4_PKT3_PKT4_S8_PT5_21rocsparse_index_base_b
; %bb.0:
	s_clause 0x1
	s_load_b64 s[4:5], s[0:1], 0x78
	s_load_b64 s[2:3], s[0:1], 0x30
	v_mov_b32_e32 v1, 0
	s_add_nc_u64 s[6:7], s[0:1], 48
	s_load_b64 s[8:9], s[0:1], 0x60
	s_wait_kmcnt 0x0
	s_bitcmp1_b32 s5, 0
	s_cselect_b32 s3, s7, s3
	s_cselect_b32 s2, s6, s2
	flat_load_b128 v[6:9], v1, s[2:3]
	s_wait_xcnt 0x0
	s_add_nc_u64 s[2:3], s[0:1], 0x60
	s_delay_alu instid0(SALU_CYCLE_1)
	s_cselect_b32 s3, s3, s9
	s_cselect_b32 s2, s2, s8
	flat_load_b128 v[2:5], v1, s[2:3]
	s_wait_loadcnt_dscnt 0x101
	v_cmp_eq_f64_e32 vcc_lo, 0, v[6:7]
	s_wait_xcnt 0x0
	v_cmp_eq_f64_e64 s2, 0, v[8:9]
	s_and_b32 s5, vcc_lo, s2
	s_mov_b32 s2, -1
	s_and_saveexec_b32 s3, s5
	s_cbranch_execz .LBB203_2
; %bb.1:
	s_wait_loadcnt_dscnt 0x0
	v_cmp_neq_f64_e32 vcc_lo, 1.0, v[2:3]
	v_cmp_neq_f64_e64 s2, 0, v[4:5]
	s_or_b32 s2, vcc_lo, s2
	s_delay_alu instid0(SALU_CYCLE_1)
	s_or_not1_b32 s2, s2, exec_lo
.LBB203_2:
	s_or_b32 exec_lo, exec_lo, s3
	s_and_saveexec_b32 s3, s2
	s_cbranch_execz .LBB203_12
; %bb.3:
	s_bfe_u32 s5, ttmp6, 0x4000c
	s_load_b64 s[2:3], s[0:1], 0x10
	s_add_co_i32 s5, s5, 1
	s_and_b32 s6, ttmp6, 15
	s_mul_i32 s5, ttmp9, s5
	s_getreg_b32 s7, hwreg(HW_REG_IB_STS2, 6, 4)
	v_lshrrev_b32_e32 v1, 6, v0
	s_add_co_i32 s6, s6, s5
	s_cmp_eq_u32 s7, 0
	s_cselect_b32 s5, ttmp9, s6
	s_delay_alu instid0(VALU_DEP_1) | instid1(SALU_CYCLE_1)
	v_lshl_or_b32 v10, s5, 2, v1
	s_mov_b32 s5, 0
	s_delay_alu instid0(VALU_DEP_1) | instskip(SKIP_1) | instid1(VALU_DEP_1)
	v_ashrrev_i32_e32 v11, 31, v10
	s_wait_kmcnt 0x0
	v_cmp_gt_i64_e32 vcc_lo, s[2:3], v[10:11]
	s_and_b32 exec_lo, exec_lo, vcc_lo
	s_cbranch_execz .LBB203_12
; %bb.4:
	s_clause 0x1
	s_load_b128 s[8:11], s[0:1], 0x18
	s_load_b32 s2, s[0:1], 0x28
	v_dual_mov_b32 v1, 0 :: v_dual_bitop2_b32 v0, 63, v0 bitop3:0x40
	s_mov_b32 s6, exec_lo
	s_delay_alu instid0(VALU_DEP_1) | instskip(SKIP_4) | instid1(SALU_CYCLE_1)
	v_sub_nc_u64_e64 v[18:19], v[0:1], s[4:5]
	s_wait_kmcnt 0x0
	s_load_b64 s[2:3], s[10:11], s2 offset:0x0 scale_offset
	s_wait_kmcnt 0x0
	s_lshl_b64 s[2:3], s[2:3], 3
	s_add_nc_u64 s[2:3], s[8:9], s[2:3]
	s_delay_alu instid0(SALU_CYCLE_1)
	v_lshl_add_u64 v[10:11], v[10:11], 3, s[2:3]
	s_load_b64 s[2:3], s[0:1], 0x40
	global_load_b64 v[10:11], v[10:11], off
	s_wait_loadcnt 0x0
	s_wait_kmcnt 0x0
	v_lshl_add_u64 v[12:13], v[10:11], 3, s[2:3]
	global_load_b128 v[12:15], v[12:13], off
	s_wait_loadcnt 0x0
	v_sub_nc_u64_e64 v[16:17], v[14:15], s[4:5]
	v_add_nc_u64_e32 v[18:19], v[12:13], v[18:19]
	v_mov_b64_e32 v[12:13], 0
	v_mov_b64_e32 v[14:15], 0
	s_delay_alu instid0(VALU_DEP_3)
	v_cmpx_lt_i64_e64 v[18:19], v[16:17]
	s_cbranch_execz .LBB203_8
; %bb.5:
	v_mul_f64_e32 v[20:21], 0x80000000, v[8:9]
	v_mul_f64_e32 v[22:23], 0, v[6:7]
	s_clause 0x1
	s_load_b128 s[8:11], s[0:1], 0x48
	s_load_b64 s[2:3], s[0:1], 0x58
	v_lshlrev_b64_e32 v[14:15], 3, v[18:19]
	v_mov_b64_e32 v[12:13], 0
	s_mov_b32 s7, 0
	s_wait_kmcnt 0x0
	s_delay_alu instid0(VALU_DEP_2)
	v_add_nc_u64_e32 v[24:25], s[10:11], v[14:15]
	v_add_nc_u64_e32 v[26:27], s[8:9], v[14:15]
	v_mov_b64_e32 v[14:15], 0
.LBB203_6:                              ; =>This Inner Loop Header: Depth=1
	global_load_b64 v[28:29], v[26:27], off
	global_load_b64 v[32:33], v[24:25], off
	v_add_nc_u64_e32 v[18:19], 64, v[18:19]
	s_wait_xcnt 0x0
	v_add_nc_u64_e32 v[24:25], 0x200, v[24:25]
	v_add_nc_u64_e32 v[26:27], 0x200, v[26:27]
	s_delay_alu instid0(VALU_DEP_3)
	v_cmp_ge_i64_e32 vcc_lo, v[18:19], v[16:17]
	s_or_b32 s7, vcc_lo, s7
	s_wait_loadcnt 0x1
	v_sub_nc_u64_e64 v[28:29], v[28:29], s[4:5]
	s_wait_loadcnt 0x0
	v_fma_f64 v[34:35], v[6:7], v[32:33], v[20:21]
	v_fma_f64 v[32:33], v[8:9], v[32:33], v[22:23]
	s_delay_alu instid0(VALU_DEP_3) | instskip(SKIP_4) | instid1(VALU_DEP_2)
	v_lshl_add_u64 v[28:29], v[28:29], 4, s[2:3]
	global_load_b128 v[28:31], v[28:29], off
	s_wait_loadcnt 0x0
	v_fmac_f64_e32 v[14:15], v[34:35], v[28:29]
	v_fmac_f64_e32 v[12:13], v[32:33], v[28:29]
	v_fma_f64 v[14:15], -v[32:33], v[30:31], v[14:15]
	s_delay_alu instid0(VALU_DEP_2)
	v_fmac_f64_e32 v[12:13], v[34:35], v[30:31]
	s_and_not1_b32 exec_lo, exec_lo, s7
	s_cbranch_execnz .LBB203_6
; %bb.7:
	s_or_b32 exec_lo, exec_lo, s7
.LBB203_8:
	s_delay_alu instid0(SALU_CYCLE_1) | instskip(SKIP_2) | instid1(VALU_DEP_1)
	s_or_b32 exec_lo, exec_lo, s6
	v_mbcnt_lo_u32_b32 v1, -1, 0
	s_load_b64 s[2:3], s[0:1], 0x70
	v_or_b32_e32 v6, 32, v1
	s_delay_alu instid0(VALU_DEP_1) | instskip(SKIP_1) | instid1(VALU_DEP_1)
	v_cmp_gt_i32_e32 vcc_lo, 32, v6
	v_cndmask_b32_e32 v6, v1, v6, vcc_lo
	v_lshlrev_b32_e32 v9, 2, v6
	ds_bpermute_b32 v6, v9, v14
	ds_bpermute_b32 v7, v9, v15
	;; [unrolled: 1-line block ×4, first 2 shown]
	s_wait_dscnt 0x2
	v_add_f64_e32 v[6:7], v[14:15], v[6:7]
	s_wait_dscnt 0x0
	v_add_f64_e32 v[8:9], v[12:13], v[8:9]
	v_xor_b32_e32 v12, 16, v1
	s_delay_alu instid0(VALU_DEP_1) | instskip(SKIP_1) | instid1(VALU_DEP_1)
	v_cmp_gt_i32_e32 vcc_lo, 32, v12
	v_cndmask_b32_e32 v12, v1, v12, vcc_lo
	v_lshlrev_b32_e32 v15, 2, v12
	ds_bpermute_b32 v12, v15, v6
	ds_bpermute_b32 v13, v15, v7
	;; [unrolled: 1-line block ×4, first 2 shown]
	s_wait_dscnt 0x2
	v_add_f64_e32 v[6:7], v[6:7], v[12:13]
	v_xor_b32_e32 v12, 8, v1
	s_delay_alu instid0(VALU_DEP_1) | instskip(SKIP_2) | instid1(VALU_DEP_1)
	v_cmp_gt_i32_e32 vcc_lo, 32, v12
	v_cndmask_b32_e32 v12, v1, v12, vcc_lo
	s_wait_dscnt 0x0
	v_dual_add_f64 v[8:9], v[8:9], v[14:15] :: v_dual_lshlrev_b32 v15, 2, v12
	ds_bpermute_b32 v12, v15, v6
	ds_bpermute_b32 v13, v15, v7
	;; [unrolled: 1-line block ×4, first 2 shown]
	s_wait_dscnt 0x2
	v_add_f64_e32 v[6:7], v[6:7], v[12:13]
	v_xor_b32_e32 v12, 4, v1
	s_delay_alu instid0(VALU_DEP_1) | instskip(SKIP_2) | instid1(VALU_DEP_1)
	v_cmp_gt_i32_e32 vcc_lo, 32, v12
	v_cndmask_b32_e32 v12, v1, v12, vcc_lo
	s_wait_dscnt 0x0
	v_dual_add_f64 v[8:9], v[8:9], v[14:15] :: v_dual_lshlrev_b32 v15, 2, v12
	ds_bpermute_b32 v12, v15, v6
	ds_bpermute_b32 v13, v15, v7
	s_wait_dscnt 0x0
	v_add_f64_e32 v[6:7], v[6:7], v[12:13]
	v_xor_b32_e32 v12, 2, v1
	ds_bpermute_b32 v14, v15, v8
	ds_bpermute_b32 v15, v15, v9
	v_cmp_gt_i32_e32 vcc_lo, 32, v12
	v_cndmask_b32_e32 v12, v1, v12, vcc_lo
	s_wait_dscnt 0x0
	s_delay_alu instid0(VALU_DEP_1)
	v_dual_add_f64 v[8:9], v[8:9], v[14:15] :: v_dual_lshlrev_b32 v15, 2, v12
	ds_bpermute_b32 v12, v15, v6
	ds_bpermute_b32 v13, v15, v7
	s_wait_dscnt 0x0
	v_add_f64_e32 v[6:7], v[6:7], v[12:13]
	v_xor_b32_e32 v12, 1, v1
	ds_bpermute_b32 v14, v15, v8
	ds_bpermute_b32 v15, v15, v9
	v_cmp_gt_i32_e32 vcc_lo, 32, v12
	v_cndmask_b32_e32 v1, v1, v12, vcc_lo
	v_cmp_eq_u32_e32 vcc_lo, 63, v0
	s_wait_dscnt 0x0
	s_delay_alu instid0(VALU_DEP_2)
	v_dual_add_f64 v[8:9], v[8:9], v[14:15] :: v_dual_lshlrev_b32 v1, 2, v1
	ds_bpermute_b32 v12, v1, v6
	ds_bpermute_b32 v13, v1, v7
	;; [unrolled: 1-line block ×4, first 2 shown]
	s_and_b32 exec_lo, exec_lo, vcc_lo
	s_cbranch_execz .LBB203_12
; %bb.9:
	v_cmp_neq_f64_e32 vcc_lo, 0, v[2:3]
	s_wait_xcnt 0x0
	v_cmp_neq_f64_e64 s0, 0, v[4:5]
	s_wait_dscnt 0x2
	v_add_f64_e32 v[6:7], v[6:7], v[12:13]
	s_wait_dscnt 0x0
	v_add_f64_e32 v[8:9], v[8:9], v[14:15]
	s_wait_kmcnt 0x0
	v_lshl_add_u64 v[0:1], v[10:11], 4, s[2:3]
	s_or_b32 s1, vcc_lo, s0
	s_delay_alu instid0(SALU_CYCLE_1)
	s_and_saveexec_b32 s0, s1
	s_cbranch_execz .LBB203_11
; %bb.10:
	global_load_b128 v[10:13], v[0:1], off
	s_wait_loadcnt 0x0
	v_fmac_f64_e32 v[6:7], v[2:3], v[10:11]
	v_fmac_f64_e32 v[8:9], v[4:5], v[10:11]
	s_delay_alu instid0(VALU_DEP_2) | instskip(NEXT) | instid1(VALU_DEP_2)
	v_fma_f64 v[6:7], -v[4:5], v[12:13], v[6:7]
	v_fmac_f64_e32 v[8:9], v[2:3], v[12:13]
.LBB203_11:
	s_or_b32 exec_lo, exec_lo, s0
	global_store_b128 v[0:1], v[6:9], off
.LBB203_12:
	s_endpgm
	.section	.rodata,"a",@progbits
	.p2align	6, 0x0
	.amdhsa_kernel _ZN9rocsparseL41csrmvn_lrb_medium_rows_warp_reduce_kernelILj256ELj64Elld21rocsparse_complex_numIdES2_S2_EEvbT1_lPT2_S5_jNS_24const_host_device_scalarIT6_EEPKS3_PKS4_PKT3_PKT4_S8_PT5_21rocsparse_index_base_b
		.amdhsa_group_segment_fixed_size 0
		.amdhsa_private_segment_fixed_size 0
		.amdhsa_kernarg_size 128
		.amdhsa_user_sgpr_count 2
		.amdhsa_user_sgpr_dispatch_ptr 0
		.amdhsa_user_sgpr_queue_ptr 0
		.amdhsa_user_sgpr_kernarg_segment_ptr 1
		.amdhsa_user_sgpr_dispatch_id 0
		.amdhsa_user_sgpr_kernarg_preload_length 0
		.amdhsa_user_sgpr_kernarg_preload_offset 0
		.amdhsa_user_sgpr_private_segment_size 0
		.amdhsa_wavefront_size32 1
		.amdhsa_uses_dynamic_stack 0
		.amdhsa_enable_private_segment 0
		.amdhsa_system_sgpr_workgroup_id_x 1
		.amdhsa_system_sgpr_workgroup_id_y 0
		.amdhsa_system_sgpr_workgroup_id_z 0
		.amdhsa_system_sgpr_workgroup_info 0
		.amdhsa_system_vgpr_workitem_id 0
		.amdhsa_next_free_vgpr 36
		.amdhsa_next_free_sgpr 12
		.amdhsa_named_barrier_count 0
		.amdhsa_reserve_vcc 1
		.amdhsa_float_round_mode_32 0
		.amdhsa_float_round_mode_16_64 0
		.amdhsa_float_denorm_mode_32 3
		.amdhsa_float_denorm_mode_16_64 3
		.amdhsa_fp16_overflow 0
		.amdhsa_memory_ordered 1
		.amdhsa_forward_progress 1
		.amdhsa_inst_pref_size 10
		.amdhsa_round_robin_scheduling 0
		.amdhsa_exception_fp_ieee_invalid_op 0
		.amdhsa_exception_fp_denorm_src 0
		.amdhsa_exception_fp_ieee_div_zero 0
		.amdhsa_exception_fp_ieee_overflow 0
		.amdhsa_exception_fp_ieee_underflow 0
		.amdhsa_exception_fp_ieee_inexact 0
		.amdhsa_exception_int_div_zero 0
	.end_amdhsa_kernel
	.section	.text._ZN9rocsparseL41csrmvn_lrb_medium_rows_warp_reduce_kernelILj256ELj64Elld21rocsparse_complex_numIdES2_S2_EEvbT1_lPT2_S5_jNS_24const_host_device_scalarIT6_EEPKS3_PKS4_PKT3_PKT4_S8_PT5_21rocsparse_index_base_b,"axG",@progbits,_ZN9rocsparseL41csrmvn_lrb_medium_rows_warp_reduce_kernelILj256ELj64Elld21rocsparse_complex_numIdES2_S2_EEvbT1_lPT2_S5_jNS_24const_host_device_scalarIT6_EEPKS3_PKS4_PKT3_PKT4_S8_PT5_21rocsparse_index_base_b,comdat
.Lfunc_end203:
	.size	_ZN9rocsparseL41csrmvn_lrb_medium_rows_warp_reduce_kernelILj256ELj64Elld21rocsparse_complex_numIdES2_S2_EEvbT1_lPT2_S5_jNS_24const_host_device_scalarIT6_EEPKS3_PKS4_PKT3_PKT4_S8_PT5_21rocsparse_index_base_b, .Lfunc_end203-_ZN9rocsparseL41csrmvn_lrb_medium_rows_warp_reduce_kernelILj256ELj64Elld21rocsparse_complex_numIdES2_S2_EEvbT1_lPT2_S5_jNS_24const_host_device_scalarIT6_EEPKS3_PKS4_PKT3_PKT4_S8_PT5_21rocsparse_index_base_b
                                        ; -- End function
	.set _ZN9rocsparseL41csrmvn_lrb_medium_rows_warp_reduce_kernelILj256ELj64Elld21rocsparse_complex_numIdES2_S2_EEvbT1_lPT2_S5_jNS_24const_host_device_scalarIT6_EEPKS3_PKS4_PKT3_PKT4_S8_PT5_21rocsparse_index_base_b.num_vgpr, 36
	.set _ZN9rocsparseL41csrmvn_lrb_medium_rows_warp_reduce_kernelILj256ELj64Elld21rocsparse_complex_numIdES2_S2_EEvbT1_lPT2_S5_jNS_24const_host_device_scalarIT6_EEPKS3_PKS4_PKT3_PKT4_S8_PT5_21rocsparse_index_base_b.num_agpr, 0
	.set _ZN9rocsparseL41csrmvn_lrb_medium_rows_warp_reduce_kernelILj256ELj64Elld21rocsparse_complex_numIdES2_S2_EEvbT1_lPT2_S5_jNS_24const_host_device_scalarIT6_EEPKS3_PKS4_PKT3_PKT4_S8_PT5_21rocsparse_index_base_b.numbered_sgpr, 12
	.set _ZN9rocsparseL41csrmvn_lrb_medium_rows_warp_reduce_kernelILj256ELj64Elld21rocsparse_complex_numIdES2_S2_EEvbT1_lPT2_S5_jNS_24const_host_device_scalarIT6_EEPKS3_PKS4_PKT3_PKT4_S8_PT5_21rocsparse_index_base_b.num_named_barrier, 0
	.set _ZN9rocsparseL41csrmvn_lrb_medium_rows_warp_reduce_kernelILj256ELj64Elld21rocsparse_complex_numIdES2_S2_EEvbT1_lPT2_S5_jNS_24const_host_device_scalarIT6_EEPKS3_PKS4_PKT3_PKT4_S8_PT5_21rocsparse_index_base_b.private_seg_size, 0
	.set _ZN9rocsparseL41csrmvn_lrb_medium_rows_warp_reduce_kernelILj256ELj64Elld21rocsparse_complex_numIdES2_S2_EEvbT1_lPT2_S5_jNS_24const_host_device_scalarIT6_EEPKS3_PKS4_PKT3_PKT4_S8_PT5_21rocsparse_index_base_b.uses_vcc, 1
	.set _ZN9rocsparseL41csrmvn_lrb_medium_rows_warp_reduce_kernelILj256ELj64Elld21rocsparse_complex_numIdES2_S2_EEvbT1_lPT2_S5_jNS_24const_host_device_scalarIT6_EEPKS3_PKS4_PKT3_PKT4_S8_PT5_21rocsparse_index_base_b.uses_flat_scratch, 0
	.set _ZN9rocsparseL41csrmvn_lrb_medium_rows_warp_reduce_kernelILj256ELj64Elld21rocsparse_complex_numIdES2_S2_EEvbT1_lPT2_S5_jNS_24const_host_device_scalarIT6_EEPKS3_PKS4_PKT3_PKT4_S8_PT5_21rocsparse_index_base_b.has_dyn_sized_stack, 0
	.set _ZN9rocsparseL41csrmvn_lrb_medium_rows_warp_reduce_kernelILj256ELj64Elld21rocsparse_complex_numIdES2_S2_EEvbT1_lPT2_S5_jNS_24const_host_device_scalarIT6_EEPKS3_PKS4_PKT3_PKT4_S8_PT5_21rocsparse_index_base_b.has_recursion, 0
	.set _ZN9rocsparseL41csrmvn_lrb_medium_rows_warp_reduce_kernelILj256ELj64Elld21rocsparse_complex_numIdES2_S2_EEvbT1_lPT2_S5_jNS_24const_host_device_scalarIT6_EEPKS3_PKS4_PKT3_PKT4_S8_PT5_21rocsparse_index_base_b.has_indirect_call, 0
	.section	.AMDGPU.csdata,"",@progbits
; Kernel info:
; codeLenInByte = 1220
; TotalNumSgprs: 14
; NumVgprs: 36
; ScratchSize: 0
; MemoryBound: 0
; FloatMode: 240
; IeeeMode: 1
; LDSByteSize: 0 bytes/workgroup (compile time only)
; SGPRBlocks: 0
; VGPRBlocks: 2
; NumSGPRsForWavesPerEU: 14
; NumVGPRsForWavesPerEU: 36
; NamedBarCnt: 0
; Occupancy: 16
; WaveLimiterHint : 1
; COMPUTE_PGM_RSRC2:SCRATCH_EN: 0
; COMPUTE_PGM_RSRC2:USER_SGPR: 2
; COMPUTE_PGM_RSRC2:TRAP_HANDLER: 0
; COMPUTE_PGM_RSRC2:TGID_X_EN: 1
; COMPUTE_PGM_RSRC2:TGID_Y_EN: 0
; COMPUTE_PGM_RSRC2:TGID_Z_EN: 0
; COMPUTE_PGM_RSRC2:TIDIG_COMP_CNT: 0
	.section	.text._ZN9rocsparseL29csrmvn_lrb_medium_rows_kernelILj256Elld21rocsparse_complex_numIdES2_S2_EEvbT0_PT1_S5_jNS_24const_host_device_scalarIT5_EEPKS3_PKS4_PKT2_PKT3_S8_PT4_21rocsparse_index_base_b,"axG",@progbits,_ZN9rocsparseL29csrmvn_lrb_medium_rows_kernelILj256Elld21rocsparse_complex_numIdES2_S2_EEvbT0_PT1_S5_jNS_24const_host_device_scalarIT5_EEPKS3_PKS4_PKT2_PKT3_S8_PT4_21rocsparse_index_base_b,comdat
	.globl	_ZN9rocsparseL29csrmvn_lrb_medium_rows_kernelILj256Elld21rocsparse_complex_numIdES2_S2_EEvbT0_PT1_S5_jNS_24const_host_device_scalarIT5_EEPKS3_PKS4_PKT2_PKT3_S8_PT4_21rocsparse_index_base_b ; -- Begin function _ZN9rocsparseL29csrmvn_lrb_medium_rows_kernelILj256Elld21rocsparse_complex_numIdES2_S2_EEvbT0_PT1_S5_jNS_24const_host_device_scalarIT5_EEPKS3_PKS4_PKT2_PKT3_S8_PT4_21rocsparse_index_base_b
	.p2align	8
	.type	_ZN9rocsparseL29csrmvn_lrb_medium_rows_kernelILj256Elld21rocsparse_complex_numIdES2_S2_EEvbT0_PT1_S5_jNS_24const_host_device_scalarIT5_EEPKS3_PKS4_PKT2_PKT3_S8_PT4_21rocsparse_index_base_b,@function
_ZN9rocsparseL29csrmvn_lrb_medium_rows_kernelILj256Elld21rocsparse_complex_numIdES2_S2_EEvbT0_PT1_S5_jNS_24const_host_device_scalarIT5_EEPKS3_PKS4_PKT2_PKT3_S8_PT4_21rocsparse_index_base_b: ; @_ZN9rocsparseL29csrmvn_lrb_medium_rows_kernelILj256Elld21rocsparse_complex_numIdES2_S2_EEvbT0_PT1_S5_jNS_24const_host_device_scalarIT5_EEPKS3_PKS4_PKT2_PKT3_S8_PT4_21rocsparse_index_base_b
; %bb.0:
	s_clause 0x1
	s_load_b64 s[4:5], s[0:1], 0x70
	s_load_b64 s[2:3], s[0:1], 0x28
	v_mov_b32_e32 v1, 0
	s_add_nc_u64 s[6:7], s[0:1], 40
	s_load_b64 s[8:9], s[0:1], 0x58
	s_wait_kmcnt 0x0
	s_bitcmp1_b32 s5, 0
	s_cselect_b32 s3, s7, s3
	s_cselect_b32 s2, s6, s2
	flat_load_b128 v[6:9], v1, s[2:3]
	s_wait_xcnt 0x0
	s_add_nc_u64 s[2:3], s[0:1], 0x58
	s_delay_alu instid0(SALU_CYCLE_1)
	s_cselect_b32 s3, s3, s9
	s_cselect_b32 s2, s2, s8
	flat_load_b128 v[2:5], v1, s[2:3]
	s_wait_loadcnt_dscnt 0x101
	v_cmp_eq_f64_e32 vcc_lo, 0, v[6:7]
	s_wait_xcnt 0x0
	v_cmp_eq_f64_e64 s2, 0, v[8:9]
	s_and_b32 s5, vcc_lo, s2
	s_mov_b32 s2, -1
	s_and_saveexec_b32 s3, s5
	s_cbranch_execz .LBB204_2
; %bb.1:
	s_wait_loadcnt_dscnt 0x0
	v_cmp_neq_f64_e32 vcc_lo, 1.0, v[2:3]
	v_cmp_neq_f64_e64 s2, 0, v[4:5]
	s_or_b32 s2, vcc_lo, s2
	s_delay_alu instid0(SALU_CYCLE_1)
	s_or_not1_b32 s2, s2, exec_lo
.LBB204_2:
	s_or_b32 exec_lo, exec_lo, s3
	s_and_saveexec_b32 s3, s2
	s_cbranch_execz .LBB204_27
; %bb.3:
	s_clause 0x1
	s_load_b128 s[8:11], s[0:1], 0x10
	s_load_b32 s2, s[0:1], 0x20
	s_bfe_u32 s5, ttmp6, 0x4000c
	s_and_b32 s6, ttmp6, 15
	s_add_co_i32 s5, s5, 1
	s_getreg_b32 s7, hwreg(HW_REG_IB_STS2, 6, 4)
	s_mul_i32 s5, ttmp9, s5
	v_mov_b32_e32 v1, 0
	s_add_co_i32 s6, s6, s5
	s_cmp_eq_u32 s7, 0
	s_mov_b32 s5, 0
	s_cselect_b32 s6, ttmp9, s6
	v_sub_nc_u64_e64 v[10:11], v[0:1], s[4:5]
	s_ashr_i32 s7, s6, 31
	v_mov_b64_e32 v[12:13], 0
	s_lshl_b64 s[6:7], s[6:7], 3
	s_wait_kmcnt 0x0
	s_load_b64 s[2:3], s[10:11], s2 offset:0x0 scale_offset
	s_wait_kmcnt 0x0
	s_lshl_b64 s[2:3], s[2:3], 3
	s_delay_alu instid0(SALU_CYCLE_1) | instskip(NEXT) | instid1(SALU_CYCLE_1)
	s_add_nc_u64 s[2:3], s[8:9], s[2:3]
	s_add_nc_u64 s[6:7], s[2:3], s[6:7]
	s_load_b64 s[2:3], s[6:7], 0x0
	s_load_b64 s[8:9], s[0:1], 0x38
	s_wait_kmcnt 0x0
	s_lshl_b64 s[6:7], s[2:3], 3
	s_delay_alu instid0(SALU_CYCLE_1)
	s_add_nc_u64 s[6:7], s[8:9], s[6:7]
	s_load_b128 s[8:11], s[6:7], 0x0
	s_wait_kmcnt 0x0
	v_add_nc_u64_e32 v[14:15], s[8:9], v[10:11]
	v_mov_b64_e32 v[10:11], 0
	s_sub_nc_u64 s[6:7], s[10:11], s[4:5]
	s_mov_b32 s10, exec_lo
	s_delay_alu instid0(VALU_DEP_2)
	v_cmpx_gt_i64_e64 s[6:7], v[14:15]
	s_cbranch_execz .LBB204_7
; %bb.4:
	v_mul_f64_e32 v[16:17], 0x80000000, v[8:9]
	v_mul_f64_e32 v[18:19], 0, v[6:7]
	s_clause 0x1
	s_load_b128 s[12:15], s[0:1], 0x40
	s_load_b64 s[8:9], s[0:1], 0x50
	v_lshlrev_b64_e32 v[10:11], 3, v[14:15]
	v_mov_b64_e32 v[12:13], 0
	s_mov_b32 s11, s5
	s_wait_kmcnt 0x0
	s_delay_alu instid0(VALU_DEP_2) | instskip(SKIP_1) | instid1(VALU_DEP_3)
	v_add_nc_u64_e32 v[20:21], s[14:15], v[10:11]
	v_add_nc_u64_e32 v[22:23], s[12:13], v[10:11]
	v_mov_b64_e32 v[10:11], v[12:13]
.LBB204_5:                              ; =>This Inner Loop Header: Depth=1
	global_load_b64 v[24:25], v[22:23], off
	global_load_b64 v[28:29], v[20:21], off
	v_add_nc_u64_e32 v[14:15], 0x100, v[14:15]
	s_wait_xcnt 0x0
	v_add_nc_u64_e32 v[20:21], 0x800, v[20:21]
	v_add_nc_u64_e32 v[22:23], 0x800, v[22:23]
	s_delay_alu instid0(VALU_DEP_3)
	v_cmp_le_i64_e32 vcc_lo, s[6:7], v[14:15]
	s_or_b32 s11, vcc_lo, s11
	s_wait_loadcnt 0x1
	v_sub_nc_u64_e64 v[24:25], v[24:25], s[4:5]
	s_wait_loadcnt 0x0
	v_fma_f64 v[30:31], v[6:7], v[28:29], v[16:17]
	v_fma_f64 v[28:29], v[8:9], v[28:29], v[18:19]
	s_delay_alu instid0(VALU_DEP_3) | instskip(SKIP_4) | instid1(VALU_DEP_2)
	v_lshl_add_u64 v[24:25], v[24:25], 4, s[8:9]
	global_load_b128 v[24:27], v[24:25], off
	s_wait_loadcnt 0x0
	v_fmac_f64_e32 v[10:11], v[30:31], v[24:25]
	v_fmac_f64_e32 v[12:13], v[28:29], v[24:25]
	v_fma_f64 v[10:11], -v[28:29], v[26:27], v[10:11]
	s_delay_alu instid0(VALU_DEP_2)
	v_fmac_f64_e32 v[12:13], v[30:31], v[26:27]
	s_and_not1_b32 exec_lo, exec_lo, s11
	s_cbranch_execnz .LBB204_5
; %bb.6:
	s_or_b32 exec_lo, exec_lo, s11
.LBB204_7:
	s_delay_alu instid0(SALU_CYCLE_1)
	s_or_b32 exec_lo, exec_lo, s10
	s_load_b64 s[4:5], s[0:1], 0x68
	v_lshlrev_b32_e32 v1, 4, v0
	s_wait_xcnt 0x0
	s_mov_b32 s0, exec_lo
	ds_store_b128 v1, v[10:13]
	s_wait_loadcnt_dscnt 0x0
	s_barrier_signal -1
	s_barrier_wait -1
	v_cmpx_gt_u32_e32 0x80, v0
	s_cbranch_execz .LBB204_9
; %bb.8:
	ds_load_b128 v[6:9], v1 offset:2048
	ds_load_b128 v[10:13], v1
	s_wait_dscnt 0x0
	v_add_f64_e32 v[6:7], v[6:7], v[10:11]
	v_add_f64_e32 v[8:9], v[8:9], v[12:13]
	ds_store_b128 v1, v[6:9]
.LBB204_9:
	s_or_b32 exec_lo, exec_lo, s0
	s_delay_alu instid0(SALU_CYCLE_1)
	s_mov_b32 s0, exec_lo
	s_wait_dscnt 0x0
	s_barrier_signal -1
	s_barrier_wait -1
	v_cmpx_gt_u32_e32 64, v0
	s_cbranch_execz .LBB204_11
; %bb.10:
	ds_load_b128 v[6:9], v1 offset:1024
	ds_load_b128 v[10:13], v1
	s_wait_dscnt 0x0
	v_add_f64_e32 v[6:7], v[6:7], v[10:11]
	v_add_f64_e32 v[8:9], v[8:9], v[12:13]
	ds_store_b128 v1, v[6:9]
.LBB204_11:
	s_or_b32 exec_lo, exec_lo, s0
	s_delay_alu instid0(SALU_CYCLE_1)
	s_mov_b32 s0, exec_lo
	s_wait_dscnt 0x0
	;; [unrolled: 16-line block ×6, first 2 shown]
	s_barrier_signal -1
	s_barrier_wait -1
	v_cmpx_gt_u32_e32 2, v0
	s_cbranch_execz .LBB204_21
; %bb.20:
	ds_load_b128 v[6:9], v1
	ds_load_b128 v[10:13], v1 offset:32
	s_wait_dscnt 0x0
	v_add_f64_e32 v[6:7], v[10:11], v[6:7]
	v_add_f64_e32 v[8:9], v[12:13], v[8:9]
	ds_store_b128 v1, v[6:9]
.LBB204_21:
	s_or_b32 exec_lo, exec_lo, s0
	v_cmp_eq_u32_e32 vcc_lo, 0, v0
	s_wait_dscnt 0x0
	s_barrier_signal -1
	s_barrier_wait -1
	s_and_saveexec_b32 s0, vcc_lo
	s_cbranch_execz .LBB204_23
; %bb.22:
	v_mov_b32_e32 v0, 0
	ds_load_b128 v[6:9], v0
	ds_load_b128 v[10:13], v0 offset:16
	s_wait_dscnt 0x0
	v_add_f64_e32 v[6:7], v[10:11], v[6:7]
	v_add_f64_e32 v[8:9], v[12:13], v[8:9]
	ds_store_b128 v0, v[6:9]
.LBB204_23:
	s_or_b32 exec_lo, exec_lo, s0
	s_wait_dscnt 0x0
	s_barrier_signal -1
	s_barrier_wait -1
	s_and_b32 exec_lo, exec_lo, vcc_lo
	s_cbranch_execz .LBB204_27
; %bb.24:
	v_cmp_neq_f64_e32 vcc_lo, 0, v[2:3]
	v_cmp_neq_f64_e64 s0, 0, v[4:5]
	v_mov_b32_e32 v0, 0
	ds_load_b128 v[6:9], v0
	s_or_b32 s1, vcc_lo, s0
	s_delay_alu instid0(SALU_CYCLE_1)
	s_and_saveexec_b32 s0, s1
	s_cbranch_execz .LBB204_26
; %bb.25:
	s_lshl_b64 s[6:7], s[2:3], 4
	s_wait_kmcnt 0x0
	s_add_nc_u64 s[6:7], s[4:5], s[6:7]
	s_load_b128 s[8:11], s[6:7], 0x0
	s_wait_dscnt 0x0
	s_wait_kmcnt 0x0
	v_fmac_f64_e32 v[6:7], s[8:9], v[2:3]
	v_fmac_f64_e32 v[8:9], s[8:9], v[4:5]
	s_delay_alu instid0(VALU_DEP_2) | instskip(NEXT) | instid1(VALU_DEP_2)
	v_fma_f64 v[6:7], -v[4:5], s[10:11], v[6:7]
	v_fmac_f64_e32 v[8:9], s[10:11], v[2:3]
.LBB204_26:
	s_or_b32 exec_lo, exec_lo, s0
	s_lshl_b64 s[0:1], s[2:3], 4
	s_wait_kmcnt 0x0
	s_add_nc_u64 s[0:1], s[4:5], s[0:1]
	s_wait_dscnt 0x0
	global_store_b128 v0, v[6:9], s[0:1]
.LBB204_27:
	s_endpgm
	.section	.rodata,"a",@progbits
	.p2align	6, 0x0
	.amdhsa_kernel _ZN9rocsparseL29csrmvn_lrb_medium_rows_kernelILj256Elld21rocsparse_complex_numIdES2_S2_EEvbT0_PT1_S5_jNS_24const_host_device_scalarIT5_EEPKS3_PKS4_PKT2_PKT3_S8_PT4_21rocsparse_index_base_b
		.amdhsa_group_segment_fixed_size 4096
		.amdhsa_private_segment_fixed_size 0
		.amdhsa_kernarg_size 120
		.amdhsa_user_sgpr_count 2
		.amdhsa_user_sgpr_dispatch_ptr 0
		.amdhsa_user_sgpr_queue_ptr 0
		.amdhsa_user_sgpr_kernarg_segment_ptr 1
		.amdhsa_user_sgpr_dispatch_id 0
		.amdhsa_user_sgpr_kernarg_preload_length 0
		.amdhsa_user_sgpr_kernarg_preload_offset 0
		.amdhsa_user_sgpr_private_segment_size 0
		.amdhsa_wavefront_size32 1
		.amdhsa_uses_dynamic_stack 0
		.amdhsa_enable_private_segment 0
		.amdhsa_system_sgpr_workgroup_id_x 1
		.amdhsa_system_sgpr_workgroup_id_y 0
		.amdhsa_system_sgpr_workgroup_id_z 0
		.amdhsa_system_sgpr_workgroup_info 0
		.amdhsa_system_vgpr_workitem_id 0
		.amdhsa_next_free_vgpr 32
		.amdhsa_next_free_sgpr 16
		.amdhsa_named_barrier_count 0
		.amdhsa_reserve_vcc 1
		.amdhsa_float_round_mode_32 0
		.amdhsa_float_round_mode_16_64 0
		.amdhsa_float_denorm_mode_32 3
		.amdhsa_float_denorm_mode_16_64 3
		.amdhsa_fp16_overflow 0
		.amdhsa_memory_ordered 1
		.amdhsa_forward_progress 1
		.amdhsa_inst_pref_size 11
		.amdhsa_round_robin_scheduling 0
		.amdhsa_exception_fp_ieee_invalid_op 0
		.amdhsa_exception_fp_denorm_src 0
		.amdhsa_exception_fp_ieee_div_zero 0
		.amdhsa_exception_fp_ieee_overflow 0
		.amdhsa_exception_fp_ieee_underflow 0
		.amdhsa_exception_fp_ieee_inexact 0
		.amdhsa_exception_int_div_zero 0
	.end_amdhsa_kernel
	.section	.text._ZN9rocsparseL29csrmvn_lrb_medium_rows_kernelILj256Elld21rocsparse_complex_numIdES2_S2_EEvbT0_PT1_S5_jNS_24const_host_device_scalarIT5_EEPKS3_PKS4_PKT2_PKT3_S8_PT4_21rocsparse_index_base_b,"axG",@progbits,_ZN9rocsparseL29csrmvn_lrb_medium_rows_kernelILj256Elld21rocsparse_complex_numIdES2_S2_EEvbT0_PT1_S5_jNS_24const_host_device_scalarIT5_EEPKS3_PKS4_PKT2_PKT3_S8_PT4_21rocsparse_index_base_b,comdat
.Lfunc_end204:
	.size	_ZN9rocsparseL29csrmvn_lrb_medium_rows_kernelILj256Elld21rocsparse_complex_numIdES2_S2_EEvbT0_PT1_S5_jNS_24const_host_device_scalarIT5_EEPKS3_PKS4_PKT2_PKT3_S8_PT4_21rocsparse_index_base_b, .Lfunc_end204-_ZN9rocsparseL29csrmvn_lrb_medium_rows_kernelILj256Elld21rocsparse_complex_numIdES2_S2_EEvbT0_PT1_S5_jNS_24const_host_device_scalarIT5_EEPKS3_PKS4_PKT2_PKT3_S8_PT4_21rocsparse_index_base_b
                                        ; -- End function
	.set _ZN9rocsparseL29csrmvn_lrb_medium_rows_kernelILj256Elld21rocsparse_complex_numIdES2_S2_EEvbT0_PT1_S5_jNS_24const_host_device_scalarIT5_EEPKS3_PKS4_PKT2_PKT3_S8_PT4_21rocsparse_index_base_b.num_vgpr, 32
	.set _ZN9rocsparseL29csrmvn_lrb_medium_rows_kernelILj256Elld21rocsparse_complex_numIdES2_S2_EEvbT0_PT1_S5_jNS_24const_host_device_scalarIT5_EEPKS3_PKS4_PKT2_PKT3_S8_PT4_21rocsparse_index_base_b.num_agpr, 0
	.set _ZN9rocsparseL29csrmvn_lrb_medium_rows_kernelILj256Elld21rocsparse_complex_numIdES2_S2_EEvbT0_PT1_S5_jNS_24const_host_device_scalarIT5_EEPKS3_PKS4_PKT2_PKT3_S8_PT4_21rocsparse_index_base_b.numbered_sgpr, 16
	.set _ZN9rocsparseL29csrmvn_lrb_medium_rows_kernelILj256Elld21rocsparse_complex_numIdES2_S2_EEvbT0_PT1_S5_jNS_24const_host_device_scalarIT5_EEPKS3_PKS4_PKT2_PKT3_S8_PT4_21rocsparse_index_base_b.num_named_barrier, 0
	.set _ZN9rocsparseL29csrmvn_lrb_medium_rows_kernelILj256Elld21rocsparse_complex_numIdES2_S2_EEvbT0_PT1_S5_jNS_24const_host_device_scalarIT5_EEPKS3_PKS4_PKT2_PKT3_S8_PT4_21rocsparse_index_base_b.private_seg_size, 0
	.set _ZN9rocsparseL29csrmvn_lrb_medium_rows_kernelILj256Elld21rocsparse_complex_numIdES2_S2_EEvbT0_PT1_S5_jNS_24const_host_device_scalarIT5_EEPKS3_PKS4_PKT2_PKT3_S8_PT4_21rocsparse_index_base_b.uses_vcc, 1
	.set _ZN9rocsparseL29csrmvn_lrb_medium_rows_kernelILj256Elld21rocsparse_complex_numIdES2_S2_EEvbT0_PT1_S5_jNS_24const_host_device_scalarIT5_EEPKS3_PKS4_PKT2_PKT3_S8_PT4_21rocsparse_index_base_b.uses_flat_scratch, 0
	.set _ZN9rocsparseL29csrmvn_lrb_medium_rows_kernelILj256Elld21rocsparse_complex_numIdES2_S2_EEvbT0_PT1_S5_jNS_24const_host_device_scalarIT5_EEPKS3_PKS4_PKT2_PKT3_S8_PT4_21rocsparse_index_base_b.has_dyn_sized_stack, 0
	.set _ZN9rocsparseL29csrmvn_lrb_medium_rows_kernelILj256Elld21rocsparse_complex_numIdES2_S2_EEvbT0_PT1_S5_jNS_24const_host_device_scalarIT5_EEPKS3_PKS4_PKT2_PKT3_S8_PT4_21rocsparse_index_base_b.has_recursion, 0
	.set _ZN9rocsparseL29csrmvn_lrb_medium_rows_kernelILj256Elld21rocsparse_complex_numIdES2_S2_EEvbT0_PT1_S5_jNS_24const_host_device_scalarIT5_EEPKS3_PKS4_PKT2_PKT3_S8_PT4_21rocsparse_index_base_b.has_indirect_call, 0
	.section	.AMDGPU.csdata,"",@progbits
; Kernel info:
; codeLenInByte = 1316
; TotalNumSgprs: 18
; NumVgprs: 32
; ScratchSize: 0
; MemoryBound: 0
; FloatMode: 240
; IeeeMode: 1
; LDSByteSize: 4096 bytes/workgroup (compile time only)
; SGPRBlocks: 0
; VGPRBlocks: 1
; NumSGPRsForWavesPerEU: 18
; NumVGPRsForWavesPerEU: 32
; NamedBarCnt: 0
; Occupancy: 16
; WaveLimiterHint : 1
; COMPUTE_PGM_RSRC2:SCRATCH_EN: 0
; COMPUTE_PGM_RSRC2:USER_SGPR: 2
; COMPUTE_PGM_RSRC2:TRAP_HANDLER: 0
; COMPUTE_PGM_RSRC2:TGID_X_EN: 1
; COMPUTE_PGM_RSRC2:TGID_Y_EN: 0
; COMPUTE_PGM_RSRC2:TGID_Z_EN: 0
; COMPUTE_PGM_RSRC2:TIDIG_COMP_CNT: 0
	.section	.text._ZN9rocsparseL27csrmvn_lrb_long_rows_kernelIlld21rocsparse_complex_numIdES2_S2_EEvbT_PjPT0_S6_jNS_24const_host_device_scalarIT4_EEPKS3_PKS5_PKT1_PKT2_S9_PT3_21rocsparse_index_base_b,"axG",@progbits,_ZN9rocsparseL27csrmvn_lrb_long_rows_kernelIlld21rocsparse_complex_numIdES2_S2_EEvbT_PjPT0_S6_jNS_24const_host_device_scalarIT4_EEPKS3_PKS5_PKT1_PKT2_S9_PT3_21rocsparse_index_base_b,comdat
	.globl	_ZN9rocsparseL27csrmvn_lrb_long_rows_kernelIlld21rocsparse_complex_numIdES2_S2_EEvbT_PjPT0_S6_jNS_24const_host_device_scalarIT4_EEPKS3_PKS5_PKT1_PKT2_S9_PT3_21rocsparse_index_base_b ; -- Begin function _ZN9rocsparseL27csrmvn_lrb_long_rows_kernelIlld21rocsparse_complex_numIdES2_S2_EEvbT_PjPT0_S6_jNS_24const_host_device_scalarIT4_EEPKS3_PKS5_PKT1_PKT2_S9_PT3_21rocsparse_index_base_b
	.p2align	8
	.type	_ZN9rocsparseL27csrmvn_lrb_long_rows_kernelIlld21rocsparse_complex_numIdES2_S2_EEvbT_PjPT0_S6_jNS_24const_host_device_scalarIT4_EEPKS3_PKS5_PKT1_PKT2_S9_PT3_21rocsparse_index_base_b,@function
_ZN9rocsparseL27csrmvn_lrb_long_rows_kernelIlld21rocsparse_complex_numIdES2_S2_EEvbT_PjPT0_S6_jNS_24const_host_device_scalarIT4_EEPKS3_PKS5_PKT1_PKT2_S9_PT3_21rocsparse_index_base_b: ; @_ZN9rocsparseL27csrmvn_lrb_long_rows_kernelIlld21rocsparse_complex_numIdES2_S2_EEvbT_PjPT0_S6_jNS_24const_host_device_scalarIT4_EEPKS3_PKS5_PKT1_PKT2_S9_PT3_21rocsparse_index_base_b
; %bb.0:
	s_clause 0x1
	s_load_b64 s[22:23], s[0:1], 0x78
	s_load_b64 s[2:3], s[0:1], 0x30
	v_mov_b32_e32 v1, 0
	s_add_nc_u64 s[4:5], s[0:1], 48
	s_load_b64 s[6:7], s[0:1], 0x60
	s_wait_kmcnt 0x0
	s_bitcmp1_b32 s23, 0
	s_cselect_b32 s3, s5, s3
	s_cselect_b32 s2, s4, s2
	flat_load_b128 v[2:5], v1, s[2:3]
	s_wait_xcnt 0x0
	s_add_nc_u64 s[2:3], s[0:1], 0x60
	s_delay_alu instid0(SALU_CYCLE_1)
	s_cselect_b32 s3, s3, s7
	s_cselect_b32 s2, s2, s6
	flat_load_b128 v[6:9], v1, s[2:3]
	s_wait_loadcnt_dscnt 0x101
	v_cmp_eq_f64_e32 vcc_lo, 0, v[2:3]
	s_wait_xcnt 0x0
	v_cmp_eq_f64_e64 s2, 0, v[4:5]
	s_and_b32 s4, vcc_lo, s2
	s_mov_b32 s2, -1
	s_and_saveexec_b32 s3, s4
	s_cbranch_execz .LBB205_2
; %bb.1:
	s_wait_loadcnt_dscnt 0x0
	v_cmp_neq_f64_e32 vcc_lo, 1.0, v[6:7]
	v_cmp_neq_f64_e64 s2, 0, v[8:9]
	s_or_b32 s2, vcc_lo, s2
	s_delay_alu instid0(SALU_CYCLE_1)
	s_or_not1_b32 s2, s2, exec_lo
.LBB205_2:
	s_or_b32 exec_lo, exec_lo, s3
	s_and_saveexec_b32 s3, s2
	s_cbranch_execz .LBB205_38
; %bb.3:
	s_clause 0x1
	s_load_b96 s[8:10], s[0:1], 0x20
	s_load_b128 s[4:7], s[0:1], 0x10
	s_bfe_u32 s12, ttmp6, 0x4000c
	s_and_b32 s11, ttmp6, 15
	s_add_co_i32 s12, s12, 1
	s_getreg_b32 s13, hwreg(HW_REG_IB_STS2, 6, 4)
	v_mov_b64_e32 v[10:11], 0
	v_mov_b64_e32 v[12:13], 0
	s_mov_b32 s23, 0
	s_mov_b32 s25, exec_lo
	s_wait_kmcnt 0x0
	s_lshl_b32 s2, -1, s10
	s_delay_alu instid0(SALU_CYCLE_1) | instskip(NEXT) | instid1(SALU_CYCLE_1)
	s_not_b32 s2, s2
	s_mul_hi_u32 s2, s2, 0x2aaaaaab
	s_delay_alu instid0(SALU_CYCLE_1) | instskip(NEXT) | instid1(SALU_CYCLE_1)
	s_lshr_b32 s2, s2, 7
	s_add_co_i32 s20, s2, 1
	s_not_b32 s2, s2
	s_cvt_f32_u32 s3, s20
	s_delay_alu instid0(SALU_CYCLE_3) | instskip(SKIP_1) | instid1(TRANS32_DEP_1)
	v_rcp_iflag_f32_e32 v1, s3
	v_nop
	v_readfirstlane_b32 s3, v1
	s_mul_f32 s3, s3, 0x4f7ffffe
	s_delay_alu instid0(SALU_CYCLE_3) | instskip(SKIP_1) | instid1(SALU_CYCLE_1)
	s_cvt_u32_f32 s14, s3
	s_mul_i32 s3, ttmp9, s12
	s_add_co_i32 s11, s11, s3
	s_delay_alu instid0(SALU_CYCLE_1) | instskip(NEXT) | instid1(SALU_CYCLE_1)
	s_mul_i32 s2, s2, s14
	s_mul_hi_u32 s12, s14, s2
	s_load_b64 s[2:3], s[8:9], s10 offset:0x0 scale_offset
	s_add_co_i32 s14, s14, s12
	s_cmp_eq_u32 s13, 0
	s_cselect_b32 s12, ttmp9, s11
	s_wait_xcnt 0x0
	s_mul_hi_u32 s8, s12, s14
	s_delay_alu instid0(SALU_CYCLE_1) | instskip(SKIP_2) | instid1(SALU_CYCLE_1)
	s_mul_i32 s9, s8, s20
	s_add_co_i32 s10, s8, 1
	s_sub_co_i32 s9, s12, s9
	s_sub_co_i32 s11, s9, s20
	s_cmp_ge_u32 s9, s20
	s_cselect_b32 s8, s10, s8
	s_cselect_b32 s9, s11, s9
	s_add_co_i32 s10, s8, 1
	s_cmp_ge_u32 s9, s20
	s_cselect_b32 s21, s10, s8
	s_wait_kmcnt 0x0
	s_lshl_b64 s[2:3], s[2:3], 3
	s_ashr_i32 s13, s12, 31
	s_add_nc_u64 s[8:9], s[6:7], s[2:3]
	s_load_b64 s[2:3], s[8:9], s21 offset:0x0 scale_offset
	s_clause 0x1
	s_load_b64 s[10:11], s[0:1], 0x40
	s_load_b64 s[6:7], s[0:1], 0x70
	s_lshl_b64 s[14:15], s[12:13], 2
	s_wait_xcnt 0x0
	s_mul_i32 s21, s21, s20
	s_add_nc_u64 s[16:17], s[4:5], s[14:15]
	s_wait_kmcnt 0x0
	s_lshl_b64 s[8:9], s[2:3], 3
	s_delay_alu instid0(SALU_CYCLE_1)
	s_add_nc_u64 s[18:19], s[10:11], s[8:9]
	s_load_b128 s[8:11], s[18:19], 0x0
	s_load_b32 s24, s[16:17], 0x0
	s_wait_xcnt 0x0
	s_sub_co_i32 s18, s12, s21
	s_mov_b32 s19, s23
	v_or_b32_e32 v1, s18, v0
	s_sub_nc_u64 s[20:21], s[12:13], s[18:19]
	s_delay_alu instid0(VALU_DEP_1)
	v_cmpx_eq_u32_e32 0, v1
	s_cbranch_execz .LBB205_7
; %bb.4:
	s_wait_loadcnt_dscnt 0x0
	v_add_f64_e32 v[6:7], -1.0, v[6:7]
	s_lshl_b64 s[12:13], s[2:3], 4
	s_mov_b32 s26, exec_lo
	s_add_nc_u64 s[28:29], s[6:7], s[12:13]
	v_mbcnt_lo_u32_b32 v1, s26, 0
	s_load_b128 s[12:15], s[28:29], 0x0
	global_wb scope:SCOPE_DEV
	s_wait_storecnt 0x0
	global_inv scope:SCOPE_DEV
	s_wait_kmcnt 0x0
	v_mul_f64_e64 v[10:11], s[14:15], -v[8:9]
	v_mul_f64_e32 v[12:13], s[14:15], v[6:7]
	s_mov_b32 s14, exec_lo
	v_cmpx_eq_u32_e32 0, v1
	s_cbranch_execz .LBB205_6
; %bb.5:
	s_bcnt1_i32_b32 s15, s26
	s_lshl_b64 s[26:27], s[20:21], 2
	s_and_b32 s15, s15, 1
	s_delay_alu instid0(SALU_CYCLE_1)
	v_dual_mov_b32 v1, 0 :: v_dual_mov_b32 v14, s15
	s_add_nc_u64 s[26:27], s[4:5], s[26:27]
	global_atomic_xor_b32 v1, v14, s[26:27] scope:SCOPE_DEV
.LBB205_6:
	s_wait_xcnt 0x0
	s_or_b32 exec_lo, exec_lo, s14
	s_delay_alu instid0(VALU_DEP_3) | instskip(NEXT) | instid1(VALU_DEP_3)
	v_fmac_f64_e32 v[10:11], s[12:13], v[6:7]
	v_fmac_f64_e32 v[12:13], s[12:13], v[8:9]
.LBB205_7:
	s_or_b32 exec_lo, exec_lo, s25
	s_mul_u64 s[12:13], s[18:19], 0x300
	s_wait_kmcnt 0x0
	s_sub_nc_u64 s[8:9], s[8:9], s[22:23]
	s_sub_nc_u64 s[10:11], s[10:11], s[22:23]
	s_add_nc_u64 s[8:9], s[8:9], s[12:13]
	v_mov_b32_e32 v1, 0
	s_add_nc_u64 s[12:13], s[8:9], 0x300
	s_wait_loadcnt_dscnt 0x0
	v_min_i64 v[6:7], s[12:13], s[10:11]
	s_mov_b32 s10, exec_lo
	v_add_nc_u64_e32 v[8:9], s[8:9], v[0:1]
	s_delay_alu instid0(VALU_DEP_1)
	v_cmpx_lt_i64_e64 v[8:9], v[6:7]
	s_cbranch_execz .LBB205_11
; %bb.8:
	v_mul_f64_e32 v[14:15], 0x80000000, v[4:5]
	v_mul_f64_e32 v[16:17], 0, v[2:3]
	s_clause 0x1
	s_load_b128 s[12:15], s[0:1], 0x48
	s_load_b64 s[8:9], s[0:1], 0x58
	v_lshlrev_b64_e32 v[20:21], 3, v[8:9]
	s_wait_xcnt 0x0
	s_mov_b32 s0, 0
	s_wait_kmcnt 0x0
	s_delay_alu instid0(VALU_DEP_1)
	v_add_nc_u64_e32 v[18:19], s[14:15], v[20:21]
	v_add_nc_u64_e32 v[20:21], s[12:13], v[20:21]
.LBB205_9:                              ; =>This Inner Loop Header: Depth=1
	global_load_b64 v[22:23], v[20:21], off
	global_load_b64 v[26:27], v[18:19], off
	v_add_nc_u64_e32 v[8:9], 0x100, v[8:9]
	s_wait_xcnt 0x0
	v_add_nc_u64_e32 v[18:19], 0x800, v[18:19]
	v_add_nc_u64_e32 v[20:21], 0x800, v[20:21]
	s_delay_alu instid0(VALU_DEP_3)
	v_cmp_ge_i64_e32 vcc_lo, v[8:9], v[6:7]
	s_or_b32 s0, vcc_lo, s0
	s_wait_loadcnt 0x1
	v_sub_nc_u64_e64 v[22:23], v[22:23], s[22:23]
	s_wait_loadcnt 0x0
	v_fma_f64 v[28:29], v[2:3], v[26:27], v[14:15]
	v_fma_f64 v[26:27], v[4:5], v[26:27], v[16:17]
	s_delay_alu instid0(VALU_DEP_3) | instskip(SKIP_4) | instid1(VALU_DEP_2)
	v_lshl_add_u64 v[22:23], v[22:23], 4, s[8:9]
	global_load_b128 v[22:25], v[22:23], off
	s_wait_loadcnt 0x0
	v_fmac_f64_e32 v[10:11], v[28:29], v[22:23]
	v_fmac_f64_e32 v[12:13], v[26:27], v[22:23]
	v_fma_f64 v[10:11], -v[26:27], v[24:25], v[10:11]
	s_delay_alu instid0(VALU_DEP_2)
	v_fmac_f64_e32 v[12:13], v[28:29], v[24:25]
	s_wait_xcnt 0x0
	s_and_not1_b32 exec_lo, exec_lo, s0
	s_cbranch_execnz .LBB205_9
; %bb.10:
	s_or_b32 exec_lo, exec_lo, s0
.LBB205_11:
	s_delay_alu instid0(SALU_CYCLE_1)
	s_or_b32 exec_lo, exec_lo, s10
	v_lshlrev_b32_e32 v1, 4, v0
	s_mov_b32 s0, exec_lo
	ds_store_b128 v1, v[10:13]
	s_wait_storecnt_dscnt 0x0
	s_barrier_signal -1
	s_barrier_wait -1
	v_cmpx_gt_u32_e32 0x80, v0
	s_cbranch_execz .LBB205_13
; %bb.12:
	ds_load_b128 v[2:5], v1 offset:2048
	ds_load_b128 v[6:9], v1
	s_wait_dscnt 0x0
	v_add_f64_e32 v[2:3], v[2:3], v[6:7]
	v_add_f64_e32 v[4:5], v[4:5], v[8:9]
	ds_store_b128 v1, v[2:5]
.LBB205_13:
	s_or_b32 exec_lo, exec_lo, s0
	s_delay_alu instid0(SALU_CYCLE_1)
	s_mov_b32 s0, exec_lo
	s_wait_dscnt 0x0
	s_barrier_signal -1
	s_barrier_wait -1
	v_cmpx_gt_u32_e32 64, v0
	s_cbranch_execz .LBB205_15
; %bb.14:
	ds_load_b128 v[2:5], v1 offset:1024
	ds_load_b128 v[6:9], v1
	s_wait_dscnt 0x0
	v_add_f64_e32 v[2:3], v[2:3], v[6:7]
	v_add_f64_e32 v[4:5], v[4:5], v[8:9]
	ds_store_b128 v1, v[2:5]
.LBB205_15:
	s_or_b32 exec_lo, exec_lo, s0
	s_delay_alu instid0(SALU_CYCLE_1)
	s_mov_b32 s0, exec_lo
	s_wait_dscnt 0x0
	;; [unrolled: 16-line block ×6, first 2 shown]
	s_barrier_signal -1
	s_barrier_wait -1
	v_cmpx_gt_u32_e32 2, v0
	s_cbranch_execz .LBB205_25
; %bb.24:
	ds_load_b128 v[2:5], v1
	ds_load_b128 v[6:9], v1 offset:32
	s_wait_dscnt 0x0
	v_add_f64_e32 v[2:3], v[6:7], v[2:3]
	v_add_f64_e32 v[4:5], v[8:9], v[4:5]
	ds_store_b128 v1, v[2:5]
.LBB205_25:
	s_or_b32 exec_lo, exec_lo, s0
	v_cmp_eq_u32_e32 vcc_lo, 0, v0
	s_wait_dscnt 0x0
	s_barrier_signal -1
	s_barrier_wait -1
	s_and_saveexec_b32 s0, vcc_lo
	s_cbranch_execz .LBB205_27
; %bb.26:
	v_mov_b32_e32 v8, 0
	ds_load_b128 v[0:3], v8
	ds_load_b128 v[4:7], v8 offset:16
	s_wait_dscnt 0x0
	v_add_f64_e32 v[0:1], v[4:5], v[0:1]
	v_add_f64_e32 v[2:3], v[6:7], v[2:3]
	ds_store_b128 v8, v[0:3]
.LBB205_27:
	s_or_b32 exec_lo, exec_lo, s0
	s_wait_dscnt 0x0
	s_barrier_signal -1
	s_barrier_wait -1
	s_and_b32 exec_lo, exec_lo, vcc_lo
	s_cbranch_execz .LBB205_38
; %bb.28:
	s_cmp_eq_u32 s18, 0
	s_cbranch_scc1 .LBB205_34
; %bb.29:
	v_mov_b32_e32 v0, 0
	s_lshl_b64 s[0:1], s[20:21], 2
	s_delay_alu instid0(SALU_CYCLE_1)
	s_add_nc_u64 s[0:1], s[4:5], s[0:1]
	s_branch .LBB205_31
.LBB205_30:                             ;   in Loop: Header=BB205_31 Depth=1
	s_wait_xcnt 0x0
	s_or_b32 exec_lo, exec_lo, s4
	s_wait_loadcnt 0x0
	v_readfirstlane_b32 s4, v1
	s_cmp_eq_u32 s4, s24
	s_cbranch_scc0 .LBB205_33
.LBB205_31:                             ; =>This Inner Loop Header: Depth=1
	v_mbcnt_lo_u32_b32 v1, exec_lo, 0
	s_delay_alu instid0(VALU_DEP_1)
	v_cmp_eq_u32_e32 vcc_lo, 0, v1
                                        ; implicit-def: $vgpr1
	s_and_saveexec_b32 s4, vcc_lo
	s_cbranch_execz .LBB205_30
; %bb.32:                               ;   in Loop: Header=BB205_31 Depth=1
	global_load_b32 v1, v0, s[0:1] scope:SCOPE_DEV
	s_branch .LBB205_30
.LBB205_33:
	v_mov_b32_e32 v0, 0
	global_load_u16 v1, v0, s[16:17]
	s_wait_loadcnt 0x0
	v_xor_b32_e32 v1, 1, v1
	global_store_b16 v0, v1, s[16:17]
.LBB205_34:
	v_mov_b32_e32 v4, 0
	s_mov_b32 s4, exec_lo
	s_lshl_b64 s[0:1], s[2:3], 4
	v_mbcnt_lo_u32_b32 v5, s4, 0
	s_add_nc_u64 s[0:1], s[6:7], s[0:1]
	s_wait_xcnt 0x0
	ds_load_b128 v[0:3], v4
	s_mov_b32 s2, exec_lo
	v_cmpx_eq_u32_e32 0, v5
	s_cbranch_execz .LBB205_36
; %bb.35:
	s_bcnt1_i32_b32 s3, s4
	s_delay_alu instid0(SALU_CYCLE_1) | instskip(SKIP_1) | instid1(VALU_DEP_1)
	v_cvt_f64_u32_e32 v[6:7], s3
	s_wait_dscnt 0x0
	v_mul_f64_e32 v[0:1], v[0:1], v[6:7]
	global_atomic_add_f64 v4, v[0:1], s[0:1] scope:SCOPE_DEV
.LBB205_36:
	s_wait_xcnt 0x0
	s_or_b32 exec_lo, exec_lo, s2
	s_delay_alu instid0(SALU_CYCLE_1) | instskip(SKIP_2) | instid1(VALU_DEP_1)
	s_mov_b32 s2, exec_lo
	s_wait_dscnt 0x0
	v_mbcnt_lo_u32_b32 v0, s2, 0
	v_cmp_eq_u32_e32 vcc_lo, 0, v0
	s_and_b32 s3, exec_lo, vcc_lo
	s_delay_alu instid0(SALU_CYCLE_1)
	s_mov_b32 exec_lo, s3
	s_cbranch_execz .LBB205_38
; %bb.37:
	s_bcnt1_i32_b32 s2, s2
	s_delay_alu instid0(SALU_CYCLE_1) | instskip(NEXT) | instid1(VALU_DEP_1)
	v_cvt_f64_u32_e32 v[0:1], s2
	v_dual_mul_f64 v[0:1], v[2:3], v[0:1] :: v_dual_mov_b32 v2, 0
	global_atomic_add_f64 v2, v[0:1], s[0:1] offset:8 scope:SCOPE_DEV
.LBB205_38:
	s_endpgm
	.section	.rodata,"a",@progbits
	.p2align	6, 0x0
	.amdhsa_kernel _ZN9rocsparseL27csrmvn_lrb_long_rows_kernelIlld21rocsparse_complex_numIdES2_S2_EEvbT_PjPT0_S6_jNS_24const_host_device_scalarIT4_EEPKS3_PKS5_PKT1_PKT2_S9_PT3_21rocsparse_index_base_b
		.amdhsa_group_segment_fixed_size 4096
		.amdhsa_private_segment_fixed_size 0
		.amdhsa_kernarg_size 128
		.amdhsa_user_sgpr_count 2
		.amdhsa_user_sgpr_dispatch_ptr 0
		.amdhsa_user_sgpr_queue_ptr 0
		.amdhsa_user_sgpr_kernarg_segment_ptr 1
		.amdhsa_user_sgpr_dispatch_id 0
		.amdhsa_user_sgpr_kernarg_preload_length 0
		.amdhsa_user_sgpr_kernarg_preload_offset 0
		.amdhsa_user_sgpr_private_segment_size 0
		.amdhsa_wavefront_size32 1
		.amdhsa_uses_dynamic_stack 0
		.amdhsa_enable_private_segment 0
		.amdhsa_system_sgpr_workgroup_id_x 1
		.amdhsa_system_sgpr_workgroup_id_y 0
		.amdhsa_system_sgpr_workgroup_id_z 0
		.amdhsa_system_sgpr_workgroup_info 0
		.amdhsa_system_vgpr_workitem_id 0
		.amdhsa_next_free_vgpr 30
		.amdhsa_next_free_sgpr 30
		.amdhsa_named_barrier_count 0
		.amdhsa_reserve_vcc 1
		.amdhsa_float_round_mode_32 0
		.amdhsa_float_round_mode_16_64 0
		.amdhsa_float_denorm_mode_32 3
		.amdhsa_float_denorm_mode_16_64 3
		.amdhsa_fp16_overflow 0
		.amdhsa_memory_ordered 1
		.amdhsa_forward_progress 1
		.amdhsa_inst_pref_size 15
		.amdhsa_round_robin_scheduling 0
		.amdhsa_exception_fp_ieee_invalid_op 0
		.amdhsa_exception_fp_denorm_src 0
		.amdhsa_exception_fp_ieee_div_zero 0
		.amdhsa_exception_fp_ieee_overflow 0
		.amdhsa_exception_fp_ieee_underflow 0
		.amdhsa_exception_fp_ieee_inexact 0
		.amdhsa_exception_int_div_zero 0
	.end_amdhsa_kernel
	.section	.text._ZN9rocsparseL27csrmvn_lrb_long_rows_kernelIlld21rocsparse_complex_numIdES2_S2_EEvbT_PjPT0_S6_jNS_24const_host_device_scalarIT4_EEPKS3_PKS5_PKT1_PKT2_S9_PT3_21rocsparse_index_base_b,"axG",@progbits,_ZN9rocsparseL27csrmvn_lrb_long_rows_kernelIlld21rocsparse_complex_numIdES2_S2_EEvbT_PjPT0_S6_jNS_24const_host_device_scalarIT4_EEPKS3_PKS5_PKT1_PKT2_S9_PT3_21rocsparse_index_base_b,comdat
.Lfunc_end205:
	.size	_ZN9rocsparseL27csrmvn_lrb_long_rows_kernelIlld21rocsparse_complex_numIdES2_S2_EEvbT_PjPT0_S6_jNS_24const_host_device_scalarIT4_EEPKS3_PKS5_PKT1_PKT2_S9_PT3_21rocsparse_index_base_b, .Lfunc_end205-_ZN9rocsparseL27csrmvn_lrb_long_rows_kernelIlld21rocsparse_complex_numIdES2_S2_EEvbT_PjPT0_S6_jNS_24const_host_device_scalarIT4_EEPKS3_PKS5_PKT1_PKT2_S9_PT3_21rocsparse_index_base_b
                                        ; -- End function
	.set _ZN9rocsparseL27csrmvn_lrb_long_rows_kernelIlld21rocsparse_complex_numIdES2_S2_EEvbT_PjPT0_S6_jNS_24const_host_device_scalarIT4_EEPKS3_PKS5_PKT1_PKT2_S9_PT3_21rocsparse_index_base_b.num_vgpr, 30
	.set _ZN9rocsparseL27csrmvn_lrb_long_rows_kernelIlld21rocsparse_complex_numIdES2_S2_EEvbT_PjPT0_S6_jNS_24const_host_device_scalarIT4_EEPKS3_PKS5_PKT1_PKT2_S9_PT3_21rocsparse_index_base_b.num_agpr, 0
	.set _ZN9rocsparseL27csrmvn_lrb_long_rows_kernelIlld21rocsparse_complex_numIdES2_S2_EEvbT_PjPT0_S6_jNS_24const_host_device_scalarIT4_EEPKS3_PKS5_PKT1_PKT2_S9_PT3_21rocsparse_index_base_b.numbered_sgpr, 30
	.set _ZN9rocsparseL27csrmvn_lrb_long_rows_kernelIlld21rocsparse_complex_numIdES2_S2_EEvbT_PjPT0_S6_jNS_24const_host_device_scalarIT4_EEPKS3_PKS5_PKT1_PKT2_S9_PT3_21rocsparse_index_base_b.num_named_barrier, 0
	.set _ZN9rocsparseL27csrmvn_lrb_long_rows_kernelIlld21rocsparse_complex_numIdES2_S2_EEvbT_PjPT0_S6_jNS_24const_host_device_scalarIT4_EEPKS3_PKS5_PKT1_PKT2_S9_PT3_21rocsparse_index_base_b.private_seg_size, 0
	.set _ZN9rocsparseL27csrmvn_lrb_long_rows_kernelIlld21rocsparse_complex_numIdES2_S2_EEvbT_PjPT0_S6_jNS_24const_host_device_scalarIT4_EEPKS3_PKS5_PKT1_PKT2_S9_PT3_21rocsparse_index_base_b.uses_vcc, 1
	.set _ZN9rocsparseL27csrmvn_lrb_long_rows_kernelIlld21rocsparse_complex_numIdES2_S2_EEvbT_PjPT0_S6_jNS_24const_host_device_scalarIT4_EEPKS3_PKS5_PKT1_PKT2_S9_PT3_21rocsparse_index_base_b.uses_flat_scratch, 0
	.set _ZN9rocsparseL27csrmvn_lrb_long_rows_kernelIlld21rocsparse_complex_numIdES2_S2_EEvbT_PjPT0_S6_jNS_24const_host_device_scalarIT4_EEPKS3_PKS5_PKT1_PKT2_S9_PT3_21rocsparse_index_base_b.has_dyn_sized_stack, 0
	.set _ZN9rocsparseL27csrmvn_lrb_long_rows_kernelIlld21rocsparse_complex_numIdES2_S2_EEvbT_PjPT0_S6_jNS_24const_host_device_scalarIT4_EEPKS3_PKS5_PKT1_PKT2_S9_PT3_21rocsparse_index_base_b.has_recursion, 0
	.set _ZN9rocsparseL27csrmvn_lrb_long_rows_kernelIlld21rocsparse_complex_numIdES2_S2_EEvbT_PjPT0_S6_jNS_24const_host_device_scalarIT4_EEPKS3_PKS5_PKT1_PKT2_S9_PT3_21rocsparse_index_base_b.has_indirect_call, 0
	.section	.AMDGPU.csdata,"",@progbits
; Kernel info:
; codeLenInByte = 1856
; TotalNumSgprs: 32
; NumVgprs: 30
; ScratchSize: 0
; MemoryBound: 0
; FloatMode: 240
; IeeeMode: 1
; LDSByteSize: 4096 bytes/workgroup (compile time only)
; SGPRBlocks: 0
; VGPRBlocks: 1
; NumSGPRsForWavesPerEU: 32
; NumVGPRsForWavesPerEU: 30
; NamedBarCnt: 0
; Occupancy: 16
; WaveLimiterHint : 1
; COMPUTE_PGM_RSRC2:SCRATCH_EN: 0
; COMPUTE_PGM_RSRC2:USER_SGPR: 2
; COMPUTE_PGM_RSRC2:TRAP_HANDLER: 0
; COMPUTE_PGM_RSRC2:TGID_X_EN: 1
; COMPUTE_PGM_RSRC2:TGID_Y_EN: 0
; COMPUTE_PGM_RSRC2:TGID_Z_EN: 0
; COMPUTE_PGM_RSRC2:TIDIG_COMP_CNT: 0
	.section	.text._ZN9rocsparseL28csrmvn_lrb_short_rows_kernelIii21rocsparse_complex_numIfES1_IdES3_S3_EEvbT_PT0_S6_jNS_24const_host_device_scalarIT4_EEPKS4_PKS5_PKT1_PKT2_S9_PT3_21rocsparse_index_base_b,"axG",@progbits,_ZN9rocsparseL28csrmvn_lrb_short_rows_kernelIii21rocsparse_complex_numIfES1_IdES3_S3_EEvbT_PT0_S6_jNS_24const_host_device_scalarIT4_EEPKS4_PKS5_PKT1_PKT2_S9_PT3_21rocsparse_index_base_b,comdat
	.globl	_ZN9rocsparseL28csrmvn_lrb_short_rows_kernelIii21rocsparse_complex_numIfES1_IdES3_S3_EEvbT_PT0_S6_jNS_24const_host_device_scalarIT4_EEPKS4_PKS5_PKT1_PKT2_S9_PT3_21rocsparse_index_base_b ; -- Begin function _ZN9rocsparseL28csrmvn_lrb_short_rows_kernelIii21rocsparse_complex_numIfES1_IdES3_S3_EEvbT_PT0_S6_jNS_24const_host_device_scalarIT4_EEPKS4_PKS5_PKT1_PKT2_S9_PT3_21rocsparse_index_base_b
	.p2align	8
	.type	_ZN9rocsparseL28csrmvn_lrb_short_rows_kernelIii21rocsparse_complex_numIfES1_IdES3_S3_EEvbT_PT0_S6_jNS_24const_host_device_scalarIT4_EEPKS4_PKS5_PKT1_PKT2_S9_PT3_21rocsparse_index_base_b,@function
_ZN9rocsparseL28csrmvn_lrb_short_rows_kernelIii21rocsparse_complex_numIfES1_IdES3_S3_EEvbT_PT0_S6_jNS_24const_host_device_scalarIT4_EEPKS4_PKS5_PKT1_PKT2_S9_PT3_21rocsparse_index_base_b: ; @_ZN9rocsparseL28csrmvn_lrb_short_rows_kernelIii21rocsparse_complex_numIfES1_IdES3_S3_EEvbT_PT0_S6_jNS_24const_host_device_scalarIT4_EEPKS4_PKS5_PKT1_PKT2_S9_PT3_21rocsparse_index_base_b
; %bb.0:
	s_clause 0x1
	s_load_b64 s[16:17], s[0:1], 0x68
	s_load_b64 s[2:3], s[0:1], 0x20
	v_mov_b32_e32 v1, 0
	s_add_nc_u64 s[4:5], s[0:1], 32
	s_load_b64 s[6:7], s[0:1], 0x50
	s_wait_kmcnt 0x0
	s_bitcmp1_b32 s17, 0
	s_cselect_b32 s3, s5, s3
	s_cselect_b32 s2, s4, s2
	flat_load_b128 v[6:9], v1, s[2:3]
	s_wait_xcnt 0x0
	s_add_nc_u64 s[2:3], s[0:1], 0x50
	s_delay_alu instid0(SALU_CYCLE_1)
	s_cselect_b32 s3, s3, s7
	s_cselect_b32 s2, s2, s6
	flat_load_b128 v[2:5], v1, s[2:3]
	s_wait_loadcnt_dscnt 0x101
	v_cmp_eq_f64_e32 vcc_lo, 0, v[6:7]
	s_wait_xcnt 0x0
	v_cmp_eq_f64_e64 s2, 0, v[8:9]
	s_and_b32 s4, vcc_lo, s2
	s_mov_b32 s2, -1
	s_and_saveexec_b32 s3, s4
	s_cbranch_execz .LBB206_2
; %bb.1:
	s_wait_loadcnt_dscnt 0x0
	v_cmp_neq_f64_e32 vcc_lo, 1.0, v[2:3]
	v_cmp_neq_f64_e64 s2, 0, v[4:5]
	s_or_b32 s2, vcc_lo, s2
	s_delay_alu instid0(SALU_CYCLE_1)
	s_or_not1_b32 s2, s2, exec_lo
.LBB206_2:
	s_or_b32 exec_lo, exec_lo, s3
	s_and_saveexec_b32 s3, s2
	s_cbranch_execz .LBB206_16
; %bb.3:
	s_clause 0x1
	s_load_b32 s17, s[0:1], 0x18
	s_load_b128 s[12:15], s[0:1], 0x8
	s_and_b32 s5, ttmp6, 15
	s_getreg_b32 s6, hwreg(HW_REG_IB_STS2, 6, 4)
	s_wait_kmcnt 0x0
	s_add_co_i32 s3, s17, 1
	s_clause 0x1
	s_load_b32 s2, s[14:15], s17 offset:0x0 scale_offset
	s_load_b32 s4, s[14:15], s3 offset:0x0 scale_offset
	s_wait_xcnt 0x0
	s_bfe_u32 s3, ttmp6, 0x4000c
	s_mov_b32 s15, 0
	s_add_co_i32 s3, s3, 1
	s_delay_alu instid0(SALU_CYCLE_1) | instskip(NEXT) | instid1(SALU_CYCLE_1)
	s_mul_i32 s3, ttmp9, s3
	s_add_co_i32 s5, s5, s3
	s_wait_kmcnt 0x0
	s_sub_co_i32 s4, s4, s2
	s_cmp_eq_u32 s6, 0
	s_cselect_b32 s3, ttmp9, s5
	s_delay_alu instid0(SALU_CYCLE_1) | instskip(NEXT) | instid1(SALU_CYCLE_1)
	s_lshl_b32 s3, s3, 8
	s_add_co_i32 s5, s3, 0x100
	s_delay_alu instid0(SALU_CYCLE_1)
	s_min_u32 s14, s4, s5
	s_cmp_gt_u32 s17, 23
	s_cbranch_scc1 .LBB206_10
; %bb.4:
	s_clause 0x1
	s_load_b32 s19, s[0:1], 0x0
	s_load_b256 s[4:11], s[0:1], 0x30
	v_bfe_u32 v1, v0, 0, s17
	s_lshl_b32 s18, 0x100, s17
	v_lshl_add_u32 v17, v0, 4, 0
	s_delay_alu instid0(VALU_DEP_2)
	v_subrev_nc_u32_e32 v16, s16, v1
	s_wait_kmcnt 0x0
	s_bitcmp1_b32 s19, 0
	s_cselect_b32 s19, -1, 0
	s_branch .LBB206_7
.LBB206_5:                              ;   in Loop: Header=BB206_7 Depth=1
	s_or_b32 exec_lo, exec_lo, s21
	ds_store_2addr_b64 v17, v[10:11], v[12:13] offset1:1
.LBB206_6:                              ;   in Loop: Header=BB206_7 Depth=1
	s_or_b32 exec_lo, exec_lo, s20
	v_add_nc_u32_e32 v17, 0x1000, v17
	s_addk_co_i32 s15, 0x100
	s_delay_alu instid0(SALU_CYCLE_1)
	s_cmp_ge_u32 s15, s18
	s_cbranch_scc1 .LBB206_10
.LBB206_7:                              ; =>This Inner Loop Header: Depth=1
	v_add_nc_u32_e32 v10, s15, v0
	s_mov_b32 s20, exec_lo
	s_delay_alu instid0(VALU_DEP_1) | instskip(NEXT) | instid1(VALU_DEP_1)
	v_lshrrev_b32_e32 v10, s17, v10
	v_add_nc_u32_e32 v10, s3, v10
	s_delay_alu instid0(VALU_DEP_1)
	v_cmpx_gt_u32_e64 s14, v10
	s_cbranch_execz .LBB206_6
; %bb.8:                                ;   in Loop: Header=BB206_7 Depth=1
	v_add_nc_u32_e32 v10, s2, v10
	v_mov_b64_e32 v[12:13], 0
	s_mov_b32 s21, exec_lo
	global_load_b32 v10, v10, s[12:13] scale_offset
	s_wait_loadcnt 0x0
	v_ashrrev_i32_e32 v11, 31, v10
	s_wait_xcnt 0x0
	s_delay_alu instid0(VALU_DEP_1)
	v_lshl_add_u64 v[10:11], v[10:11], 2, s[4:5]
	global_load_b64 v[14:15], v[10:11], off
	s_wait_xcnt 0x0
	v_mov_b64_e32 v[10:11], 0
	s_wait_loadcnt 0x0
	v_sub_nc_u32_e32 v15, v15, v14
	s_delay_alu instid0(VALU_DEP_1)
	v_cmpx_lt_u32_e64 v1, v15
	s_cbranch_execz .LBB206_5
; %bb.9:                                ;   in Loop: Header=BB206_7 Depth=1
	v_add_nc_u32_e32 v12, v16, v14
	s_clause 0x1
	global_load_b32 v13, v12, s[6:7] scale_offset
	global_load_b64 v[10:11], v12, s[8:9] scale_offset
	s_wait_loadcnt 0x1
	s_wait_xcnt 0x0
	v_subrev_nc_u32_e32 v12, s16, v13
	s_wait_loadcnt 0x0
	v_cndmask_b32_e64 v11, v11, -v11, s19
	global_load_b128 v[18:21], v12, s[10:11] scale_offset
	s_wait_xcnt 0x0
	v_cvt_f64_f32_e32 v[12:13], v11
	v_cvt_f64_f32_e32 v[10:11], v10
	s_delay_alu instid0(VALU_DEP_2) | instskip(SKIP_1) | instid1(VALU_DEP_2)
	v_mul_f64_e32 v[14:15], v[6:7], v[12:13]
	v_mul_f64_e64 v[22:23], -v[8:9], v[12:13]
	v_fmac_f64_e32 v[14:15], v[8:9], v[10:11]
	s_delay_alu instid0(VALU_DEP_2) | instskip(SKIP_1) | instid1(VALU_DEP_2)
	v_fmac_f64_e32 v[22:23], v[6:7], v[10:11]
	s_wait_loadcnt 0x0
	v_mul_f64_e64 v[10:11], v[20:21], -v[14:15]
	s_delay_alu instid0(VALU_DEP_2) | instskip(NEXT) | instid1(VALU_DEP_2)
	v_mul_f64_e32 v[12:13], v[20:21], v[22:23]
	v_fmac_f64_e32 v[10:11], v[22:23], v[18:19]
	s_delay_alu instid0(VALU_DEP_2)
	v_fmac_f64_e32 v[12:13], v[14:15], v[18:19]
	s_branch .LBB206_5
.LBB206_10:
	s_sub_co_i32 s4, s14, s3
	s_wait_loadcnt_dscnt 0x0
	v_cmp_gt_u32_e32 vcc_lo, s4, v0
	s_barrier_signal -1
	s_barrier_wait -1
	s_and_b32 exec_lo, exec_lo, vcc_lo
	s_cbranch_execz .LBB206_16
; %bb.11:
	v_add3_u32 v1, s2, s3, v0
	s_load_b64 s[2:3], s[0:1], 0x60
	v_mov_b64_e32 v[8:9], 0
	v_lshlrev_b32_e32 v0, s17, v0
	s_wait_xcnt 0x0
	s_mov_b32 s0, 1
	global_load_b32 v10, v1, s[12:13] scale_offset
	v_lshl_add_u32 v0, v0, 4, 0
	v_mov_b64_e32 v[6:7], v[8:9]
.LBB206_12:                             ; =>This Inner Loop Header: Depth=1
	ds_load_2addr_b64 v[12:15], v0 offset1:1
	s_lshr_b32 s1, s0, s17
	s_add_co_i32 s0, s0, 1
	s_cmp_lg_u32 s1, 0
	s_wait_dscnt 0x0
	v_dual_add_f64 v[8:9], v[8:9], v[14:15] :: v_dual_add_nc_u32 v0, 16, v0
	v_add_f64_e32 v[6:7], v[6:7], v[12:13]
	s_cbranch_scc0 .LBB206_12
; %bb.13:
	v_cmp_neq_f64_e32 vcc_lo, 0, v[2:3]
	v_cmp_neq_f64_e64 s0, 0, v[4:5]
	s_wait_loadcnt 0x0
	v_ashrrev_i32_e32 v11, 31, v10
	s_wait_kmcnt 0x0
	s_delay_alu instid0(VALU_DEP_1) | instskip(SKIP_1) | instid1(SALU_CYCLE_1)
	v_lshl_add_u64 v[0:1], v[10:11], 4, s[2:3]
	s_or_b32 s1, vcc_lo, s0
	s_and_saveexec_b32 s0, s1
	s_cbranch_execz .LBB206_15
; %bb.14:
	global_load_b128 v[10:13], v[0:1], off
	s_wait_loadcnt 0x0
	v_fmac_f64_e32 v[6:7], v[2:3], v[10:11]
	v_fmac_f64_e32 v[8:9], v[4:5], v[10:11]
	s_delay_alu instid0(VALU_DEP_2) | instskip(NEXT) | instid1(VALU_DEP_2)
	v_fma_f64 v[6:7], -v[4:5], v[12:13], v[6:7]
	v_fmac_f64_e32 v[8:9], v[2:3], v[12:13]
.LBB206_15:
	s_or_b32 exec_lo, exec_lo, s0
	global_store_b128 v[0:1], v[6:9], off
.LBB206_16:
	s_endpgm
	.section	.rodata,"a",@progbits
	.p2align	6, 0x0
	.amdhsa_kernel _ZN9rocsparseL28csrmvn_lrb_short_rows_kernelIii21rocsparse_complex_numIfES1_IdES3_S3_EEvbT_PT0_S6_jNS_24const_host_device_scalarIT4_EEPKS4_PKS5_PKT1_PKT2_S9_PT3_21rocsparse_index_base_b
		.amdhsa_group_segment_fixed_size 0
		.amdhsa_private_segment_fixed_size 0
		.amdhsa_kernarg_size 112
		.amdhsa_user_sgpr_count 2
		.amdhsa_user_sgpr_dispatch_ptr 0
		.amdhsa_user_sgpr_queue_ptr 0
		.amdhsa_user_sgpr_kernarg_segment_ptr 1
		.amdhsa_user_sgpr_dispatch_id 0
		.amdhsa_user_sgpr_kernarg_preload_length 0
		.amdhsa_user_sgpr_kernarg_preload_offset 0
		.amdhsa_user_sgpr_private_segment_size 0
		.amdhsa_wavefront_size32 1
		.amdhsa_uses_dynamic_stack 0
		.amdhsa_enable_private_segment 0
		.amdhsa_system_sgpr_workgroup_id_x 1
		.amdhsa_system_sgpr_workgroup_id_y 0
		.amdhsa_system_sgpr_workgroup_id_z 0
		.amdhsa_system_sgpr_workgroup_info 0
		.amdhsa_system_vgpr_workitem_id 0
		.amdhsa_next_free_vgpr 24
		.amdhsa_next_free_sgpr 22
		.amdhsa_named_barrier_count 0
		.amdhsa_reserve_vcc 1
		.amdhsa_float_round_mode_32 0
		.amdhsa_float_round_mode_16_64 0
		.amdhsa_float_denorm_mode_32 3
		.amdhsa_float_denorm_mode_16_64 3
		.amdhsa_fp16_overflow 0
		.amdhsa_memory_ordered 1
		.amdhsa_forward_progress 1
		.amdhsa_inst_pref_size 8
		.amdhsa_round_robin_scheduling 0
		.amdhsa_exception_fp_ieee_invalid_op 0
		.amdhsa_exception_fp_denorm_src 0
		.amdhsa_exception_fp_ieee_div_zero 0
		.amdhsa_exception_fp_ieee_overflow 0
		.amdhsa_exception_fp_ieee_underflow 0
		.amdhsa_exception_fp_ieee_inexact 0
		.amdhsa_exception_int_div_zero 0
	.end_amdhsa_kernel
	.section	.text._ZN9rocsparseL28csrmvn_lrb_short_rows_kernelIii21rocsparse_complex_numIfES1_IdES3_S3_EEvbT_PT0_S6_jNS_24const_host_device_scalarIT4_EEPKS4_PKS5_PKT1_PKT2_S9_PT3_21rocsparse_index_base_b,"axG",@progbits,_ZN9rocsparseL28csrmvn_lrb_short_rows_kernelIii21rocsparse_complex_numIfES1_IdES3_S3_EEvbT_PT0_S6_jNS_24const_host_device_scalarIT4_EEPKS4_PKS5_PKT1_PKT2_S9_PT3_21rocsparse_index_base_b,comdat
.Lfunc_end206:
	.size	_ZN9rocsparseL28csrmvn_lrb_short_rows_kernelIii21rocsparse_complex_numIfES1_IdES3_S3_EEvbT_PT0_S6_jNS_24const_host_device_scalarIT4_EEPKS4_PKS5_PKT1_PKT2_S9_PT3_21rocsparse_index_base_b, .Lfunc_end206-_ZN9rocsparseL28csrmvn_lrb_short_rows_kernelIii21rocsparse_complex_numIfES1_IdES3_S3_EEvbT_PT0_S6_jNS_24const_host_device_scalarIT4_EEPKS4_PKS5_PKT1_PKT2_S9_PT3_21rocsparse_index_base_b
                                        ; -- End function
	.set _ZN9rocsparseL28csrmvn_lrb_short_rows_kernelIii21rocsparse_complex_numIfES1_IdES3_S3_EEvbT_PT0_S6_jNS_24const_host_device_scalarIT4_EEPKS4_PKS5_PKT1_PKT2_S9_PT3_21rocsparse_index_base_b.num_vgpr, 24
	.set _ZN9rocsparseL28csrmvn_lrb_short_rows_kernelIii21rocsparse_complex_numIfES1_IdES3_S3_EEvbT_PT0_S6_jNS_24const_host_device_scalarIT4_EEPKS4_PKS5_PKT1_PKT2_S9_PT3_21rocsparse_index_base_b.num_agpr, 0
	.set _ZN9rocsparseL28csrmvn_lrb_short_rows_kernelIii21rocsparse_complex_numIfES1_IdES3_S3_EEvbT_PT0_S6_jNS_24const_host_device_scalarIT4_EEPKS4_PKS5_PKT1_PKT2_S9_PT3_21rocsparse_index_base_b.numbered_sgpr, 22
	.set _ZN9rocsparseL28csrmvn_lrb_short_rows_kernelIii21rocsparse_complex_numIfES1_IdES3_S3_EEvbT_PT0_S6_jNS_24const_host_device_scalarIT4_EEPKS4_PKS5_PKT1_PKT2_S9_PT3_21rocsparse_index_base_b.num_named_barrier, 0
	.set _ZN9rocsparseL28csrmvn_lrb_short_rows_kernelIii21rocsparse_complex_numIfES1_IdES3_S3_EEvbT_PT0_S6_jNS_24const_host_device_scalarIT4_EEPKS4_PKS5_PKT1_PKT2_S9_PT3_21rocsparse_index_base_b.private_seg_size, 0
	.set _ZN9rocsparseL28csrmvn_lrb_short_rows_kernelIii21rocsparse_complex_numIfES1_IdES3_S3_EEvbT_PT0_S6_jNS_24const_host_device_scalarIT4_EEPKS4_PKS5_PKT1_PKT2_S9_PT3_21rocsparse_index_base_b.uses_vcc, 1
	.set _ZN9rocsparseL28csrmvn_lrb_short_rows_kernelIii21rocsparse_complex_numIfES1_IdES3_S3_EEvbT_PT0_S6_jNS_24const_host_device_scalarIT4_EEPKS4_PKS5_PKT1_PKT2_S9_PT3_21rocsparse_index_base_b.uses_flat_scratch, 0
	.set _ZN9rocsparseL28csrmvn_lrb_short_rows_kernelIii21rocsparse_complex_numIfES1_IdES3_S3_EEvbT_PT0_S6_jNS_24const_host_device_scalarIT4_EEPKS4_PKS5_PKT1_PKT2_S9_PT3_21rocsparse_index_base_b.has_dyn_sized_stack, 0
	.set _ZN9rocsparseL28csrmvn_lrb_short_rows_kernelIii21rocsparse_complex_numIfES1_IdES3_S3_EEvbT_PT0_S6_jNS_24const_host_device_scalarIT4_EEPKS4_PKS5_PKT1_PKT2_S9_PT3_21rocsparse_index_base_b.has_recursion, 0
	.set _ZN9rocsparseL28csrmvn_lrb_short_rows_kernelIii21rocsparse_complex_numIfES1_IdES3_S3_EEvbT_PT0_S6_jNS_24const_host_device_scalarIT4_EEPKS4_PKS5_PKT1_PKT2_S9_PT3_21rocsparse_index_base_b.has_indirect_call, 0
	.section	.AMDGPU.csdata,"",@progbits
; Kernel info:
; codeLenInByte = 928
; TotalNumSgprs: 24
; NumVgprs: 24
; ScratchSize: 0
; MemoryBound: 0
; FloatMode: 240
; IeeeMode: 1
; LDSByteSize: 0 bytes/workgroup (compile time only)
; SGPRBlocks: 0
; VGPRBlocks: 1
; NumSGPRsForWavesPerEU: 24
; NumVGPRsForWavesPerEU: 24
; NamedBarCnt: 0
; Occupancy: 16
; WaveLimiterHint : 1
; COMPUTE_PGM_RSRC2:SCRATCH_EN: 0
; COMPUTE_PGM_RSRC2:USER_SGPR: 2
; COMPUTE_PGM_RSRC2:TRAP_HANDLER: 0
; COMPUTE_PGM_RSRC2:TGID_X_EN: 1
; COMPUTE_PGM_RSRC2:TGID_Y_EN: 0
; COMPUTE_PGM_RSRC2:TGID_Z_EN: 0
; COMPUTE_PGM_RSRC2:TIDIG_COMP_CNT: 0
	.section	.text._ZN9rocsparseL30csrmvn_lrb_short_rows_2_kernelIii21rocsparse_complex_numIfES1_IdES3_S3_EEvbT_PT0_S6_jNS_24const_host_device_scalarIT4_EEPKS4_PKS5_PKT1_PKT2_S9_PT3_21rocsparse_index_base_b,"axG",@progbits,_ZN9rocsparseL30csrmvn_lrb_short_rows_2_kernelIii21rocsparse_complex_numIfES1_IdES3_S3_EEvbT_PT0_S6_jNS_24const_host_device_scalarIT4_EEPKS4_PKS5_PKT1_PKT2_S9_PT3_21rocsparse_index_base_b,comdat
	.globl	_ZN9rocsparseL30csrmvn_lrb_short_rows_2_kernelIii21rocsparse_complex_numIfES1_IdES3_S3_EEvbT_PT0_S6_jNS_24const_host_device_scalarIT4_EEPKS4_PKS5_PKT1_PKT2_S9_PT3_21rocsparse_index_base_b ; -- Begin function _ZN9rocsparseL30csrmvn_lrb_short_rows_2_kernelIii21rocsparse_complex_numIfES1_IdES3_S3_EEvbT_PT0_S6_jNS_24const_host_device_scalarIT4_EEPKS4_PKS5_PKT1_PKT2_S9_PT3_21rocsparse_index_base_b
	.p2align	8
	.type	_ZN9rocsparseL30csrmvn_lrb_short_rows_2_kernelIii21rocsparse_complex_numIfES1_IdES3_S3_EEvbT_PT0_S6_jNS_24const_host_device_scalarIT4_EEPKS4_PKS5_PKT1_PKT2_S9_PT3_21rocsparse_index_base_b,@function
_ZN9rocsparseL30csrmvn_lrb_short_rows_2_kernelIii21rocsparse_complex_numIfES1_IdES3_S3_EEvbT_PT0_S6_jNS_24const_host_device_scalarIT4_EEPKS4_PKS5_PKT1_PKT2_S9_PT3_21rocsparse_index_base_b: ; @_ZN9rocsparseL30csrmvn_lrb_short_rows_2_kernelIii21rocsparse_complex_numIfES1_IdES3_S3_EEvbT_PT0_S6_jNS_24const_host_device_scalarIT4_EEPKS4_PKS5_PKT1_PKT2_S9_PT3_21rocsparse_index_base_b
; %bb.0:
	s_clause 0x1
	s_load_b64 s[16:17], s[0:1], 0x68
	s_load_b64 s[2:3], s[0:1], 0x20
	v_mov_b32_e32 v1, 0
	s_add_nc_u64 s[4:5], s[0:1], 32
	s_load_b64 s[6:7], s[0:1], 0x50
	s_wait_kmcnt 0x0
	s_bitcmp1_b32 s17, 0
	s_cselect_b32 s3, s5, s3
	s_cselect_b32 s2, s4, s2
	flat_load_b128 v[6:9], v1, s[2:3]
	s_wait_xcnt 0x0
	s_add_nc_u64 s[2:3], s[0:1], 0x50
	s_delay_alu instid0(SALU_CYCLE_1)
	s_cselect_b32 s3, s3, s7
	s_cselect_b32 s2, s2, s6
	flat_load_b128 v[2:5], v1, s[2:3]
	s_wait_loadcnt_dscnt 0x101
	v_cmp_eq_f64_e32 vcc_lo, 0, v[6:7]
	s_wait_xcnt 0x0
	v_cmp_eq_f64_e64 s2, 0, v[8:9]
	s_and_b32 s4, vcc_lo, s2
	s_mov_b32 s2, -1
	s_and_saveexec_b32 s3, s4
	s_cbranch_execz .LBB207_2
; %bb.1:
	s_wait_loadcnt_dscnt 0x0
	v_cmp_neq_f64_e32 vcc_lo, 1.0, v[2:3]
	v_cmp_neq_f64_e64 s2, 0, v[4:5]
	s_or_b32 s2, vcc_lo, s2
	s_delay_alu instid0(SALU_CYCLE_1)
	s_or_not1_b32 s2, s2, exec_lo
.LBB207_2:
	s_or_b32 exec_lo, exec_lo, s3
	s_and_saveexec_b32 s3, s2
	s_cbranch_execz .LBB207_28
; %bb.3:
	s_clause 0x2
	s_load_b32 s17, s[0:1], 0x18
	s_load_b32 s2, s[0:1], 0x0
	s_load_b128 s[12:15], s[0:1], 0x8
	s_wait_kmcnt 0x0
	v_lshrrev_b32_e32 v1, s17, v0
	s_bitcmp1_b32 s2, 0
	v_bfe_u32 v16, v0, 0, s17
	s_cselect_b32 s20, -1, 0
	s_add_co_i32 s2, s17, 1
	s_clause 0x1
	s_load_b32 s18, s[14:15], s17 offset:0x0 scale_offset
	s_load_b32 s3, s[14:15], s2 offset:0x0 scale_offset
	s_load_b256 s[4:11], s[0:1], 0x30
	s_wait_xcnt 0x0
	s_bfe_u32 s15, ttmp6, 0x4000c
	s_and_b32 s19, ttmp6, 15
	s_add_co_i32 s15, s15, 1
	s_getreg_b32 s2, hwreg(HW_REG_IB_STS2, 6, 4)
	s_mul_i32 s15, ttmp9, s15
	s_lshr_b32 s14, 0x400, s17
	s_add_co_i32 s19, s19, s15
	s_wait_kmcnt 0x0
	s_sub_co_i32 s3, s3, s18
	s_cmp_eq_u32 s2, 0
	s_cselect_b32 s2, ttmp9, s19
	s_delay_alu instid0(SALU_CYCLE_1) | instskip(NEXT) | instid1(SALU_CYCLE_1)
	s_mul_i32 s15, s14, s2
	v_add_nc_u32_e32 v10, s15, v1
	v_subrev_nc_u32_e32 v1, s16, v16
	s_add_co_i32 s2, s15, s14
	s_delay_alu instid0(SALU_CYCLE_1)
	s_min_u32 s19, s3, s2
	s_mov_b32 s2, exec_lo
	v_cmpx_gt_u32_e64 s19, v10
	s_cbranch_execz .LBB207_7
; %bb.4:
	v_add_nc_u32_e32 v10, s18, v10
	v_mov_b64_e32 v[12:13], 0
	s_mov_b32 s3, exec_lo
	global_load_b32 v10, v10, s[12:13] scale_offset
	s_wait_loadcnt 0x0
	v_ashrrev_i32_e32 v11, 31, v10
	s_delay_alu instid0(VALU_DEP_1)
	v_lshl_add_u64 v[10:11], v[10:11], 2, s[4:5]
	global_load_b64 v[14:15], v[10:11], off
	s_wait_xcnt 0x0
	v_mov_b64_e32 v[10:11], 0
	s_wait_loadcnt 0x0
	v_sub_nc_u32_e32 v15, v15, v14
	s_delay_alu instid0(VALU_DEP_1)
	v_cmpx_lt_u32_e64 v16, v15
	s_cbranch_execz .LBB207_6
; %bb.5:
	v_add_nc_u32_e32 v12, v14, v1
	s_clause 0x1
	global_load_b32 v13, v12, s[6:7] scale_offset
	global_load_b64 v[10:11], v12, s[8:9] scale_offset
	s_wait_loadcnt 0x1
	s_wait_xcnt 0x0
	v_subrev_nc_u32_e32 v12, s16, v13
	s_wait_loadcnt 0x0
	v_cndmask_b32_e64 v11, v11, -v11, s20
	global_load_b128 v[18:21], v12, s[10:11] scale_offset
	s_wait_xcnt 0x0
	v_cvt_f64_f32_e32 v[12:13], v11
	v_cvt_f64_f32_e32 v[10:11], v10
	s_delay_alu instid0(VALU_DEP_2) | instskip(SKIP_1) | instid1(VALU_DEP_2)
	v_mul_f64_e32 v[14:15], v[6:7], v[12:13]
	v_mul_f64_e64 v[22:23], -v[8:9], v[12:13]
	v_fmac_f64_e32 v[14:15], v[8:9], v[10:11]
	s_delay_alu instid0(VALU_DEP_2) | instskip(SKIP_1) | instid1(VALU_DEP_2)
	v_fmac_f64_e32 v[22:23], v[6:7], v[10:11]
	s_wait_loadcnt 0x0
	v_mul_f64_e64 v[10:11], v[20:21], -v[14:15]
	s_delay_alu instid0(VALU_DEP_2) | instskip(NEXT) | instid1(VALU_DEP_2)
	v_mul_f64_e32 v[12:13], v[20:21], v[22:23]
	v_fmac_f64_e32 v[10:11], v[22:23], v[18:19]
	s_delay_alu instid0(VALU_DEP_2)
	v_fmac_f64_e32 v[12:13], v[14:15], v[18:19]
.LBB207_6:
	s_or_b32 exec_lo, exec_lo, s3
	v_lshlrev_b32_e32 v14, 4, v0
	ds_store_b128 v14, v[10:13]
.LBB207_7:
	s_or_b32 exec_lo, exec_lo, s2
	s_load_b64 s[2:3], s[0:1], 0x60
	v_or_b32_e32 v10, 0x100, v0
	s_wait_xcnt 0x0
	s_mov_b32 s0, exec_lo
	s_delay_alu instid0(VALU_DEP_1) | instskip(NEXT) | instid1(VALU_DEP_1)
	v_lshrrev_b32_e32 v10, s17, v10
	v_add_nc_u32_e32 v10, s15, v10
	s_delay_alu instid0(VALU_DEP_1)
	v_cmpx_gt_u32_e64 s19, v10
	s_cbranch_execz .LBB207_11
; %bb.8:
	v_add_nc_u32_e32 v10, s18, v10
	v_mov_b64_e32 v[12:13], 0
	s_mov_b32 s1, exec_lo
	global_load_b32 v10, v10, s[12:13] scale_offset
	s_wait_loadcnt 0x0
	v_ashrrev_i32_e32 v11, 31, v10
	s_delay_alu instid0(VALU_DEP_1)
	v_lshl_add_u64 v[10:11], v[10:11], 2, s[4:5]
	global_load_b64 v[14:15], v[10:11], off
	s_wait_xcnt 0x0
	v_mov_b64_e32 v[10:11], 0
	s_wait_loadcnt 0x0
	v_sub_nc_u32_e32 v15, v15, v14
	s_delay_alu instid0(VALU_DEP_1)
	v_cmpx_lt_u32_e64 v16, v15
	s_cbranch_execz .LBB207_10
; %bb.9:
	v_add_nc_u32_e32 v12, v14, v1
	s_clause 0x1
	global_load_b32 v13, v12, s[6:7] scale_offset
	global_load_b64 v[10:11], v12, s[8:9] scale_offset
	s_wait_loadcnt 0x1
	s_wait_xcnt 0x0
	v_subrev_nc_u32_e32 v12, s16, v13
	s_wait_loadcnt 0x0
	v_cndmask_b32_e64 v11, v11, -v11, s20
	global_load_b128 v[18:21], v12, s[10:11] scale_offset
	s_wait_xcnt 0x0
	v_cvt_f64_f32_e32 v[12:13], v11
	v_cvt_f64_f32_e32 v[10:11], v10
	s_delay_alu instid0(VALU_DEP_2) | instskip(SKIP_1) | instid1(VALU_DEP_2)
	v_mul_f64_e32 v[14:15], v[6:7], v[12:13]
	v_mul_f64_e64 v[22:23], -v[8:9], v[12:13]
	v_fmac_f64_e32 v[14:15], v[8:9], v[10:11]
	s_delay_alu instid0(VALU_DEP_2) | instskip(SKIP_1) | instid1(VALU_DEP_2)
	v_fmac_f64_e32 v[22:23], v[6:7], v[10:11]
	s_wait_loadcnt 0x0
	v_mul_f64_e64 v[10:11], v[20:21], -v[14:15]
	s_delay_alu instid0(VALU_DEP_2) | instskip(NEXT) | instid1(VALU_DEP_2)
	v_mul_f64_e32 v[12:13], v[20:21], v[22:23]
	v_fmac_f64_e32 v[10:11], v[22:23], v[18:19]
	s_delay_alu instid0(VALU_DEP_2)
	v_fmac_f64_e32 v[12:13], v[14:15], v[18:19]
.LBB207_10:
	s_or_b32 exec_lo, exec_lo, s1
	v_lshlrev_b32_e32 v14, 4, v0
	ds_store_b128 v14, v[10:13] offset:4096
.LBB207_11:
	s_or_b32 exec_lo, exec_lo, s0
	v_or_b32_e32 v10, 0x200, v0
	s_mov_b32 s0, exec_lo
	s_delay_alu instid0(VALU_DEP_1) | instskip(NEXT) | instid1(VALU_DEP_1)
	v_lshrrev_b32_e32 v10, s17, v10
	v_add_nc_u32_e32 v10, s15, v10
	s_delay_alu instid0(VALU_DEP_1)
	v_cmpx_gt_u32_e64 s19, v10
	s_cbranch_execz .LBB207_15
; %bb.12:
	v_add_nc_u32_e32 v10, s18, v10
	v_mov_b64_e32 v[12:13], 0
	s_mov_b32 s1, exec_lo
	global_load_b32 v10, v10, s[12:13] scale_offset
	s_wait_loadcnt 0x0
	v_ashrrev_i32_e32 v11, 31, v10
	s_delay_alu instid0(VALU_DEP_1)
	v_lshl_add_u64 v[10:11], v[10:11], 2, s[4:5]
	global_load_b64 v[14:15], v[10:11], off
	s_wait_xcnt 0x0
	v_mov_b64_e32 v[10:11], 0
	s_wait_loadcnt 0x0
	v_sub_nc_u32_e32 v15, v15, v14
	s_delay_alu instid0(VALU_DEP_1)
	v_cmpx_lt_u32_e64 v16, v15
	s_cbranch_execz .LBB207_14
; %bb.13:
	v_add_nc_u32_e32 v12, v14, v1
	s_clause 0x1
	global_load_b32 v13, v12, s[6:7] scale_offset
	global_load_b64 v[10:11], v12, s[8:9] scale_offset
	s_wait_loadcnt 0x1
	s_wait_xcnt 0x0
	v_subrev_nc_u32_e32 v12, s16, v13
	s_wait_loadcnt 0x0
	v_cndmask_b32_e64 v11, v11, -v11, s20
	global_load_b128 v[18:21], v12, s[10:11] scale_offset
	s_wait_xcnt 0x0
	v_cvt_f64_f32_e32 v[12:13], v11
	v_cvt_f64_f32_e32 v[10:11], v10
	s_delay_alu instid0(VALU_DEP_2) | instskip(SKIP_1) | instid1(VALU_DEP_2)
	v_mul_f64_e32 v[14:15], v[6:7], v[12:13]
	v_mul_f64_e64 v[22:23], -v[8:9], v[12:13]
	v_fmac_f64_e32 v[14:15], v[8:9], v[10:11]
	s_delay_alu instid0(VALU_DEP_2) | instskip(SKIP_1) | instid1(VALU_DEP_2)
	v_fmac_f64_e32 v[22:23], v[6:7], v[10:11]
	s_wait_loadcnt 0x0
	v_mul_f64_e64 v[10:11], v[20:21], -v[14:15]
	s_delay_alu instid0(VALU_DEP_2) | instskip(NEXT) | instid1(VALU_DEP_2)
	v_mul_f64_e32 v[12:13], v[20:21], v[22:23]
	v_fmac_f64_e32 v[10:11], v[22:23], v[18:19]
	s_delay_alu instid0(VALU_DEP_2)
	v_fmac_f64_e32 v[12:13], v[14:15], v[18:19]
.LBB207_14:
	s_or_b32 exec_lo, exec_lo, s1
	v_lshlrev_b32_e32 v14, 4, v0
	ds_store_b128 v14, v[10:13] offset:8192
.LBB207_15:
	s_or_b32 exec_lo, exec_lo, s0
	v_or_b32_e32 v10, 0x300, v0
	s_mov_b32 s0, exec_lo
	s_delay_alu instid0(VALU_DEP_1) | instskip(NEXT) | instid1(VALU_DEP_1)
	v_lshrrev_b32_e32 v10, s17, v10
	v_add_nc_u32_e32 v10, s15, v10
	s_delay_alu instid0(VALU_DEP_1)
	v_cmpx_gt_u32_e64 s19, v10
	s_cbranch_execz .LBB207_19
; %bb.16:
	v_add_nc_u32_e32 v10, s18, v10
	v_mov_b64_e32 v[12:13], 0
	s_mov_b32 s1, exec_lo
	global_load_b32 v10, v10, s[12:13] scale_offset
	s_wait_loadcnt 0x0
	v_ashrrev_i32_e32 v11, 31, v10
	s_delay_alu instid0(VALU_DEP_1)
	v_lshl_add_u64 v[10:11], v[10:11], 2, s[4:5]
	global_load_b64 v[14:15], v[10:11], off
	s_wait_xcnt 0x0
	v_mov_b64_e32 v[10:11], 0
	s_wait_loadcnt 0x0
	v_sub_nc_u32_e32 v15, v15, v14
	s_delay_alu instid0(VALU_DEP_1)
	v_cmpx_lt_u32_e64 v16, v15
	s_cbranch_execz .LBB207_18
; %bb.17:
	v_add_nc_u32_e32 v1, v14, v1
	s_clause 0x1
	global_load_b32 v12, v1, s[6:7] scale_offset
	global_load_b64 v[10:11], v1, s[8:9] scale_offset
	s_wait_loadcnt 0x1
	s_wait_xcnt 0x0
	v_subrev_nc_u32_e32 v1, s16, v12
	global_load_b128 v[14:17], v1, s[10:11] scale_offset
	s_wait_loadcnt 0x1
	s_wait_xcnt 0x0
	v_cndmask_b32_e64 v1, v11, -v11, s20
	v_cvt_f64_f32_e32 v[10:11], v10
	s_delay_alu instid0(VALU_DEP_2) | instskip(NEXT) | instid1(VALU_DEP_1)
	v_cvt_f64_f32_e32 v[12:13], v1
	v_mul_f64_e32 v[18:19], v[6:7], v[12:13]
	v_mul_f64_e64 v[20:21], -v[8:9], v[12:13]
	s_delay_alu instid0(VALU_DEP_2) | instskip(NEXT) | instid1(VALU_DEP_2)
	v_fmac_f64_e32 v[18:19], v[8:9], v[10:11]
	v_fmac_f64_e32 v[20:21], v[6:7], v[10:11]
	s_wait_loadcnt 0x0
	s_delay_alu instid0(VALU_DEP_2) | instskip(NEXT) | instid1(VALU_DEP_2)
	v_mul_f64_e64 v[10:11], v[16:17], -v[18:19]
	v_mul_f64_e32 v[12:13], v[16:17], v[20:21]
	s_delay_alu instid0(VALU_DEP_2) | instskip(NEXT) | instid1(VALU_DEP_2)
	v_fmac_f64_e32 v[10:11], v[20:21], v[14:15]
	v_fmac_f64_e32 v[12:13], v[18:19], v[14:15]
.LBB207_18:
	s_or_b32 exec_lo, exec_lo, s1
	v_lshlrev_b32_e32 v1, 4, v0
	ds_store_b128 v1, v[10:13] offset:12288
.LBB207_19:
	s_or_b32 exec_lo, exec_lo, s0
	s_cmp_lt_u32 s17, 11
	s_wait_loadcnt_dscnt 0x0
	s_barrier_signal -1
	s_barrier_wait -1
	s_cbranch_scc0 .LBB207_28
; %bb.20:
	v_cmp_neq_f64_e32 vcc_lo, 0, v[2:3]
	v_cmp_neq_f64_e64 s0, 0, v[4:5]
	s_sub_co_i32 s1, s19, s15
	s_add_co_i32 s18, s18, s15
	s_mov_b32 s4, 0
	s_or_b32 s0, vcc_lo, s0
	s_branch .LBB207_23
.LBB207_21:                             ;   in Loop: Header=BB207_23 Depth=1
	s_wait_xcnt 0x0
	s_or_b32 exec_lo, exec_lo, s6
	global_store_b128 v[10:11], v[6:9], off
.LBB207_22:                             ;   in Loop: Header=BB207_23 Depth=1
	s_wait_xcnt 0x0
	s_or_b32 exec_lo, exec_lo, s5
	s_addk_co_i32 s4, 0x100
	s_delay_alu instid0(SALU_CYCLE_1)
	s_cmp_lt_u32 s4, s14
	s_cbranch_scc0 .LBB207_28
.LBB207_23:                             ; =>This Loop Header: Depth=1
                                        ;     Child Loop BB207_25 Depth 2
	v_add_nc_u32_e32 v1, s4, v0
	s_mov_b32 s5, exec_lo
	s_delay_alu instid0(VALU_DEP_1)
	v_cmpx_gt_u32_e64 s1, v1
	s_cbranch_execz .LBB207_22
; %bb.24:                               ;   in Loop: Header=BB207_23 Depth=1
	v_dual_add_nc_u32 v6, s18, v1 :: v_dual_lshlrev_b32 v1, s17, v1
	v_mov_b64_e32 v[8:9], 0
	s_mov_b32 s6, 1
	global_load_b32 v10, v6, s[12:13] scale_offset
	v_lshlrev_b32_e32 v1, 4, v1
	s_wait_xcnt 0x0
	v_mov_b64_e32 v[6:7], v[8:9]
.LBB207_25:                             ;   Parent Loop BB207_23 Depth=1
                                        ; =>  This Inner Loop Header: Depth=2
	ds_load_b128 v[12:15], v1
	s_lshr_b32 s7, s6, s17
	s_add_co_i32 s6, s6, 1
	s_cmp_lg_u32 s7, 0
	s_wait_dscnt 0x0
	v_dual_add_f64 v[8:9], v[8:9], v[14:15] :: v_dual_add_nc_u32 v1, 16, v1
	v_add_f64_e32 v[6:7], v[6:7], v[12:13]
	s_cbranch_scc0 .LBB207_25
; %bb.26:                               ;   in Loop: Header=BB207_23 Depth=1
	s_wait_loadcnt 0x0
	v_ashrrev_i32_e32 v11, 31, v10
	s_wait_kmcnt 0x0
	s_delay_alu instid0(VALU_DEP_1)
	v_lshl_add_u64 v[10:11], v[10:11], 4, s[2:3]
	s_and_saveexec_b32 s6, s0
	s_cbranch_execz .LBB207_21
; %bb.27:                               ;   in Loop: Header=BB207_23 Depth=1
	global_load_b128 v[12:15], v[10:11], off
	s_wait_loadcnt 0x0
	v_fmac_f64_e32 v[6:7], v[2:3], v[12:13]
	v_fmac_f64_e32 v[8:9], v[4:5], v[12:13]
	s_delay_alu instid0(VALU_DEP_2) | instskip(NEXT) | instid1(VALU_DEP_2)
	v_fma_f64 v[6:7], -v[4:5], v[14:15], v[6:7]
	v_fmac_f64_e32 v[8:9], v[2:3], v[14:15]
	s_branch .LBB207_21
.LBB207_28:
	s_endpgm
	.section	.rodata,"a",@progbits
	.p2align	6, 0x0
	.amdhsa_kernel _ZN9rocsparseL30csrmvn_lrb_short_rows_2_kernelIii21rocsparse_complex_numIfES1_IdES3_S3_EEvbT_PT0_S6_jNS_24const_host_device_scalarIT4_EEPKS4_PKS5_PKT1_PKT2_S9_PT3_21rocsparse_index_base_b
		.amdhsa_group_segment_fixed_size 16384
		.amdhsa_private_segment_fixed_size 0
		.amdhsa_kernarg_size 112
		.amdhsa_user_sgpr_count 2
		.amdhsa_user_sgpr_dispatch_ptr 0
		.amdhsa_user_sgpr_queue_ptr 0
		.amdhsa_user_sgpr_kernarg_segment_ptr 1
		.amdhsa_user_sgpr_dispatch_id 0
		.amdhsa_user_sgpr_kernarg_preload_length 0
		.amdhsa_user_sgpr_kernarg_preload_offset 0
		.amdhsa_user_sgpr_private_segment_size 0
		.amdhsa_wavefront_size32 1
		.amdhsa_uses_dynamic_stack 0
		.amdhsa_enable_private_segment 0
		.amdhsa_system_sgpr_workgroup_id_x 1
		.amdhsa_system_sgpr_workgroup_id_y 0
		.amdhsa_system_sgpr_workgroup_id_z 0
		.amdhsa_system_sgpr_workgroup_info 0
		.amdhsa_system_vgpr_workitem_id 0
		.amdhsa_next_free_vgpr 24
		.amdhsa_next_free_sgpr 21
		.amdhsa_named_barrier_count 0
		.amdhsa_reserve_vcc 1
		.amdhsa_float_round_mode_32 0
		.amdhsa_float_round_mode_16_64 0
		.amdhsa_float_denorm_mode_32 3
		.amdhsa_float_denorm_mode_16_64 3
		.amdhsa_fp16_overflow 0
		.amdhsa_memory_ordered 1
		.amdhsa_forward_progress 1
		.amdhsa_inst_pref_size 14
		.amdhsa_round_robin_scheduling 0
		.amdhsa_exception_fp_ieee_invalid_op 0
		.amdhsa_exception_fp_denorm_src 0
		.amdhsa_exception_fp_ieee_div_zero 0
		.amdhsa_exception_fp_ieee_overflow 0
		.amdhsa_exception_fp_ieee_underflow 0
		.amdhsa_exception_fp_ieee_inexact 0
		.amdhsa_exception_int_div_zero 0
	.end_amdhsa_kernel
	.section	.text._ZN9rocsparseL30csrmvn_lrb_short_rows_2_kernelIii21rocsparse_complex_numIfES1_IdES3_S3_EEvbT_PT0_S6_jNS_24const_host_device_scalarIT4_EEPKS4_PKS5_PKT1_PKT2_S9_PT3_21rocsparse_index_base_b,"axG",@progbits,_ZN9rocsparseL30csrmvn_lrb_short_rows_2_kernelIii21rocsparse_complex_numIfES1_IdES3_S3_EEvbT_PT0_S6_jNS_24const_host_device_scalarIT4_EEPKS4_PKS5_PKT1_PKT2_S9_PT3_21rocsparse_index_base_b,comdat
.Lfunc_end207:
	.size	_ZN9rocsparseL30csrmvn_lrb_short_rows_2_kernelIii21rocsparse_complex_numIfES1_IdES3_S3_EEvbT_PT0_S6_jNS_24const_host_device_scalarIT4_EEPKS4_PKS5_PKT1_PKT2_S9_PT3_21rocsparse_index_base_b, .Lfunc_end207-_ZN9rocsparseL30csrmvn_lrb_short_rows_2_kernelIii21rocsparse_complex_numIfES1_IdES3_S3_EEvbT_PT0_S6_jNS_24const_host_device_scalarIT4_EEPKS4_PKS5_PKT1_PKT2_S9_PT3_21rocsparse_index_base_b
                                        ; -- End function
	.set _ZN9rocsparseL30csrmvn_lrb_short_rows_2_kernelIii21rocsparse_complex_numIfES1_IdES3_S3_EEvbT_PT0_S6_jNS_24const_host_device_scalarIT4_EEPKS4_PKS5_PKT1_PKT2_S9_PT3_21rocsparse_index_base_b.num_vgpr, 24
	.set _ZN9rocsparseL30csrmvn_lrb_short_rows_2_kernelIii21rocsparse_complex_numIfES1_IdES3_S3_EEvbT_PT0_S6_jNS_24const_host_device_scalarIT4_EEPKS4_PKS5_PKT1_PKT2_S9_PT3_21rocsparse_index_base_b.num_agpr, 0
	.set _ZN9rocsparseL30csrmvn_lrb_short_rows_2_kernelIii21rocsparse_complex_numIfES1_IdES3_S3_EEvbT_PT0_S6_jNS_24const_host_device_scalarIT4_EEPKS4_PKS5_PKT1_PKT2_S9_PT3_21rocsparse_index_base_b.numbered_sgpr, 21
	.set _ZN9rocsparseL30csrmvn_lrb_short_rows_2_kernelIii21rocsparse_complex_numIfES1_IdES3_S3_EEvbT_PT0_S6_jNS_24const_host_device_scalarIT4_EEPKS4_PKS5_PKT1_PKT2_S9_PT3_21rocsparse_index_base_b.num_named_barrier, 0
	.set _ZN9rocsparseL30csrmvn_lrb_short_rows_2_kernelIii21rocsparse_complex_numIfES1_IdES3_S3_EEvbT_PT0_S6_jNS_24const_host_device_scalarIT4_EEPKS4_PKS5_PKT1_PKT2_S9_PT3_21rocsparse_index_base_b.private_seg_size, 0
	.set _ZN9rocsparseL30csrmvn_lrb_short_rows_2_kernelIii21rocsparse_complex_numIfES1_IdES3_S3_EEvbT_PT0_S6_jNS_24const_host_device_scalarIT4_EEPKS4_PKS5_PKT1_PKT2_S9_PT3_21rocsparse_index_base_b.uses_vcc, 1
	.set _ZN9rocsparseL30csrmvn_lrb_short_rows_2_kernelIii21rocsparse_complex_numIfES1_IdES3_S3_EEvbT_PT0_S6_jNS_24const_host_device_scalarIT4_EEPKS4_PKS5_PKT1_PKT2_S9_PT3_21rocsparse_index_base_b.uses_flat_scratch, 0
	.set _ZN9rocsparseL30csrmvn_lrb_short_rows_2_kernelIii21rocsparse_complex_numIfES1_IdES3_S3_EEvbT_PT0_S6_jNS_24const_host_device_scalarIT4_EEPKS4_PKS5_PKT1_PKT2_S9_PT3_21rocsparse_index_base_b.has_dyn_sized_stack, 0
	.set _ZN9rocsparseL30csrmvn_lrb_short_rows_2_kernelIii21rocsparse_complex_numIfES1_IdES3_S3_EEvbT_PT0_S6_jNS_24const_host_device_scalarIT4_EEPKS4_PKS5_PKT1_PKT2_S9_PT3_21rocsparse_index_base_b.has_recursion, 0
	.set _ZN9rocsparseL30csrmvn_lrb_short_rows_2_kernelIii21rocsparse_complex_numIfES1_IdES3_S3_EEvbT_PT0_S6_jNS_24const_host_device_scalarIT4_EEPKS4_PKS5_PKT1_PKT2_S9_PT3_21rocsparse_index_base_b.has_indirect_call, 0
	.section	.AMDGPU.csdata,"",@progbits
; Kernel info:
; codeLenInByte = 1772
; TotalNumSgprs: 23
; NumVgprs: 24
; ScratchSize: 0
; MemoryBound: 0
; FloatMode: 240
; IeeeMode: 1
; LDSByteSize: 16384 bytes/workgroup (compile time only)
; SGPRBlocks: 0
; VGPRBlocks: 1
; NumSGPRsForWavesPerEU: 23
; NumVGPRsForWavesPerEU: 24
; NamedBarCnt: 0
; Occupancy: 16
; WaveLimiterHint : 1
; COMPUTE_PGM_RSRC2:SCRATCH_EN: 0
; COMPUTE_PGM_RSRC2:USER_SGPR: 2
; COMPUTE_PGM_RSRC2:TRAP_HANDLER: 0
; COMPUTE_PGM_RSRC2:TGID_X_EN: 1
; COMPUTE_PGM_RSRC2:TGID_Y_EN: 0
; COMPUTE_PGM_RSRC2:TGID_Z_EN: 0
; COMPUTE_PGM_RSRC2:TIDIG_COMP_CNT: 0
	.section	.text._ZN9rocsparseL41csrmvn_lrb_medium_rows_warp_reduce_kernelILj256ELj32Eii21rocsparse_complex_numIfES1_IdES3_S3_EEvbT1_lPT2_S6_jNS_24const_host_device_scalarIT6_EEPKS4_PKS5_PKT3_PKT4_S9_PT5_21rocsparse_index_base_b,"axG",@progbits,_ZN9rocsparseL41csrmvn_lrb_medium_rows_warp_reduce_kernelILj256ELj32Eii21rocsparse_complex_numIfES1_IdES3_S3_EEvbT1_lPT2_S6_jNS_24const_host_device_scalarIT6_EEPKS4_PKS5_PKT3_PKT4_S9_PT5_21rocsparse_index_base_b,comdat
	.globl	_ZN9rocsparseL41csrmvn_lrb_medium_rows_warp_reduce_kernelILj256ELj32Eii21rocsparse_complex_numIfES1_IdES3_S3_EEvbT1_lPT2_S6_jNS_24const_host_device_scalarIT6_EEPKS4_PKS5_PKT3_PKT4_S9_PT5_21rocsparse_index_base_b ; -- Begin function _ZN9rocsparseL41csrmvn_lrb_medium_rows_warp_reduce_kernelILj256ELj32Eii21rocsparse_complex_numIfES1_IdES3_S3_EEvbT1_lPT2_S6_jNS_24const_host_device_scalarIT6_EEPKS4_PKS5_PKT3_PKT4_S9_PT5_21rocsparse_index_base_b
	.p2align	8
	.type	_ZN9rocsparseL41csrmvn_lrb_medium_rows_warp_reduce_kernelILj256ELj32Eii21rocsparse_complex_numIfES1_IdES3_S3_EEvbT1_lPT2_S6_jNS_24const_host_device_scalarIT6_EEPKS4_PKS5_PKT3_PKT4_S9_PT5_21rocsparse_index_base_b,@function
_ZN9rocsparseL41csrmvn_lrb_medium_rows_warp_reduce_kernelILj256ELj32Eii21rocsparse_complex_numIfES1_IdES3_S3_EEvbT1_lPT2_S6_jNS_24const_host_device_scalarIT6_EEPKS4_PKS5_PKT3_PKT4_S9_PT5_21rocsparse_index_base_b: ; @_ZN9rocsparseL41csrmvn_lrb_medium_rows_warp_reduce_kernelILj256ELj32Eii21rocsparse_complex_numIfES1_IdES3_S3_EEvbT1_lPT2_S6_jNS_24const_host_device_scalarIT6_EEPKS4_PKS5_PKT3_PKT4_S9_PT5_21rocsparse_index_base_b
; %bb.0:
	s_clause 0x1
	s_load_b64 s[8:9], s[0:1], 0x70
	s_load_b64 s[2:3], s[0:1], 0x28
	v_mov_b32_e32 v1, 0
	s_add_nc_u64 s[4:5], s[0:1], 40
	s_load_b64 s[6:7], s[0:1], 0x58
	s_wait_kmcnt 0x0
	s_bitcmp1_b32 s9, 0
	s_cselect_b32 s3, s5, s3
	s_cselect_b32 s2, s4, s2
	flat_load_b128 v[6:9], v1, s[2:3]
	s_wait_xcnt 0x0
	s_add_nc_u64 s[2:3], s[0:1], 0x58
	s_delay_alu instid0(SALU_CYCLE_1)
	s_cselect_b32 s3, s3, s7
	s_cselect_b32 s2, s2, s6
	flat_load_b128 v[2:5], v1, s[2:3]
	s_wait_loadcnt_dscnt 0x101
	v_cmp_eq_f64_e32 vcc_lo, 0, v[6:7]
	s_wait_xcnt 0x0
	v_cmp_eq_f64_e64 s2, 0, v[8:9]
	s_and_b32 s4, vcc_lo, s2
	s_mov_b32 s2, -1
	s_and_saveexec_b32 s3, s4
	s_cbranch_execz .LBB208_2
; %bb.1:
	s_wait_loadcnt_dscnt 0x0
	v_cmp_neq_f64_e32 vcc_lo, 1.0, v[2:3]
	v_cmp_neq_f64_e64 s2, 0, v[4:5]
	s_or_b32 s2, vcc_lo, s2
	s_delay_alu instid0(SALU_CYCLE_1)
	s_or_not1_b32 s2, s2, exec_lo
.LBB208_2:
	s_or_b32 exec_lo, exec_lo, s3
	s_and_saveexec_b32 s3, s2
	s_cbranch_execz .LBB208_12
; %bb.3:
	s_bfe_u32 s4, ttmp6, 0x4000c
	s_load_b64 s[2:3], s[0:1], 0x8
	s_add_co_i32 s4, s4, 1
	s_and_b32 s5, ttmp6, 15
	s_mul_i32 s4, ttmp9, s4
	s_getreg_b32 s6, hwreg(HW_REG_IB_STS2, 6, 4)
	v_lshrrev_b32_e32 v1, 5, v0
	s_add_co_i32 s5, s5, s4
	s_cmp_eq_u32 s6, 0
	s_cselect_b32 s4, ttmp9, s5
	s_delay_alu instid0(VALU_DEP_1) | instid1(SALU_CYCLE_1)
	v_lshl_or_b32 v10, s4, 3, v1
	s_delay_alu instid0(VALU_DEP_1) | instskip(SKIP_1) | instid1(VALU_DEP_1)
	v_ashrrev_i32_e32 v11, 31, v10
	s_wait_kmcnt 0x0
	v_cmp_gt_i64_e32 vcc_lo, s[2:3], v[10:11]
	s_and_b32 exec_lo, exec_lo, vcc_lo
	s_cbranch_execz .LBB208_12
; %bb.4:
	s_clause 0x1
	s_load_b128 s[4:7], s[0:1], 0x10
	s_load_b32 s2, s[0:1], 0x20
	s_mov_b32 s9, exec_lo
	s_wait_kmcnt 0x0
	s_load_b32 s2, s[6:7], s2 offset:0x0 scale_offset
	s_wait_kmcnt 0x0
	v_add_nc_u32_e32 v1, s2, v10
	s_load_b64 s[2:3], s[0:1], 0x38
	global_load_b32 v10, v1, s[4:5] scale_offset
	s_wait_loadcnt 0x0
	v_ashrrev_i32_e32 v11, 31, v10
	s_wait_kmcnt 0x0
	s_delay_alu instid0(VALU_DEP_1) | instskip(SKIP_2) | instid1(VALU_DEP_1)
	v_lshl_add_u64 v[12:13], v[10:11], 2, s[2:3]
	global_load_b64 v[12:13], v[12:13], off
	v_and_b32_e32 v14, 31, v0
	v_subrev_nc_u32_e32 v0, s8, v14
	s_wait_loadcnt 0x0
	v_subrev_nc_u32_e32 v15, s8, v13
	s_delay_alu instid0(VALU_DEP_2) | instskip(SKIP_2) | instid1(VALU_DEP_3)
	v_add_nc_u32_e32 v16, v12, v0
	v_mov_b64_e32 v[0:1], 0
	v_mov_b64_e32 v[12:13], 0
	v_cmpx_lt_i32_e64 v16, v15
	s_cbranch_execz .LBB208_8
; %bb.5:
	s_clause 0x2
	s_load_b32 s10, s[0:1], 0x0
	s_load_b128 s[4:7], s[0:1], 0x40
	s_load_b64 s[2:3], s[0:1], 0x50
	v_mov_b64_e32 v[0:1], 0
	v_mov_b64_e32 v[12:13], 0
	s_wait_kmcnt 0x0
	s_bitcmp1_b32 s10, 0
	s_mov_b32 s10, 0
	s_cselect_b32 s11, -1, 0
.LBB208_6:                              ; =>This Inner Loop Header: Depth=1
	s_clause 0x1
	global_load_b32 v17, v16, s[4:5] scale_offset
	global_load_b64 v[22:23], v16, s[6:7] scale_offset
	s_wait_xcnt 0x0
	v_add_nc_u32_e32 v16, 32, v16
	s_delay_alu instid0(VALU_DEP_1)
	v_cmp_ge_i32_e32 vcc_lo, v16, v15
	s_or_b32 s10, vcc_lo, s10
	s_wait_loadcnt 0x1
	v_subrev_nc_u32_e32 v17, s8, v17
	global_load_b128 v[18:21], v17, s[2:3] scale_offset
	s_wait_loadcnt 0x1
	s_wait_xcnt 0x0
	v_cndmask_b32_e64 v17, v23, -v23, s11
	v_cvt_f64_f32_e32 v[22:23], v22
	s_delay_alu instid0(VALU_DEP_2) | instskip(NEXT) | instid1(VALU_DEP_1)
	v_cvt_f64_f32_e32 v[24:25], v17
	v_mul_f64_e64 v[26:27], -v[8:9], v[24:25]
	v_mul_f64_e32 v[24:25], v[6:7], v[24:25]
	s_delay_alu instid0(VALU_DEP_2) | instskip(NEXT) | instid1(VALU_DEP_2)
	v_fmac_f64_e32 v[26:27], v[6:7], v[22:23]
	v_fmac_f64_e32 v[24:25], v[8:9], v[22:23]
	s_wait_loadcnt 0x0
	s_delay_alu instid0(VALU_DEP_2) | instskip(NEXT) | instid1(VALU_DEP_2)
	v_fmac_f64_e32 v[12:13], v[26:27], v[18:19]
	v_fmac_f64_e32 v[0:1], v[24:25], v[18:19]
	s_delay_alu instid0(VALU_DEP_2) | instskip(NEXT) | instid1(VALU_DEP_2)
	v_fma_f64 v[12:13], -v[24:25], v[20:21], v[12:13]
	v_fmac_f64_e32 v[0:1], v[26:27], v[20:21]
	s_and_not1_b32 exec_lo, exec_lo, s10
	s_cbranch_execnz .LBB208_6
; %bb.7:
	s_or_b32 exec_lo, exec_lo, s10
.LBB208_8:
	s_delay_alu instid0(SALU_CYCLE_1) | instskip(SKIP_2) | instid1(VALU_DEP_1)
	s_or_b32 exec_lo, exec_lo, s9
	v_mbcnt_lo_u32_b32 v15, -1, 0
	s_load_b64 s[2:3], s[0:1], 0x68
	v_xor_b32_e32 v6, 16, v15
	s_delay_alu instid0(VALU_DEP_1) | instskip(SKIP_1) | instid1(VALU_DEP_1)
	v_cmp_gt_i32_e32 vcc_lo, 32, v6
	v_cndmask_b32_e32 v6, v15, v6, vcc_lo
	v_lshlrev_b32_e32 v9, 2, v6
	ds_bpermute_b32 v6, v9, v12
	ds_bpermute_b32 v7, v9, v13
	;; [unrolled: 1-line block ×4, first 2 shown]
	s_wait_dscnt 0x0
	v_dual_add_f64 v[0:1], v[0:1], v[8:9] :: v_dual_bitop2_b32 v8, 8, v15 bitop3:0x14
	s_delay_alu instid0(VALU_DEP_1) | instskip(SKIP_1) | instid1(VALU_DEP_1)
	v_cmp_gt_i32_e32 vcc_lo, 32, v8
	v_dual_add_f64 v[6:7], v[12:13], v[6:7] :: v_dual_cndmask_b32 v8, v15, v8, vcc_lo
	v_lshlrev_b32_e32 v13, 2, v8
	ds_bpermute_b32 v12, v13, v0
	ds_bpermute_b32 v8, v13, v6
	;; [unrolled: 1-line block ×4, first 2 shown]
	s_wait_dscnt 0x1
	v_dual_add_f64 v[6:7], v[6:7], v[8:9] :: v_dual_bitop2_b32 v8, 4, v15 bitop3:0x14
	s_wait_dscnt 0x0
	v_add_f64_e32 v[0:1], v[0:1], v[12:13]
	s_delay_alu instid0(VALU_DEP_2) | instskip(SKIP_1) | instid1(VALU_DEP_1)
	v_cmp_gt_i32_e32 vcc_lo, 32, v8
	v_cndmask_b32_e32 v8, v15, v8, vcc_lo
	v_lshlrev_b32_e32 v13, 2, v8
	ds_bpermute_b32 v8, v13, v6
	ds_bpermute_b32 v9, v13, v7
	;; [unrolled: 1-line block ×4, first 2 shown]
	s_wait_dscnt 0x2
	v_add_f64_e32 v[6:7], v[6:7], v[8:9]
	s_wait_dscnt 0x0
	v_dual_add_f64 v[8:9], v[0:1], v[12:13] :: v_dual_bitop2_b32 v0, 2, v15 bitop3:0x14
	s_delay_alu instid0(VALU_DEP_1) | instskip(SKIP_1) | instid1(VALU_DEP_1)
	v_cmp_gt_i32_e32 vcc_lo, 32, v0
	v_cndmask_b32_e32 v0, v15, v0, vcc_lo
	v_lshlrev_b32_e32 v13, 2, v0
	ds_bpermute_b32 v0, v13, v6
	ds_bpermute_b32 v1, v13, v7
	;; [unrolled: 1-line block ×4, first 2 shown]
	s_wait_dscnt 0x2
	v_dual_add_f64 v[0:1], v[6:7], v[0:1] :: v_dual_bitop2_b32 v6, 1, v15 bitop3:0x14
	s_wait_dscnt 0x0
	v_add_f64_e32 v[8:9], v[8:9], v[12:13]
	s_delay_alu instid0(VALU_DEP_2) | instskip(SKIP_2) | instid1(VALU_DEP_2)
	v_cmp_gt_i32_e32 vcc_lo, 32, v6
	v_cndmask_b32_e32 v6, v15, v6, vcc_lo
	v_cmp_eq_u32_e32 vcc_lo, 31, v14
	v_lshlrev_b32_e32 v13, 2, v6
	ds_bpermute_b32 v6, v13, v0
	ds_bpermute_b32 v7, v13, v1
	;; [unrolled: 1-line block ×4, first 2 shown]
	s_and_b32 exec_lo, exec_lo, vcc_lo
	s_cbranch_execz .LBB208_12
; %bb.9:
	v_cmp_neq_f64_e32 vcc_lo, 0, v[2:3]
	s_wait_xcnt 0x0
	v_cmp_neq_f64_e64 s0, 0, v[4:5]
	s_wait_dscnt 0x2
	v_add_f64_e32 v[6:7], v[0:1], v[6:7]
	s_wait_dscnt 0x0
	v_add_f64_e32 v[8:9], v[8:9], v[12:13]
	s_wait_kmcnt 0x0
	v_lshl_add_u64 v[0:1], v[10:11], 4, s[2:3]
	s_or_b32 s1, vcc_lo, s0
	s_delay_alu instid0(SALU_CYCLE_1)
	s_and_saveexec_b32 s0, s1
	s_cbranch_execz .LBB208_11
; %bb.10:
	global_load_b128 v[10:13], v[0:1], off
	s_wait_loadcnt 0x0
	v_fmac_f64_e32 v[6:7], v[2:3], v[10:11]
	v_fmac_f64_e32 v[8:9], v[4:5], v[10:11]
	s_delay_alu instid0(VALU_DEP_2) | instskip(NEXT) | instid1(VALU_DEP_2)
	v_fma_f64 v[6:7], -v[4:5], v[12:13], v[6:7]
	v_fmac_f64_e32 v[8:9], v[2:3], v[12:13]
.LBB208_11:
	s_or_b32 exec_lo, exec_lo, s0
	global_store_b128 v[0:1], v[6:9], off
.LBB208_12:
	s_endpgm
	.section	.rodata,"a",@progbits
	.p2align	6, 0x0
	.amdhsa_kernel _ZN9rocsparseL41csrmvn_lrb_medium_rows_warp_reduce_kernelILj256ELj32Eii21rocsparse_complex_numIfES1_IdES3_S3_EEvbT1_lPT2_S6_jNS_24const_host_device_scalarIT6_EEPKS4_PKS5_PKT3_PKT4_S9_PT5_21rocsparse_index_base_b
		.amdhsa_group_segment_fixed_size 0
		.amdhsa_private_segment_fixed_size 0
		.amdhsa_kernarg_size 120
		.amdhsa_user_sgpr_count 2
		.amdhsa_user_sgpr_dispatch_ptr 0
		.amdhsa_user_sgpr_queue_ptr 0
		.amdhsa_user_sgpr_kernarg_segment_ptr 1
		.amdhsa_user_sgpr_dispatch_id 0
		.amdhsa_user_sgpr_kernarg_preload_length 0
		.amdhsa_user_sgpr_kernarg_preload_offset 0
		.amdhsa_user_sgpr_private_segment_size 0
		.amdhsa_wavefront_size32 1
		.amdhsa_uses_dynamic_stack 0
		.amdhsa_enable_private_segment 0
		.amdhsa_system_sgpr_workgroup_id_x 1
		.amdhsa_system_sgpr_workgroup_id_y 0
		.amdhsa_system_sgpr_workgroup_id_z 0
		.amdhsa_system_sgpr_workgroup_info 0
		.amdhsa_system_vgpr_workitem_id 0
		.amdhsa_next_free_vgpr 28
		.amdhsa_next_free_sgpr 12
		.amdhsa_named_barrier_count 0
		.amdhsa_reserve_vcc 1
		.amdhsa_float_round_mode_32 0
		.amdhsa_float_round_mode_16_64 0
		.amdhsa_float_denorm_mode_32 3
		.amdhsa_float_denorm_mode_16_64 3
		.amdhsa_fp16_overflow 0
		.amdhsa_memory_ordered 1
		.amdhsa_forward_progress 1
		.amdhsa_inst_pref_size 9
		.amdhsa_round_robin_scheduling 0
		.amdhsa_exception_fp_ieee_invalid_op 0
		.amdhsa_exception_fp_denorm_src 0
		.amdhsa_exception_fp_ieee_div_zero 0
		.amdhsa_exception_fp_ieee_overflow 0
		.amdhsa_exception_fp_ieee_underflow 0
		.amdhsa_exception_fp_ieee_inexact 0
		.amdhsa_exception_int_div_zero 0
	.end_amdhsa_kernel
	.section	.text._ZN9rocsparseL41csrmvn_lrb_medium_rows_warp_reduce_kernelILj256ELj32Eii21rocsparse_complex_numIfES1_IdES3_S3_EEvbT1_lPT2_S6_jNS_24const_host_device_scalarIT6_EEPKS4_PKS5_PKT3_PKT4_S9_PT5_21rocsparse_index_base_b,"axG",@progbits,_ZN9rocsparseL41csrmvn_lrb_medium_rows_warp_reduce_kernelILj256ELj32Eii21rocsparse_complex_numIfES1_IdES3_S3_EEvbT1_lPT2_S6_jNS_24const_host_device_scalarIT6_EEPKS4_PKS5_PKT3_PKT4_S9_PT5_21rocsparse_index_base_b,comdat
.Lfunc_end208:
	.size	_ZN9rocsparseL41csrmvn_lrb_medium_rows_warp_reduce_kernelILj256ELj32Eii21rocsparse_complex_numIfES1_IdES3_S3_EEvbT1_lPT2_S6_jNS_24const_host_device_scalarIT6_EEPKS4_PKS5_PKT3_PKT4_S9_PT5_21rocsparse_index_base_b, .Lfunc_end208-_ZN9rocsparseL41csrmvn_lrb_medium_rows_warp_reduce_kernelILj256ELj32Eii21rocsparse_complex_numIfES1_IdES3_S3_EEvbT1_lPT2_S6_jNS_24const_host_device_scalarIT6_EEPKS4_PKS5_PKT3_PKT4_S9_PT5_21rocsparse_index_base_b
                                        ; -- End function
	.set _ZN9rocsparseL41csrmvn_lrb_medium_rows_warp_reduce_kernelILj256ELj32Eii21rocsparse_complex_numIfES1_IdES3_S3_EEvbT1_lPT2_S6_jNS_24const_host_device_scalarIT6_EEPKS4_PKS5_PKT3_PKT4_S9_PT5_21rocsparse_index_base_b.num_vgpr, 28
	.set _ZN9rocsparseL41csrmvn_lrb_medium_rows_warp_reduce_kernelILj256ELj32Eii21rocsparse_complex_numIfES1_IdES3_S3_EEvbT1_lPT2_S6_jNS_24const_host_device_scalarIT6_EEPKS4_PKS5_PKT3_PKT4_S9_PT5_21rocsparse_index_base_b.num_agpr, 0
	.set _ZN9rocsparseL41csrmvn_lrb_medium_rows_warp_reduce_kernelILj256ELj32Eii21rocsparse_complex_numIfES1_IdES3_S3_EEvbT1_lPT2_S6_jNS_24const_host_device_scalarIT6_EEPKS4_PKS5_PKT3_PKT4_S9_PT5_21rocsparse_index_base_b.numbered_sgpr, 12
	.set _ZN9rocsparseL41csrmvn_lrb_medium_rows_warp_reduce_kernelILj256ELj32Eii21rocsparse_complex_numIfES1_IdES3_S3_EEvbT1_lPT2_S6_jNS_24const_host_device_scalarIT6_EEPKS4_PKS5_PKT3_PKT4_S9_PT5_21rocsparse_index_base_b.num_named_barrier, 0
	.set _ZN9rocsparseL41csrmvn_lrb_medium_rows_warp_reduce_kernelILj256ELj32Eii21rocsparse_complex_numIfES1_IdES3_S3_EEvbT1_lPT2_S6_jNS_24const_host_device_scalarIT6_EEPKS4_PKS5_PKT3_PKT4_S9_PT5_21rocsparse_index_base_b.private_seg_size, 0
	.set _ZN9rocsparseL41csrmvn_lrb_medium_rows_warp_reduce_kernelILj256ELj32Eii21rocsparse_complex_numIfES1_IdES3_S3_EEvbT1_lPT2_S6_jNS_24const_host_device_scalarIT6_EEPKS4_PKS5_PKT3_PKT4_S9_PT5_21rocsparse_index_base_b.uses_vcc, 1
	.set _ZN9rocsparseL41csrmvn_lrb_medium_rows_warp_reduce_kernelILj256ELj32Eii21rocsparse_complex_numIfES1_IdES3_S3_EEvbT1_lPT2_S6_jNS_24const_host_device_scalarIT6_EEPKS4_PKS5_PKT3_PKT4_S9_PT5_21rocsparse_index_base_b.uses_flat_scratch, 0
	.set _ZN9rocsparseL41csrmvn_lrb_medium_rows_warp_reduce_kernelILj256ELj32Eii21rocsparse_complex_numIfES1_IdES3_S3_EEvbT1_lPT2_S6_jNS_24const_host_device_scalarIT6_EEPKS4_PKS5_PKT3_PKT4_S9_PT5_21rocsparse_index_base_b.has_dyn_sized_stack, 0
	.set _ZN9rocsparseL41csrmvn_lrb_medium_rows_warp_reduce_kernelILj256ELj32Eii21rocsparse_complex_numIfES1_IdES3_S3_EEvbT1_lPT2_S6_jNS_24const_host_device_scalarIT6_EEPKS4_PKS5_PKT3_PKT4_S9_PT5_21rocsparse_index_base_b.has_recursion, 0
	.set _ZN9rocsparseL41csrmvn_lrb_medium_rows_warp_reduce_kernelILj256ELj32Eii21rocsparse_complex_numIfES1_IdES3_S3_EEvbT1_lPT2_S6_jNS_24const_host_device_scalarIT6_EEPKS4_PKS5_PKT3_PKT4_S9_PT5_21rocsparse_index_base_b.has_indirect_call, 0
	.section	.AMDGPU.csdata,"",@progbits
; Kernel info:
; codeLenInByte = 1116
; TotalNumSgprs: 14
; NumVgprs: 28
; ScratchSize: 0
; MemoryBound: 0
; FloatMode: 240
; IeeeMode: 1
; LDSByteSize: 0 bytes/workgroup (compile time only)
; SGPRBlocks: 0
; VGPRBlocks: 1
; NumSGPRsForWavesPerEU: 14
; NumVGPRsForWavesPerEU: 28
; NamedBarCnt: 0
; Occupancy: 16
; WaveLimiterHint : 1
; COMPUTE_PGM_RSRC2:SCRATCH_EN: 0
; COMPUTE_PGM_RSRC2:USER_SGPR: 2
; COMPUTE_PGM_RSRC2:TRAP_HANDLER: 0
; COMPUTE_PGM_RSRC2:TGID_X_EN: 1
; COMPUTE_PGM_RSRC2:TGID_Y_EN: 0
; COMPUTE_PGM_RSRC2:TGID_Z_EN: 0
; COMPUTE_PGM_RSRC2:TIDIG_COMP_CNT: 0
	.section	.text._ZN9rocsparseL41csrmvn_lrb_medium_rows_warp_reduce_kernelILj256ELj64Eii21rocsparse_complex_numIfES1_IdES3_S3_EEvbT1_lPT2_S6_jNS_24const_host_device_scalarIT6_EEPKS4_PKS5_PKT3_PKT4_S9_PT5_21rocsparse_index_base_b,"axG",@progbits,_ZN9rocsparseL41csrmvn_lrb_medium_rows_warp_reduce_kernelILj256ELj64Eii21rocsparse_complex_numIfES1_IdES3_S3_EEvbT1_lPT2_S6_jNS_24const_host_device_scalarIT6_EEPKS4_PKS5_PKT3_PKT4_S9_PT5_21rocsparse_index_base_b,comdat
	.globl	_ZN9rocsparseL41csrmvn_lrb_medium_rows_warp_reduce_kernelILj256ELj64Eii21rocsparse_complex_numIfES1_IdES3_S3_EEvbT1_lPT2_S6_jNS_24const_host_device_scalarIT6_EEPKS4_PKS5_PKT3_PKT4_S9_PT5_21rocsparse_index_base_b ; -- Begin function _ZN9rocsparseL41csrmvn_lrb_medium_rows_warp_reduce_kernelILj256ELj64Eii21rocsparse_complex_numIfES1_IdES3_S3_EEvbT1_lPT2_S6_jNS_24const_host_device_scalarIT6_EEPKS4_PKS5_PKT3_PKT4_S9_PT5_21rocsparse_index_base_b
	.p2align	8
	.type	_ZN9rocsparseL41csrmvn_lrb_medium_rows_warp_reduce_kernelILj256ELj64Eii21rocsparse_complex_numIfES1_IdES3_S3_EEvbT1_lPT2_S6_jNS_24const_host_device_scalarIT6_EEPKS4_PKS5_PKT3_PKT4_S9_PT5_21rocsparse_index_base_b,@function
_ZN9rocsparseL41csrmvn_lrb_medium_rows_warp_reduce_kernelILj256ELj64Eii21rocsparse_complex_numIfES1_IdES3_S3_EEvbT1_lPT2_S6_jNS_24const_host_device_scalarIT6_EEPKS4_PKS5_PKT3_PKT4_S9_PT5_21rocsparse_index_base_b: ; @_ZN9rocsparseL41csrmvn_lrb_medium_rows_warp_reduce_kernelILj256ELj64Eii21rocsparse_complex_numIfES1_IdES3_S3_EEvbT1_lPT2_S6_jNS_24const_host_device_scalarIT6_EEPKS4_PKS5_PKT3_PKT4_S9_PT5_21rocsparse_index_base_b
; %bb.0:
	s_clause 0x1
	s_load_b64 s[8:9], s[0:1], 0x70
	s_load_b64 s[2:3], s[0:1], 0x28
	v_mov_b32_e32 v1, 0
	s_add_nc_u64 s[4:5], s[0:1], 40
	s_load_b64 s[6:7], s[0:1], 0x58
	s_wait_kmcnt 0x0
	s_bitcmp1_b32 s9, 0
	s_cselect_b32 s3, s5, s3
	s_cselect_b32 s2, s4, s2
	flat_load_b128 v[6:9], v1, s[2:3]
	s_wait_xcnt 0x0
	s_add_nc_u64 s[2:3], s[0:1], 0x58
	s_delay_alu instid0(SALU_CYCLE_1)
	s_cselect_b32 s3, s3, s7
	s_cselect_b32 s2, s2, s6
	flat_load_b128 v[2:5], v1, s[2:3]
	s_wait_loadcnt_dscnt 0x101
	v_cmp_eq_f64_e32 vcc_lo, 0, v[6:7]
	s_wait_xcnt 0x0
	v_cmp_eq_f64_e64 s2, 0, v[8:9]
	s_and_b32 s4, vcc_lo, s2
	s_mov_b32 s2, -1
	s_and_saveexec_b32 s3, s4
	s_cbranch_execz .LBB209_2
; %bb.1:
	s_wait_loadcnt_dscnt 0x0
	v_cmp_neq_f64_e32 vcc_lo, 1.0, v[2:3]
	v_cmp_neq_f64_e64 s2, 0, v[4:5]
	s_or_b32 s2, vcc_lo, s2
	s_delay_alu instid0(SALU_CYCLE_1)
	s_or_not1_b32 s2, s2, exec_lo
.LBB209_2:
	s_or_b32 exec_lo, exec_lo, s3
	s_and_saveexec_b32 s3, s2
	s_cbranch_execz .LBB209_12
; %bb.3:
	s_bfe_u32 s4, ttmp6, 0x4000c
	s_load_b64 s[2:3], s[0:1], 0x8
	s_add_co_i32 s4, s4, 1
	s_and_b32 s5, ttmp6, 15
	s_mul_i32 s4, ttmp9, s4
	s_getreg_b32 s6, hwreg(HW_REG_IB_STS2, 6, 4)
	v_lshrrev_b32_e32 v1, 6, v0
	s_add_co_i32 s5, s5, s4
	s_cmp_eq_u32 s6, 0
	s_cselect_b32 s4, ttmp9, s5
	s_delay_alu instid0(VALU_DEP_1) | instid1(SALU_CYCLE_1)
	v_lshl_or_b32 v10, s4, 2, v1
	s_delay_alu instid0(VALU_DEP_1) | instskip(SKIP_1) | instid1(VALU_DEP_1)
	v_ashrrev_i32_e32 v11, 31, v10
	s_wait_kmcnt 0x0
	v_cmp_gt_i64_e32 vcc_lo, s[2:3], v[10:11]
	s_and_b32 exec_lo, exec_lo, vcc_lo
	s_cbranch_execz .LBB209_12
; %bb.4:
	s_clause 0x1
	s_load_b128 s[4:7], s[0:1], 0x10
	s_load_b32 s2, s[0:1], 0x20
	s_mov_b32 s9, exec_lo
	s_wait_kmcnt 0x0
	s_load_b32 s2, s[6:7], s2 offset:0x0 scale_offset
	s_wait_kmcnt 0x0
	v_add_nc_u32_e32 v1, s2, v10
	s_load_b64 s[2:3], s[0:1], 0x38
	global_load_b32 v10, v1, s[4:5] scale_offset
	s_wait_loadcnt 0x0
	v_ashrrev_i32_e32 v11, 31, v10
	s_wait_kmcnt 0x0
	s_delay_alu instid0(VALU_DEP_1) | instskip(SKIP_2) | instid1(VALU_DEP_1)
	v_lshl_add_u64 v[12:13], v[10:11], 2, s[2:3]
	global_load_b64 v[12:13], v[12:13], off
	v_and_b32_e32 v14, 63, v0
	v_subrev_nc_u32_e32 v0, s8, v14
	s_wait_loadcnt 0x0
	v_subrev_nc_u32_e32 v15, s8, v13
	s_delay_alu instid0(VALU_DEP_2) | instskip(SKIP_2) | instid1(VALU_DEP_3)
	v_add_nc_u32_e32 v16, v12, v0
	v_mov_b64_e32 v[0:1], 0
	v_mov_b64_e32 v[12:13], 0
	v_cmpx_lt_i32_e64 v16, v15
	s_cbranch_execz .LBB209_8
; %bb.5:
	s_clause 0x2
	s_load_b32 s10, s[0:1], 0x0
	s_load_b128 s[4:7], s[0:1], 0x40
	s_load_b64 s[2:3], s[0:1], 0x50
	v_mov_b64_e32 v[0:1], 0
	v_mov_b64_e32 v[12:13], 0
	s_wait_kmcnt 0x0
	s_bitcmp1_b32 s10, 0
	s_mov_b32 s10, 0
	s_cselect_b32 s11, -1, 0
.LBB209_6:                              ; =>This Inner Loop Header: Depth=1
	s_clause 0x1
	global_load_b32 v17, v16, s[4:5] scale_offset
	global_load_b64 v[22:23], v16, s[6:7] scale_offset
	s_wait_xcnt 0x0
	v_add_nc_u32_e32 v16, 64, v16
	s_delay_alu instid0(VALU_DEP_1)
	v_cmp_ge_i32_e32 vcc_lo, v16, v15
	s_or_b32 s10, vcc_lo, s10
	s_wait_loadcnt 0x1
	v_subrev_nc_u32_e32 v17, s8, v17
	global_load_b128 v[18:21], v17, s[2:3] scale_offset
	s_wait_loadcnt 0x1
	s_wait_xcnt 0x0
	v_cndmask_b32_e64 v17, v23, -v23, s11
	v_cvt_f64_f32_e32 v[22:23], v22
	s_delay_alu instid0(VALU_DEP_2) | instskip(NEXT) | instid1(VALU_DEP_1)
	v_cvt_f64_f32_e32 v[24:25], v17
	v_mul_f64_e64 v[26:27], -v[8:9], v[24:25]
	v_mul_f64_e32 v[24:25], v[6:7], v[24:25]
	s_delay_alu instid0(VALU_DEP_2) | instskip(NEXT) | instid1(VALU_DEP_2)
	v_fmac_f64_e32 v[26:27], v[6:7], v[22:23]
	v_fmac_f64_e32 v[24:25], v[8:9], v[22:23]
	s_wait_loadcnt 0x0
	s_delay_alu instid0(VALU_DEP_2) | instskip(NEXT) | instid1(VALU_DEP_2)
	v_fmac_f64_e32 v[12:13], v[26:27], v[18:19]
	v_fmac_f64_e32 v[0:1], v[24:25], v[18:19]
	s_delay_alu instid0(VALU_DEP_2) | instskip(NEXT) | instid1(VALU_DEP_2)
	v_fma_f64 v[12:13], -v[24:25], v[20:21], v[12:13]
	v_fmac_f64_e32 v[0:1], v[26:27], v[20:21]
	s_and_not1_b32 exec_lo, exec_lo, s10
	s_cbranch_execnz .LBB209_6
; %bb.7:
	s_or_b32 exec_lo, exec_lo, s10
.LBB209_8:
	s_delay_alu instid0(SALU_CYCLE_1) | instskip(SKIP_2) | instid1(VALU_DEP_1)
	s_or_b32 exec_lo, exec_lo, s9
	v_mbcnt_lo_u32_b32 v15, -1, 0
	s_load_b64 s[2:3], s[0:1], 0x68
	v_or_b32_e32 v6, 32, v15
	s_delay_alu instid0(VALU_DEP_1) | instskip(SKIP_1) | instid1(VALU_DEP_1)
	v_cmp_gt_i32_e32 vcc_lo, 32, v6
	v_cndmask_b32_e32 v6, v15, v6, vcc_lo
	v_lshlrev_b32_e32 v9, 2, v6
	ds_bpermute_b32 v6, v9, v12
	ds_bpermute_b32 v7, v9, v13
	;; [unrolled: 1-line block ×4, first 2 shown]
	s_wait_dscnt 0x0
	v_dual_add_f64 v[0:1], v[0:1], v[8:9] :: v_dual_bitop2_b32 v8, 16, v15 bitop3:0x14
	s_delay_alu instid0(VALU_DEP_1) | instskip(SKIP_1) | instid1(VALU_DEP_1)
	v_cmp_gt_i32_e32 vcc_lo, 32, v8
	v_dual_add_f64 v[6:7], v[12:13], v[6:7] :: v_dual_cndmask_b32 v8, v15, v8, vcc_lo
	v_lshlrev_b32_e32 v13, 2, v8
	ds_bpermute_b32 v12, v13, v0
	ds_bpermute_b32 v8, v13, v6
	ds_bpermute_b32 v9, v13, v7
	ds_bpermute_b32 v13, v13, v1
	s_wait_dscnt 0x1
	v_dual_add_f64 v[6:7], v[6:7], v[8:9] :: v_dual_bitop2_b32 v8, 8, v15 bitop3:0x14
	s_wait_dscnt 0x0
	v_add_f64_e32 v[0:1], v[0:1], v[12:13]
	s_delay_alu instid0(VALU_DEP_2) | instskip(SKIP_1) | instid1(VALU_DEP_1)
	v_cmp_gt_i32_e32 vcc_lo, 32, v8
	v_cndmask_b32_e32 v8, v15, v8, vcc_lo
	v_lshlrev_b32_e32 v13, 2, v8
	ds_bpermute_b32 v8, v13, v6
	ds_bpermute_b32 v9, v13, v7
	s_wait_dscnt 0x0
	v_dual_add_f64 v[6:7], v[6:7], v[8:9] :: v_dual_bitop2_b32 v8, 4, v15 bitop3:0x14
	s_delay_alu instid0(VALU_DEP_1)
	v_cmp_gt_i32_e32 vcc_lo, 32, v8
	v_cndmask_b32_e32 v8, v15, v8, vcc_lo
	ds_bpermute_b32 v12, v13, v0
	ds_bpermute_b32 v13, v13, v1
	s_wait_dscnt 0x0
	v_add_f64_e32 v[0:1], v[0:1], v[12:13]
	v_lshlrev_b32_e32 v13, 2, v8
	ds_bpermute_b32 v8, v13, v6
	ds_bpermute_b32 v9, v13, v7
	s_wait_dscnt 0x0
	v_add_f64_e32 v[6:7], v[6:7], v[8:9]
	ds_bpermute_b32 v12, v13, v0
	ds_bpermute_b32 v13, v13, v1
	s_wait_dscnt 0x0
	v_dual_add_f64 v[8:9], v[0:1], v[12:13] :: v_dual_bitop2_b32 v0, 2, v15 bitop3:0x14
	s_delay_alu instid0(VALU_DEP_1) | instskip(SKIP_1) | instid1(VALU_DEP_1)
	v_cmp_gt_i32_e32 vcc_lo, 32, v0
	v_cndmask_b32_e32 v0, v15, v0, vcc_lo
	v_lshlrev_b32_e32 v13, 2, v0
	ds_bpermute_b32 v0, v13, v6
	ds_bpermute_b32 v1, v13, v7
	;; [unrolled: 1-line block ×4, first 2 shown]
	s_wait_dscnt 0x2
	v_dual_add_f64 v[0:1], v[6:7], v[0:1] :: v_dual_bitop2_b32 v6, 1, v15 bitop3:0x14
	s_delay_alu instid0(VALU_DEP_1) | instskip(SKIP_3) | instid1(VALU_DEP_2)
	v_cmp_gt_i32_e32 vcc_lo, 32, v6
	s_wait_dscnt 0x0
	v_dual_add_f64 v[8:9], v[8:9], v[12:13] :: v_dual_cndmask_b32 v6, v15, v6, vcc_lo
	v_cmp_eq_u32_e32 vcc_lo, 63, v14
	v_lshlrev_b32_e32 v13, 2, v6
	ds_bpermute_b32 v6, v13, v0
	ds_bpermute_b32 v7, v13, v1
	;; [unrolled: 1-line block ×4, first 2 shown]
	s_and_b32 exec_lo, exec_lo, vcc_lo
	s_cbranch_execz .LBB209_12
; %bb.9:
	v_cmp_neq_f64_e32 vcc_lo, 0, v[2:3]
	s_wait_xcnt 0x0
	v_cmp_neq_f64_e64 s0, 0, v[4:5]
	s_wait_dscnt 0x2
	v_add_f64_e32 v[6:7], v[0:1], v[6:7]
	s_wait_dscnt 0x0
	v_add_f64_e32 v[8:9], v[8:9], v[12:13]
	s_wait_kmcnt 0x0
	v_lshl_add_u64 v[0:1], v[10:11], 4, s[2:3]
	s_or_b32 s1, vcc_lo, s0
	s_delay_alu instid0(SALU_CYCLE_1)
	s_and_saveexec_b32 s0, s1
	s_cbranch_execz .LBB209_11
; %bb.10:
	global_load_b128 v[10:13], v[0:1], off
	s_wait_loadcnt 0x0
	v_fmac_f64_e32 v[6:7], v[2:3], v[10:11]
	v_fmac_f64_e32 v[8:9], v[4:5], v[10:11]
	s_delay_alu instid0(VALU_DEP_2) | instskip(NEXT) | instid1(VALU_DEP_2)
	v_fma_f64 v[6:7], -v[4:5], v[12:13], v[6:7]
	v_fmac_f64_e32 v[8:9], v[2:3], v[12:13]
.LBB209_11:
	s_or_b32 exec_lo, exec_lo, s0
	global_store_b128 v[0:1], v[6:9], off
.LBB209_12:
	s_endpgm
	.section	.rodata,"a",@progbits
	.p2align	6, 0x0
	.amdhsa_kernel _ZN9rocsparseL41csrmvn_lrb_medium_rows_warp_reduce_kernelILj256ELj64Eii21rocsparse_complex_numIfES1_IdES3_S3_EEvbT1_lPT2_S6_jNS_24const_host_device_scalarIT6_EEPKS4_PKS5_PKT3_PKT4_S9_PT5_21rocsparse_index_base_b
		.amdhsa_group_segment_fixed_size 0
		.amdhsa_private_segment_fixed_size 0
		.amdhsa_kernarg_size 120
		.amdhsa_user_sgpr_count 2
		.amdhsa_user_sgpr_dispatch_ptr 0
		.amdhsa_user_sgpr_queue_ptr 0
		.amdhsa_user_sgpr_kernarg_segment_ptr 1
		.amdhsa_user_sgpr_dispatch_id 0
		.amdhsa_user_sgpr_kernarg_preload_length 0
		.amdhsa_user_sgpr_kernarg_preload_offset 0
		.amdhsa_user_sgpr_private_segment_size 0
		.amdhsa_wavefront_size32 1
		.amdhsa_uses_dynamic_stack 0
		.amdhsa_enable_private_segment 0
		.amdhsa_system_sgpr_workgroup_id_x 1
		.amdhsa_system_sgpr_workgroup_id_y 0
		.amdhsa_system_sgpr_workgroup_id_z 0
		.amdhsa_system_sgpr_workgroup_info 0
		.amdhsa_system_vgpr_workitem_id 0
		.amdhsa_next_free_vgpr 28
		.amdhsa_next_free_sgpr 12
		.amdhsa_named_barrier_count 0
		.amdhsa_reserve_vcc 1
		.amdhsa_float_round_mode_32 0
		.amdhsa_float_round_mode_16_64 0
		.amdhsa_float_denorm_mode_32 3
		.amdhsa_float_denorm_mode_16_64 3
		.amdhsa_fp16_overflow 0
		.amdhsa_memory_ordered 1
		.amdhsa_forward_progress 1
		.amdhsa_inst_pref_size 10
		.amdhsa_round_robin_scheduling 0
		.amdhsa_exception_fp_ieee_invalid_op 0
		.amdhsa_exception_fp_denorm_src 0
		.amdhsa_exception_fp_ieee_div_zero 0
		.amdhsa_exception_fp_ieee_overflow 0
		.amdhsa_exception_fp_ieee_underflow 0
		.amdhsa_exception_fp_ieee_inexact 0
		.amdhsa_exception_int_div_zero 0
	.end_amdhsa_kernel
	.section	.text._ZN9rocsparseL41csrmvn_lrb_medium_rows_warp_reduce_kernelILj256ELj64Eii21rocsparse_complex_numIfES1_IdES3_S3_EEvbT1_lPT2_S6_jNS_24const_host_device_scalarIT6_EEPKS4_PKS5_PKT3_PKT4_S9_PT5_21rocsparse_index_base_b,"axG",@progbits,_ZN9rocsparseL41csrmvn_lrb_medium_rows_warp_reduce_kernelILj256ELj64Eii21rocsparse_complex_numIfES1_IdES3_S3_EEvbT1_lPT2_S6_jNS_24const_host_device_scalarIT6_EEPKS4_PKS5_PKT3_PKT4_S9_PT5_21rocsparse_index_base_b,comdat
.Lfunc_end209:
	.size	_ZN9rocsparseL41csrmvn_lrb_medium_rows_warp_reduce_kernelILj256ELj64Eii21rocsparse_complex_numIfES1_IdES3_S3_EEvbT1_lPT2_S6_jNS_24const_host_device_scalarIT6_EEPKS4_PKS5_PKT3_PKT4_S9_PT5_21rocsparse_index_base_b, .Lfunc_end209-_ZN9rocsparseL41csrmvn_lrb_medium_rows_warp_reduce_kernelILj256ELj64Eii21rocsparse_complex_numIfES1_IdES3_S3_EEvbT1_lPT2_S6_jNS_24const_host_device_scalarIT6_EEPKS4_PKS5_PKT3_PKT4_S9_PT5_21rocsparse_index_base_b
                                        ; -- End function
	.set _ZN9rocsparseL41csrmvn_lrb_medium_rows_warp_reduce_kernelILj256ELj64Eii21rocsparse_complex_numIfES1_IdES3_S3_EEvbT1_lPT2_S6_jNS_24const_host_device_scalarIT6_EEPKS4_PKS5_PKT3_PKT4_S9_PT5_21rocsparse_index_base_b.num_vgpr, 28
	.set _ZN9rocsparseL41csrmvn_lrb_medium_rows_warp_reduce_kernelILj256ELj64Eii21rocsparse_complex_numIfES1_IdES3_S3_EEvbT1_lPT2_S6_jNS_24const_host_device_scalarIT6_EEPKS4_PKS5_PKT3_PKT4_S9_PT5_21rocsparse_index_base_b.num_agpr, 0
	.set _ZN9rocsparseL41csrmvn_lrb_medium_rows_warp_reduce_kernelILj256ELj64Eii21rocsparse_complex_numIfES1_IdES3_S3_EEvbT1_lPT2_S6_jNS_24const_host_device_scalarIT6_EEPKS4_PKS5_PKT3_PKT4_S9_PT5_21rocsparse_index_base_b.numbered_sgpr, 12
	.set _ZN9rocsparseL41csrmvn_lrb_medium_rows_warp_reduce_kernelILj256ELj64Eii21rocsparse_complex_numIfES1_IdES3_S3_EEvbT1_lPT2_S6_jNS_24const_host_device_scalarIT6_EEPKS4_PKS5_PKT3_PKT4_S9_PT5_21rocsparse_index_base_b.num_named_barrier, 0
	.set _ZN9rocsparseL41csrmvn_lrb_medium_rows_warp_reduce_kernelILj256ELj64Eii21rocsparse_complex_numIfES1_IdES3_S3_EEvbT1_lPT2_S6_jNS_24const_host_device_scalarIT6_EEPKS4_PKS5_PKT3_PKT4_S9_PT5_21rocsparse_index_base_b.private_seg_size, 0
	.set _ZN9rocsparseL41csrmvn_lrb_medium_rows_warp_reduce_kernelILj256ELj64Eii21rocsparse_complex_numIfES1_IdES3_S3_EEvbT1_lPT2_S6_jNS_24const_host_device_scalarIT6_EEPKS4_PKS5_PKT3_PKT4_S9_PT5_21rocsparse_index_base_b.uses_vcc, 1
	.set _ZN9rocsparseL41csrmvn_lrb_medium_rows_warp_reduce_kernelILj256ELj64Eii21rocsparse_complex_numIfES1_IdES3_S3_EEvbT1_lPT2_S6_jNS_24const_host_device_scalarIT6_EEPKS4_PKS5_PKT3_PKT4_S9_PT5_21rocsparse_index_base_b.uses_flat_scratch, 0
	.set _ZN9rocsparseL41csrmvn_lrb_medium_rows_warp_reduce_kernelILj256ELj64Eii21rocsparse_complex_numIfES1_IdES3_S3_EEvbT1_lPT2_S6_jNS_24const_host_device_scalarIT6_EEPKS4_PKS5_PKT3_PKT4_S9_PT5_21rocsparse_index_base_b.has_dyn_sized_stack, 0
	.set _ZN9rocsparseL41csrmvn_lrb_medium_rows_warp_reduce_kernelILj256ELj64Eii21rocsparse_complex_numIfES1_IdES3_S3_EEvbT1_lPT2_S6_jNS_24const_host_device_scalarIT6_EEPKS4_PKS5_PKT3_PKT4_S9_PT5_21rocsparse_index_base_b.has_recursion, 0
	.set _ZN9rocsparseL41csrmvn_lrb_medium_rows_warp_reduce_kernelILj256ELj64Eii21rocsparse_complex_numIfES1_IdES3_S3_EEvbT1_lPT2_S6_jNS_24const_host_device_scalarIT6_EEPKS4_PKS5_PKT3_PKT4_S9_PT5_21rocsparse_index_base_b.has_indirect_call, 0
	.section	.AMDGPU.csdata,"",@progbits
; Kernel info:
; codeLenInByte = 1192
; TotalNumSgprs: 14
; NumVgprs: 28
; ScratchSize: 0
; MemoryBound: 0
; FloatMode: 240
; IeeeMode: 1
; LDSByteSize: 0 bytes/workgroup (compile time only)
; SGPRBlocks: 0
; VGPRBlocks: 1
; NumSGPRsForWavesPerEU: 14
; NumVGPRsForWavesPerEU: 28
; NamedBarCnt: 0
; Occupancy: 16
; WaveLimiterHint : 1
; COMPUTE_PGM_RSRC2:SCRATCH_EN: 0
; COMPUTE_PGM_RSRC2:USER_SGPR: 2
; COMPUTE_PGM_RSRC2:TRAP_HANDLER: 0
; COMPUTE_PGM_RSRC2:TGID_X_EN: 1
; COMPUTE_PGM_RSRC2:TGID_Y_EN: 0
; COMPUTE_PGM_RSRC2:TGID_Z_EN: 0
; COMPUTE_PGM_RSRC2:TIDIG_COMP_CNT: 0
	.section	.text._ZN9rocsparseL29csrmvn_lrb_medium_rows_kernelILj256Eii21rocsparse_complex_numIfES1_IdES3_S3_EEvbT0_PT1_S6_jNS_24const_host_device_scalarIT5_EEPKS4_PKS5_PKT2_PKT3_S9_PT4_21rocsparse_index_base_b,"axG",@progbits,_ZN9rocsparseL29csrmvn_lrb_medium_rows_kernelILj256Eii21rocsparse_complex_numIfES1_IdES3_S3_EEvbT0_PT1_S6_jNS_24const_host_device_scalarIT5_EEPKS4_PKS5_PKT2_PKT3_S9_PT4_21rocsparse_index_base_b,comdat
	.globl	_ZN9rocsparseL29csrmvn_lrb_medium_rows_kernelILj256Eii21rocsparse_complex_numIfES1_IdES3_S3_EEvbT0_PT1_S6_jNS_24const_host_device_scalarIT5_EEPKS4_PKS5_PKT2_PKT3_S9_PT4_21rocsparse_index_base_b ; -- Begin function _ZN9rocsparseL29csrmvn_lrb_medium_rows_kernelILj256Eii21rocsparse_complex_numIfES1_IdES3_S3_EEvbT0_PT1_S6_jNS_24const_host_device_scalarIT5_EEPKS4_PKS5_PKT2_PKT3_S9_PT4_21rocsparse_index_base_b
	.p2align	8
	.type	_ZN9rocsparseL29csrmvn_lrb_medium_rows_kernelILj256Eii21rocsparse_complex_numIfES1_IdES3_S3_EEvbT0_PT1_S6_jNS_24const_host_device_scalarIT5_EEPKS4_PKS5_PKT2_PKT3_S9_PT4_21rocsparse_index_base_b,@function
_ZN9rocsparseL29csrmvn_lrb_medium_rows_kernelILj256Eii21rocsparse_complex_numIfES1_IdES3_S3_EEvbT0_PT1_S6_jNS_24const_host_device_scalarIT5_EEPKS4_PKS5_PKT2_PKT3_S9_PT4_21rocsparse_index_base_b: ; @_ZN9rocsparseL29csrmvn_lrb_medium_rows_kernelILj256Eii21rocsparse_complex_numIfES1_IdES3_S3_EEvbT0_PT1_S6_jNS_24const_host_device_scalarIT5_EEPKS4_PKS5_PKT2_PKT3_S9_PT4_21rocsparse_index_base_b
; %bb.0:
	s_clause 0x1
	s_load_b64 s[8:9], s[0:1], 0x68
	s_load_b64 s[2:3], s[0:1], 0x20
	v_mov_b32_e32 v1, 0
	s_add_nc_u64 s[4:5], s[0:1], 32
	s_load_b64 s[6:7], s[0:1], 0x50
	s_wait_kmcnt 0x0
	s_bitcmp1_b32 s9, 0
	s_cselect_b32 s3, s5, s3
	s_cselect_b32 s2, s4, s2
	flat_load_b128 v[6:9], v1, s[2:3]
	s_wait_xcnt 0x0
	s_add_nc_u64 s[2:3], s[0:1], 0x50
	s_delay_alu instid0(SALU_CYCLE_1)
	s_cselect_b32 s3, s3, s7
	s_cselect_b32 s2, s2, s6
	flat_load_b128 v[2:5], v1, s[2:3]
	s_wait_loadcnt_dscnt 0x101
	v_cmp_eq_f64_e32 vcc_lo, 0, v[6:7]
	s_wait_xcnt 0x0
	v_cmp_eq_f64_e64 s2, 0, v[8:9]
	s_and_b32 s4, vcc_lo, s2
	s_mov_b32 s2, -1
	s_and_saveexec_b32 s3, s4
	s_cbranch_execz .LBB210_2
; %bb.1:
	s_wait_loadcnt_dscnt 0x0
	v_cmp_neq_f64_e32 vcc_lo, 1.0, v[2:3]
	v_cmp_neq_f64_e64 s2, 0, v[4:5]
	s_or_b32 s2, vcc_lo, s2
	s_delay_alu instid0(SALU_CYCLE_1)
	s_or_not1_b32 s2, s2, exec_lo
.LBB210_2:
	s_or_b32 exec_lo, exec_lo, s3
	s_and_saveexec_b32 s3, s2
	s_cbranch_execz .LBB210_27
; %bb.3:
	s_clause 0x1
	s_load_b128 s[4:7], s[0:1], 0x8
	s_load_b32 s2, s[0:1], 0x18
	s_bfe_u32 s3, ttmp6, 0x4000c
	v_subrev_nc_u32_e32 v1, s8, v0
	s_add_co_i32 s3, s3, 1
	v_mov_b64_e32 v[12:13], 0
	s_mul_i32 s3, ttmp9, s3
	v_mov_b64_e32 v[10:11], 0
	s_mov_b32 s13, 0
	s_mov_b32 s12, exec_lo
	s_wait_kmcnt 0x0
	s_load_b32 s2, s[6:7], s2 offset:0x0 scale_offset
	s_wait_xcnt 0x0
	s_and_b32 s6, ttmp6, 15
	s_getreg_b32 s7, hwreg(HW_REG_IB_STS2, 6, 4)
	s_add_co_i32 s6, s6, s3
	s_cmp_eq_u32 s7, 0
	s_cselect_b32 s3, ttmp9, s6
	s_wait_kmcnt 0x0
	s_add_co_i32 s2, s2, s3
	s_delay_alu instid0(SALU_CYCLE_1) | instskip(NEXT) | instid1(SALU_CYCLE_1)
	s_ashr_i32 s3, s2, 31
	s_lshl_b64 s[2:3], s[2:3], 2
	s_delay_alu instid0(SALU_CYCLE_1) | instskip(SKIP_4) | instid1(SALU_CYCLE_1)
	s_add_nc_u64 s[4:5], s[4:5], s[2:3]
	s_load_b32 s2, s[4:5], 0x0
	s_load_b64 s[6:7], s[0:1], 0x30
	s_wait_kmcnt 0x0
	s_ashr_i32 s3, s2, 31
	s_lshl_b64 s[4:5], s[2:3], 2
	s_delay_alu instid0(SALU_CYCLE_1)
	s_add_nc_u64 s[4:5], s[6:7], s[4:5]
	s_load_b64 s[6:7], s[4:5], 0x0
	s_wait_kmcnt 0x0
	v_add_nc_u32_e32 v1, s6, v1
	s_sub_co_i32 s9, s7, s8
	s_delay_alu instid0(VALU_DEP_1) | instid1(SALU_CYCLE_1)
	v_cmpx_gt_i32_e64 s9, v1
	s_cbranch_execz .LBB210_7
; %bb.4:
	s_clause 0x2
	s_load_b32 s14, s[0:1], 0x0
	s_load_b128 s[4:7], s[0:1], 0x38
	s_load_b64 s[10:11], s[0:1], 0x48
	v_mov_b64_e32 v[12:13], 0
	s_delay_alu instid0(VALU_DEP_1)
	v_mov_b64_e32 v[10:11], v[12:13]
	s_wait_kmcnt 0x0
	s_bitcmp1_b32 s14, 0
	s_cselect_b32 s14, -1, 0
.LBB210_5:                              ; =>This Inner Loop Header: Depth=1
	s_clause 0x1
	global_load_b32 v14, v1, s[4:5] scale_offset
	global_load_b64 v[18:19], v1, s[6:7] scale_offset
	s_wait_xcnt 0x0
	v_add_nc_u32_e32 v1, 0x100, v1
	s_delay_alu instid0(VALU_DEP_1)
	v_cmp_le_i32_e32 vcc_lo, s9, v1
	s_or_b32 s13, vcc_lo, s13
	s_wait_loadcnt 0x1
	v_subrev_nc_u32_e32 v14, s8, v14
	s_wait_loadcnt 0x0
	v_cndmask_b32_e64 v19, v19, -v19, s14
	global_load_b128 v[14:17], v14, s[10:11] scale_offset
	v_cvt_f64_f32_e32 v[20:21], v19
	v_cvt_f64_f32_e32 v[18:19], v18
	s_delay_alu instid0(VALU_DEP_2) | instskip(SKIP_1) | instid1(VALU_DEP_2)
	v_mul_f64_e64 v[22:23], -v[8:9], v[20:21]
	v_mul_f64_e32 v[20:21], v[6:7], v[20:21]
	v_fmac_f64_e32 v[22:23], v[6:7], v[18:19]
	s_delay_alu instid0(VALU_DEP_2) | instskip(SKIP_1) | instid1(VALU_DEP_2)
	v_fmac_f64_e32 v[20:21], v[8:9], v[18:19]
	s_wait_loadcnt 0x0
	v_fmac_f64_e32 v[10:11], v[22:23], v[14:15]
	s_delay_alu instid0(VALU_DEP_2) | instskip(NEXT) | instid1(VALU_DEP_2)
	v_fmac_f64_e32 v[12:13], v[20:21], v[14:15]
	v_fma_f64 v[10:11], -v[20:21], v[16:17], v[10:11]
	s_delay_alu instid0(VALU_DEP_2)
	v_fmac_f64_e32 v[12:13], v[22:23], v[16:17]
	s_and_not1_b32 exec_lo, exec_lo, s13
	s_cbranch_execnz .LBB210_5
; %bb.6:
	s_or_b32 exec_lo, exec_lo, s13
.LBB210_7:
	s_delay_alu instid0(SALU_CYCLE_1)
	s_or_b32 exec_lo, exec_lo, s12
	s_load_b64 s[4:5], s[0:1], 0x60
	v_lshlrev_b32_e32 v1, 4, v0
	s_wait_xcnt 0x0
	s_mov_b32 s0, exec_lo
	ds_store_b128 v1, v[10:13]
	s_wait_loadcnt_dscnt 0x0
	s_barrier_signal -1
	s_barrier_wait -1
	v_cmpx_gt_u32_e32 0x80, v0
	s_cbranch_execz .LBB210_9
; %bb.8:
	ds_load_b128 v[6:9], v1 offset:2048
	ds_load_b128 v[10:13], v1
	s_wait_dscnt 0x0
	v_add_f64_e32 v[6:7], v[6:7], v[10:11]
	v_add_f64_e32 v[8:9], v[8:9], v[12:13]
	ds_store_b128 v1, v[6:9]
.LBB210_9:
	s_or_b32 exec_lo, exec_lo, s0
	s_delay_alu instid0(SALU_CYCLE_1)
	s_mov_b32 s0, exec_lo
	s_wait_dscnt 0x0
	s_barrier_signal -1
	s_barrier_wait -1
	v_cmpx_gt_u32_e32 64, v0
	s_cbranch_execz .LBB210_11
; %bb.10:
	ds_load_b128 v[6:9], v1 offset:1024
	ds_load_b128 v[10:13], v1
	s_wait_dscnt 0x0
	v_add_f64_e32 v[6:7], v[6:7], v[10:11]
	v_add_f64_e32 v[8:9], v[8:9], v[12:13]
	ds_store_b128 v1, v[6:9]
.LBB210_11:
	s_or_b32 exec_lo, exec_lo, s0
	s_delay_alu instid0(SALU_CYCLE_1)
	s_mov_b32 s0, exec_lo
	s_wait_dscnt 0x0
	;; [unrolled: 16-line block ×6, first 2 shown]
	s_barrier_signal -1
	s_barrier_wait -1
	v_cmpx_gt_u32_e32 2, v0
	s_cbranch_execz .LBB210_21
; %bb.20:
	ds_load_b128 v[6:9], v1
	ds_load_b128 v[10:13], v1 offset:32
	s_wait_dscnt 0x0
	v_add_f64_e32 v[6:7], v[10:11], v[6:7]
	v_add_f64_e32 v[8:9], v[12:13], v[8:9]
	ds_store_b128 v1, v[6:9]
.LBB210_21:
	s_or_b32 exec_lo, exec_lo, s0
	v_cmp_eq_u32_e32 vcc_lo, 0, v0
	s_wait_dscnt 0x0
	s_barrier_signal -1
	s_barrier_wait -1
	s_and_saveexec_b32 s0, vcc_lo
	s_cbranch_execz .LBB210_23
; %bb.22:
	v_mov_b32_e32 v0, 0
	ds_load_b128 v[6:9], v0
	ds_load_b128 v[10:13], v0 offset:16
	s_wait_dscnt 0x0
	v_add_f64_e32 v[6:7], v[10:11], v[6:7]
	v_add_f64_e32 v[8:9], v[12:13], v[8:9]
	ds_store_b128 v0, v[6:9]
.LBB210_23:
	s_or_b32 exec_lo, exec_lo, s0
	s_wait_dscnt 0x0
	s_barrier_signal -1
	s_barrier_wait -1
	s_and_b32 exec_lo, exec_lo, vcc_lo
	s_cbranch_execz .LBB210_27
; %bb.24:
	v_cmp_neq_f64_e32 vcc_lo, 0, v[2:3]
	v_cmp_neq_f64_e64 s0, 0, v[4:5]
	v_mov_b32_e32 v0, 0
	ds_load_b128 v[6:9], v0
	s_or_b32 s1, vcc_lo, s0
	s_delay_alu instid0(SALU_CYCLE_1)
	s_and_saveexec_b32 s0, s1
	s_cbranch_execz .LBB210_26
; %bb.25:
	s_lshl_b64 s[6:7], s[2:3], 4
	s_wait_kmcnt 0x0
	s_add_nc_u64 s[6:7], s[4:5], s[6:7]
	s_load_b128 s[8:11], s[6:7], 0x0
	s_wait_dscnt 0x0
	s_wait_kmcnt 0x0
	v_fmac_f64_e32 v[6:7], s[8:9], v[2:3]
	v_fmac_f64_e32 v[8:9], s[8:9], v[4:5]
	s_delay_alu instid0(VALU_DEP_2) | instskip(NEXT) | instid1(VALU_DEP_2)
	v_fma_f64 v[6:7], -v[4:5], s[10:11], v[6:7]
	v_fmac_f64_e32 v[8:9], s[10:11], v[2:3]
.LBB210_26:
	s_or_b32 exec_lo, exec_lo, s0
	s_lshl_b64 s[0:1], s[2:3], 4
	s_wait_kmcnt 0x0
	s_add_nc_u64 s[0:1], s[4:5], s[0:1]
	s_wait_dscnt 0x0
	global_store_b128 v0, v[6:9], s[0:1]
.LBB210_27:
	s_endpgm
	.section	.rodata,"a",@progbits
	.p2align	6, 0x0
	.amdhsa_kernel _ZN9rocsparseL29csrmvn_lrb_medium_rows_kernelILj256Eii21rocsparse_complex_numIfES1_IdES3_S3_EEvbT0_PT1_S6_jNS_24const_host_device_scalarIT5_EEPKS4_PKS5_PKT2_PKT3_S9_PT4_21rocsparse_index_base_b
		.amdhsa_group_segment_fixed_size 4096
		.amdhsa_private_segment_fixed_size 0
		.amdhsa_kernarg_size 112
		.amdhsa_user_sgpr_count 2
		.amdhsa_user_sgpr_dispatch_ptr 0
		.amdhsa_user_sgpr_queue_ptr 0
		.amdhsa_user_sgpr_kernarg_segment_ptr 1
		.amdhsa_user_sgpr_dispatch_id 0
		.amdhsa_user_sgpr_kernarg_preload_length 0
		.amdhsa_user_sgpr_kernarg_preload_offset 0
		.amdhsa_user_sgpr_private_segment_size 0
		.amdhsa_wavefront_size32 1
		.amdhsa_uses_dynamic_stack 0
		.amdhsa_enable_private_segment 0
		.amdhsa_system_sgpr_workgroup_id_x 1
		.amdhsa_system_sgpr_workgroup_id_y 0
		.amdhsa_system_sgpr_workgroup_id_z 0
		.amdhsa_system_sgpr_workgroup_info 0
		.amdhsa_system_vgpr_workitem_id 0
		.amdhsa_next_free_vgpr 24
		.amdhsa_next_free_sgpr 15
		.amdhsa_named_barrier_count 0
		.amdhsa_reserve_vcc 1
		.amdhsa_float_round_mode_32 0
		.amdhsa_float_round_mode_16_64 0
		.amdhsa_float_denorm_mode_32 3
		.amdhsa_float_denorm_mode_16_64 3
		.amdhsa_fp16_overflow 0
		.amdhsa_memory_ordered 1
		.amdhsa_forward_progress 1
		.amdhsa_inst_pref_size 11
		.amdhsa_round_robin_scheduling 0
		.amdhsa_exception_fp_ieee_invalid_op 0
		.amdhsa_exception_fp_denorm_src 0
		.amdhsa_exception_fp_ieee_div_zero 0
		.amdhsa_exception_fp_ieee_overflow 0
		.amdhsa_exception_fp_ieee_underflow 0
		.amdhsa_exception_fp_ieee_inexact 0
		.amdhsa_exception_int_div_zero 0
	.end_amdhsa_kernel
	.section	.text._ZN9rocsparseL29csrmvn_lrb_medium_rows_kernelILj256Eii21rocsparse_complex_numIfES1_IdES3_S3_EEvbT0_PT1_S6_jNS_24const_host_device_scalarIT5_EEPKS4_PKS5_PKT2_PKT3_S9_PT4_21rocsparse_index_base_b,"axG",@progbits,_ZN9rocsparseL29csrmvn_lrb_medium_rows_kernelILj256Eii21rocsparse_complex_numIfES1_IdES3_S3_EEvbT0_PT1_S6_jNS_24const_host_device_scalarIT5_EEPKS4_PKS5_PKT2_PKT3_S9_PT4_21rocsparse_index_base_b,comdat
.Lfunc_end210:
	.size	_ZN9rocsparseL29csrmvn_lrb_medium_rows_kernelILj256Eii21rocsparse_complex_numIfES1_IdES3_S3_EEvbT0_PT1_S6_jNS_24const_host_device_scalarIT5_EEPKS4_PKS5_PKT2_PKT3_S9_PT4_21rocsparse_index_base_b, .Lfunc_end210-_ZN9rocsparseL29csrmvn_lrb_medium_rows_kernelILj256Eii21rocsparse_complex_numIfES1_IdES3_S3_EEvbT0_PT1_S6_jNS_24const_host_device_scalarIT5_EEPKS4_PKS5_PKT2_PKT3_S9_PT4_21rocsparse_index_base_b
                                        ; -- End function
	.set _ZN9rocsparseL29csrmvn_lrb_medium_rows_kernelILj256Eii21rocsparse_complex_numIfES1_IdES3_S3_EEvbT0_PT1_S6_jNS_24const_host_device_scalarIT5_EEPKS4_PKS5_PKT2_PKT3_S9_PT4_21rocsparse_index_base_b.num_vgpr, 24
	.set _ZN9rocsparseL29csrmvn_lrb_medium_rows_kernelILj256Eii21rocsparse_complex_numIfES1_IdES3_S3_EEvbT0_PT1_S6_jNS_24const_host_device_scalarIT5_EEPKS4_PKS5_PKT2_PKT3_S9_PT4_21rocsparse_index_base_b.num_agpr, 0
	.set _ZN9rocsparseL29csrmvn_lrb_medium_rows_kernelILj256Eii21rocsparse_complex_numIfES1_IdES3_S3_EEvbT0_PT1_S6_jNS_24const_host_device_scalarIT5_EEPKS4_PKS5_PKT2_PKT3_S9_PT4_21rocsparse_index_base_b.numbered_sgpr, 15
	.set _ZN9rocsparseL29csrmvn_lrb_medium_rows_kernelILj256Eii21rocsparse_complex_numIfES1_IdES3_S3_EEvbT0_PT1_S6_jNS_24const_host_device_scalarIT5_EEPKS4_PKS5_PKT2_PKT3_S9_PT4_21rocsparse_index_base_b.num_named_barrier, 0
	.set _ZN9rocsparseL29csrmvn_lrb_medium_rows_kernelILj256Eii21rocsparse_complex_numIfES1_IdES3_S3_EEvbT0_PT1_S6_jNS_24const_host_device_scalarIT5_EEPKS4_PKS5_PKT2_PKT3_S9_PT4_21rocsparse_index_base_b.private_seg_size, 0
	.set _ZN9rocsparseL29csrmvn_lrb_medium_rows_kernelILj256Eii21rocsparse_complex_numIfES1_IdES3_S3_EEvbT0_PT1_S6_jNS_24const_host_device_scalarIT5_EEPKS4_PKS5_PKT2_PKT3_S9_PT4_21rocsparse_index_base_b.uses_vcc, 1
	.set _ZN9rocsparseL29csrmvn_lrb_medium_rows_kernelILj256Eii21rocsparse_complex_numIfES1_IdES3_S3_EEvbT0_PT1_S6_jNS_24const_host_device_scalarIT5_EEPKS4_PKS5_PKT2_PKT3_S9_PT4_21rocsparse_index_base_b.uses_flat_scratch, 0
	.set _ZN9rocsparseL29csrmvn_lrb_medium_rows_kernelILj256Eii21rocsparse_complex_numIfES1_IdES3_S3_EEvbT0_PT1_S6_jNS_24const_host_device_scalarIT5_EEPKS4_PKS5_PKT2_PKT3_S9_PT4_21rocsparse_index_base_b.has_dyn_sized_stack, 0
	.set _ZN9rocsparseL29csrmvn_lrb_medium_rows_kernelILj256Eii21rocsparse_complex_numIfES1_IdES3_S3_EEvbT0_PT1_S6_jNS_24const_host_device_scalarIT5_EEPKS4_PKS5_PKT2_PKT3_S9_PT4_21rocsparse_index_base_b.has_recursion, 0
	.set _ZN9rocsparseL29csrmvn_lrb_medium_rows_kernelILj256Eii21rocsparse_complex_numIfES1_IdES3_S3_EEvbT0_PT1_S6_jNS_24const_host_device_scalarIT5_EEPKS4_PKS5_PKT2_PKT3_S9_PT4_21rocsparse_index_base_b.has_indirect_call, 0
	.section	.AMDGPU.csdata,"",@progbits
; Kernel info:
; codeLenInByte = 1308
; TotalNumSgprs: 17
; NumVgprs: 24
; ScratchSize: 0
; MemoryBound: 0
; FloatMode: 240
; IeeeMode: 1
; LDSByteSize: 4096 bytes/workgroup (compile time only)
; SGPRBlocks: 0
; VGPRBlocks: 1
; NumSGPRsForWavesPerEU: 17
; NumVGPRsForWavesPerEU: 24
; NamedBarCnt: 0
; Occupancy: 16
; WaveLimiterHint : 1
; COMPUTE_PGM_RSRC2:SCRATCH_EN: 0
; COMPUTE_PGM_RSRC2:USER_SGPR: 2
; COMPUTE_PGM_RSRC2:TRAP_HANDLER: 0
; COMPUTE_PGM_RSRC2:TGID_X_EN: 1
; COMPUTE_PGM_RSRC2:TGID_Y_EN: 0
; COMPUTE_PGM_RSRC2:TGID_Z_EN: 0
; COMPUTE_PGM_RSRC2:TIDIG_COMP_CNT: 0
	.section	.text._ZN9rocsparseL27csrmvn_lrb_long_rows_kernelIii21rocsparse_complex_numIfES1_IdES3_S3_EEvbT_PjPT0_S7_jNS_24const_host_device_scalarIT4_EEPKS4_PKS6_PKT1_PKT2_SA_PT3_21rocsparse_index_base_b,"axG",@progbits,_ZN9rocsparseL27csrmvn_lrb_long_rows_kernelIii21rocsparse_complex_numIfES1_IdES3_S3_EEvbT_PjPT0_S7_jNS_24const_host_device_scalarIT4_EEPKS4_PKS6_PKT1_PKT2_SA_PT3_21rocsparse_index_base_b,comdat
	.globl	_ZN9rocsparseL27csrmvn_lrb_long_rows_kernelIii21rocsparse_complex_numIfES1_IdES3_S3_EEvbT_PjPT0_S7_jNS_24const_host_device_scalarIT4_EEPKS4_PKS6_PKT1_PKT2_SA_PT3_21rocsparse_index_base_b ; -- Begin function _ZN9rocsparseL27csrmvn_lrb_long_rows_kernelIii21rocsparse_complex_numIfES1_IdES3_S3_EEvbT_PjPT0_S7_jNS_24const_host_device_scalarIT4_EEPKS4_PKS6_PKT1_PKT2_SA_PT3_21rocsparse_index_base_b
	.p2align	8
	.type	_ZN9rocsparseL27csrmvn_lrb_long_rows_kernelIii21rocsparse_complex_numIfES1_IdES3_S3_EEvbT_PjPT0_S7_jNS_24const_host_device_scalarIT4_EEPKS4_PKS6_PKT1_PKT2_SA_PT3_21rocsparse_index_base_b,@function
_ZN9rocsparseL27csrmvn_lrb_long_rows_kernelIii21rocsparse_complex_numIfES1_IdES3_S3_EEvbT_PjPT0_S7_jNS_24const_host_device_scalarIT4_EEPKS4_PKS6_PKT1_PKT2_SA_PT3_21rocsparse_index_base_b: ; @_ZN9rocsparseL27csrmvn_lrb_long_rows_kernelIii21rocsparse_complex_numIfES1_IdES3_S3_EEvbT_PjPT0_S7_jNS_24const_host_device_scalarIT4_EEPKS4_PKS6_PKT1_PKT2_SA_PT3_21rocsparse_index_base_b
; %bb.0:
	s_clause 0x1
	s_load_b64 s[16:17], s[0:1], 0x70
	s_load_b64 s[2:3], s[0:1], 0x28
	v_mov_b32_e32 v1, 0
	s_add_nc_u64 s[4:5], s[0:1], 40
	s_load_b64 s[6:7], s[0:1], 0x58
	s_wait_kmcnt 0x0
	s_bitcmp1_b32 s17, 0
	s_cselect_b32 s3, s5, s3
	s_cselect_b32 s2, s4, s2
	flat_load_b128 v[2:5], v1, s[2:3]
	s_wait_xcnt 0x0
	s_add_nc_u64 s[2:3], s[0:1], 0x58
	s_delay_alu instid0(SALU_CYCLE_1)
	s_cselect_b32 s3, s3, s7
	s_cselect_b32 s2, s2, s6
	flat_load_b128 v[6:9], v1, s[2:3]
	s_wait_loadcnt_dscnt 0x101
	v_cmp_eq_f64_e32 vcc_lo, 0, v[2:3]
	s_wait_xcnt 0x0
	v_cmp_eq_f64_e64 s2, 0, v[4:5]
	s_and_b32 s4, vcc_lo, s2
	s_mov_b32 s2, -1
	s_and_saveexec_b32 s3, s4
	s_cbranch_execz .LBB211_2
; %bb.1:
	s_wait_loadcnt_dscnt 0x0
	v_cmp_neq_f64_e32 vcc_lo, 1.0, v[6:7]
	v_cmp_neq_f64_e64 s2, 0, v[8:9]
	s_or_b32 s2, vcc_lo, s2
	s_delay_alu instid0(SALU_CYCLE_1)
	s_or_not1_b32 s2, s2, exec_lo
.LBB211_2:
	s_or_b32 exec_lo, exec_lo, s3
	s_and_saveexec_b32 s3, s2
	s_cbranch_execz .LBB211_38
; %bb.3:
	s_load_b96 s[4:6], s[0:1], 0x18
	s_bfe_u32 s8, ttmp6, 0x4000c
	s_and_b32 s7, ttmp6, 15
	s_add_co_i32 s8, s8, 1
	s_getreg_b32 s9, hwreg(HW_REG_IB_STS2, 6, 4)
	s_mul_i32 s8, ttmp9, s8
	v_mov_b64_e32 v[10:11], 0
	s_add_co_i32 s7, s7, s8
	v_mov_b64_e32 v[12:13], 0
	s_wait_kmcnt 0x0
	s_lshl_b32 s2, -1, s6
	s_load_b32 s10, s[4:5], s6 offset:0x0 scale_offset
	s_not_b32 s2, s2
	s_delay_alu instid0(SALU_CYCLE_1) | instskip(NEXT) | instid1(SALU_CYCLE_1)
	s_mul_hi_u32 s2, s2, 0x2aaaaaab
	s_lshr_b32 s2, s2, 7
	s_delay_alu instid0(SALU_CYCLE_1) | instskip(SKIP_2) | instid1(SALU_CYCLE_3)
	s_add_co_i32 s20, s2, 1
	s_not_b32 s2, s2
	s_cvt_f32_u32 s3, s20
	v_rcp_iflag_f32_e32 v1, s3
	v_nop
	s_delay_alu instid0(TRANS32_DEP_1) | instskip(SKIP_1) | instid1(SALU_CYCLE_3)
	v_readfirstlane_b32 s3, v1
	s_mul_f32 s3, s3, 0x4f7ffffe
	s_cvt_u32_f32 s3, s3
	s_delay_alu instid0(SALU_CYCLE_3) | instskip(NEXT) | instid1(SALU_CYCLE_1)
	s_mul_i32 s2, s2, s3
	s_mul_hi_u32 s2, s3, s2
	s_delay_alu instid0(SALU_CYCLE_1)
	s_add_co_i32 s3, s3, s2
	s_cmp_eq_u32 s9, 0
	s_cselect_b32 s8, ttmp9, s7
	s_wait_xcnt 0x0
	s_load_b128 s[4:7], s[0:1], 0x8
	s_mul_hi_u32 s2, s8, s3
	s_delay_alu instid0(SALU_CYCLE_1) | instskip(SKIP_2) | instid1(SALU_CYCLE_1)
	s_mul_i32 s3, s2, s20
	s_add_co_i32 s9, s2, 1
	s_sub_co_i32 s3, s8, s3
	s_sub_co_i32 s11, s3, s20
	s_cmp_ge_u32 s3, s20
	s_cselect_b32 s2, s9, s2
	s_cselect_b32 s3, s11, s3
	s_add_co_i32 s9, s2, 1
	s_cmp_ge_u32 s3, s20
	s_cselect_b32 s21, s9, s2
	s_ashr_i32 s9, s8, 31
	s_wait_kmcnt 0x0
	s_add_co_i32 s2, s21, s10
	s_lshl_b64 s[14:15], s[8:9], 2
	s_ashr_i32 s3, s2, 31
	s_delay_alu instid0(SALU_CYCLE_1) | instskip(NEXT) | instid1(SALU_CYCLE_1)
	s_lshl_b64 s[2:3], s[2:3], 2
	s_add_nc_u64 s[10:11], s[6:7], s[2:3]
	s_load_b32 s2, s[10:11], 0x0
	s_clause 0x1
	s_load_b64 s[12:13], s[0:1], 0x38
	s_load_b64 s[6:7], s[0:1], 0x68
	s_wait_kmcnt 0x0
	s_ashr_i32 s3, s2, 31
	s_delay_alu instid0(SALU_CYCLE_1) | instskip(NEXT) | instid1(SALU_CYCLE_1)
	s_lshl_b64 s[10:11], s[2:3], 2
	s_add_nc_u64 s[10:11], s[12:13], s[10:11]
	s_add_nc_u64 s[12:13], s[4:5], s[14:15]
	s_load_b64 s[18:19], s[10:11], 0x0
	s_load_b32 s17, s[12:13], 0x0
	s_mul_i32 s14, s21, s20
	s_mov_b32 s20, exec_lo
	s_sub_co_i32 s15, s8, s14
	s_delay_alu instid0(SALU_CYCLE_1) | instskip(NEXT) | instid1(VALU_DEP_1)
	v_or_b32_e32 v1, s15, v0
	v_cmpx_eq_u32_e32 0, v1
	s_cbranch_execz .LBB211_7
; %bb.4:
	s_wait_loadcnt_dscnt 0x0
	v_add_f64_e32 v[6:7], -1.0, v[6:7]
	s_lshl_b64 s[8:9], s[2:3], 4
	s_mov_b32 s21, exec_lo
	s_add_nc_u64 s[22:23], s[6:7], s[8:9]
	v_mbcnt_lo_u32_b32 v1, s21, 0
	s_wait_xcnt 0x0
	s_load_b128 s[8:11], s[22:23], 0x0
	global_wb scope:SCOPE_DEV
	s_wait_storecnt 0x0
	global_inv scope:SCOPE_DEV
	s_wait_kmcnt 0x0
	v_mul_f64_e64 v[10:11], s[10:11], -v[8:9]
	v_mul_f64_e32 v[12:13], s[10:11], v[6:7]
	s_mov_b32 s10, exec_lo
	v_cmpx_eq_u32_e32 0, v1
	s_cbranch_execz .LBB211_6
; %bb.5:
	s_bcnt1_i32_b32 s11, s21
	s_delay_alu instid0(SALU_CYCLE_1) | instskip(NEXT) | instid1(SALU_CYCLE_1)
	s_and_b32 s11, s11, 1
	v_dual_mov_b32 v1, s14 :: v_dual_mov_b32 v14, s11
	global_atomic_xor_b32 v1, v14, s[4:5] scale_offset scope:SCOPE_DEV
.LBB211_6:
	s_wait_xcnt 0x0
	s_or_b32 exec_lo, exec_lo, s10
	s_delay_alu instid0(VALU_DEP_3) | instskip(NEXT) | instid1(VALU_DEP_3)
	v_fmac_f64_e32 v[10:11], s[8:9], v[6:7]
	v_fmac_f64_e32 v[12:13], s[8:9], v[8:9]
.LBB211_7:
	s_or_b32 exec_lo, exec_lo, s20
	s_mul_i32 s8, s15, 0x300
	s_wait_kmcnt 0x0
	s_sub_co_i32 s9, s19, s16
	s_sub_co_i32 s8, s8, s16
	s_mov_b32 s20, exec_lo
	s_add_co_i32 s8, s8, s18
	s_delay_alu instid0(SALU_CYCLE_1) | instskip(SKIP_1) | instid1(SALU_CYCLE_1)
	v_add_nc_u32_e32 v1, s8, v0
	s_addk_co_i32 s8, 0x300
	s_min_i32 s21, s8, s9
	s_delay_alu instid0(VALU_DEP_1) | instid1(SALU_CYCLE_1)
	v_cmpx_gt_i32_e64 s21, v1
	s_cbranch_execz .LBB211_11
; %bb.8:
	s_clause 0x2
	s_load_b32 s22, s[0:1], 0x0
	s_load_b128 s[8:11], s[0:1], 0x40
	s_load_b64 s[18:19], s[0:1], 0x50
	s_wait_xcnt 0x0
	s_mov_b32 s0, 0
	s_wait_kmcnt 0x0
	s_bitcmp1_b32 s22, 0
	s_cselect_b32 s1, -1, 0
.LBB211_9:                              ; =>This Inner Loop Header: Depth=1
	s_wait_loadcnt_dscnt 0x0
	s_clause 0x1
	global_load_b32 v6, v1, s[8:9] scale_offset
	global_load_b64 v[14:15], v1, s[10:11] scale_offset
	s_wait_xcnt 0x0
	v_add_nc_u32_e32 v1, 0x100, v1
	s_delay_alu instid0(VALU_DEP_1)
	v_cmp_le_i32_e32 vcc_lo, s21, v1
	s_or_b32 s0, vcc_lo, s0
	s_wait_loadcnt 0x1
	v_subrev_nc_u32_e32 v6, s16, v6
	s_wait_loadcnt 0x0
	v_cndmask_b32_e64 v15, v15, -v15, s1
	global_load_b128 v[6:9], v6, s[18:19] scale_offset
	v_cvt_f64_f32_e32 v[16:17], v15
	v_cvt_f64_f32_e32 v[14:15], v14
	s_delay_alu instid0(VALU_DEP_2) | instskip(SKIP_1) | instid1(VALU_DEP_2)
	v_mul_f64_e64 v[18:19], -v[4:5], v[16:17]
	v_mul_f64_e32 v[16:17], v[2:3], v[16:17]
	v_fmac_f64_e32 v[18:19], v[2:3], v[14:15]
	s_delay_alu instid0(VALU_DEP_2) | instskip(SKIP_1) | instid1(VALU_DEP_2)
	v_fmac_f64_e32 v[16:17], v[4:5], v[14:15]
	s_wait_loadcnt 0x0
	v_fmac_f64_e32 v[10:11], v[18:19], v[6:7]
	s_delay_alu instid0(VALU_DEP_2) | instskip(NEXT) | instid1(VALU_DEP_2)
	v_fmac_f64_e32 v[12:13], v[16:17], v[6:7]
	v_fma_f64 v[10:11], -v[16:17], v[8:9], v[10:11]
	s_delay_alu instid0(VALU_DEP_2)
	v_fmac_f64_e32 v[12:13], v[18:19], v[8:9]
	s_wait_xcnt 0x0
	s_and_not1_b32 exec_lo, exec_lo, s0
	s_cbranch_execnz .LBB211_9
; %bb.10:
	s_or_b32 exec_lo, exec_lo, s0
.LBB211_11:
	s_delay_alu instid0(SALU_CYCLE_1)
	s_or_b32 exec_lo, exec_lo, s20
	v_lshlrev_b32_e32 v1, 4, v0
	s_mov_b32 s0, exec_lo
	ds_store_b128 v1, v[10:13]
	s_wait_storecnt 0x0
	s_wait_loadcnt_dscnt 0x0
	s_barrier_signal -1
	s_barrier_wait -1
	v_cmpx_gt_u32_e32 0x80, v0
	s_cbranch_execz .LBB211_13
; %bb.12:
	ds_load_b128 v[2:5], v1 offset:2048
	ds_load_b128 v[6:9], v1
	s_wait_dscnt 0x0
	v_add_f64_e32 v[2:3], v[2:3], v[6:7]
	v_add_f64_e32 v[4:5], v[4:5], v[8:9]
	ds_store_b128 v1, v[2:5]
.LBB211_13:
	s_or_b32 exec_lo, exec_lo, s0
	s_delay_alu instid0(SALU_CYCLE_1)
	s_mov_b32 s0, exec_lo
	s_wait_dscnt 0x0
	s_barrier_signal -1
	s_barrier_wait -1
	v_cmpx_gt_u32_e32 64, v0
	s_cbranch_execz .LBB211_15
; %bb.14:
	ds_load_b128 v[2:5], v1 offset:1024
	ds_load_b128 v[6:9], v1
	s_wait_dscnt 0x0
	v_add_f64_e32 v[2:3], v[2:3], v[6:7]
	v_add_f64_e32 v[4:5], v[4:5], v[8:9]
	ds_store_b128 v1, v[2:5]
.LBB211_15:
	s_or_b32 exec_lo, exec_lo, s0
	s_delay_alu instid0(SALU_CYCLE_1)
	s_mov_b32 s0, exec_lo
	s_wait_dscnt 0x0
	;; [unrolled: 16-line block ×6, first 2 shown]
	s_barrier_signal -1
	s_barrier_wait -1
	v_cmpx_gt_u32_e32 2, v0
	s_cbranch_execz .LBB211_25
; %bb.24:
	ds_load_b128 v[2:5], v1
	ds_load_b128 v[6:9], v1 offset:32
	s_wait_dscnt 0x0
	v_add_f64_e32 v[2:3], v[6:7], v[2:3]
	v_add_f64_e32 v[4:5], v[8:9], v[4:5]
	ds_store_b128 v1, v[2:5]
.LBB211_25:
	s_or_b32 exec_lo, exec_lo, s0
	v_cmp_eq_u32_e32 vcc_lo, 0, v0
	s_wait_dscnt 0x0
	s_barrier_signal -1
	s_barrier_wait -1
	s_and_saveexec_b32 s0, vcc_lo
	s_cbranch_execz .LBB211_27
; %bb.26:
	v_mov_b32_e32 v8, 0
	ds_load_b128 v[0:3], v8
	ds_load_b128 v[4:7], v8 offset:16
	s_wait_dscnt 0x0
	v_add_f64_e32 v[0:1], v[4:5], v[0:1]
	v_add_f64_e32 v[2:3], v[6:7], v[2:3]
	ds_store_b128 v8, v[0:3]
.LBB211_27:
	s_or_b32 exec_lo, exec_lo, s0
	s_wait_dscnt 0x0
	s_barrier_signal -1
	s_barrier_wait -1
	s_and_b32 exec_lo, exec_lo, vcc_lo
	s_cbranch_execz .LBB211_38
; %bb.28:
	s_cmp_eq_u32 s15, 0
	s_cbranch_scc1 .LBB211_34
; %bb.29:
	s_ashr_i32 s15, s14, 31
	v_mov_b32_e32 v0, 0
	s_lshl_b64 s[0:1], s[14:15], 2
	s_delay_alu instid0(SALU_CYCLE_1)
	s_add_nc_u64 s[0:1], s[4:5], s[0:1]
	s_branch .LBB211_31
.LBB211_30:                             ;   in Loop: Header=BB211_31 Depth=1
	s_wait_xcnt 0x0
	s_or_b32 exec_lo, exec_lo, s4
	s_wait_loadcnt 0x0
	v_readfirstlane_b32 s4, v1
	s_cmp_eq_u32 s4, s17
	s_cbranch_scc0 .LBB211_33
.LBB211_31:                             ; =>This Inner Loop Header: Depth=1
	v_mbcnt_lo_u32_b32 v1, exec_lo, 0
	s_delay_alu instid0(VALU_DEP_1)
	v_cmp_eq_u32_e32 vcc_lo, 0, v1
                                        ; implicit-def: $vgpr1
	s_and_saveexec_b32 s4, vcc_lo
	s_cbranch_execz .LBB211_30
; %bb.32:                               ;   in Loop: Header=BB211_31 Depth=1
	global_load_b32 v1, v0, s[0:1] scope:SCOPE_DEV
	s_branch .LBB211_30
.LBB211_33:
	v_mov_b32_e32 v0, 0
	global_load_u16 v1, v0, s[12:13]
	s_wait_loadcnt 0x0
	v_xor_b32_e32 v1, 1, v1
	global_store_b16 v0, v1, s[12:13]
.LBB211_34:
	v_mov_b32_e32 v4, 0
	s_mov_b32 s4, exec_lo
	s_lshl_b64 s[0:1], s[2:3], 4
	v_mbcnt_lo_u32_b32 v5, s4, 0
	s_add_nc_u64 s[0:1], s[6:7], s[0:1]
	s_wait_xcnt 0x0
	ds_load_b128 v[0:3], v4
	s_mov_b32 s2, exec_lo
	v_cmpx_eq_u32_e32 0, v5
	s_cbranch_execz .LBB211_36
; %bb.35:
	s_bcnt1_i32_b32 s3, s4
	s_delay_alu instid0(SALU_CYCLE_1) | instskip(SKIP_1) | instid1(VALU_DEP_1)
	v_cvt_f64_u32_e32 v[6:7], s3
	s_wait_dscnt 0x0
	v_mul_f64_e32 v[0:1], v[0:1], v[6:7]
	global_atomic_add_f64 v4, v[0:1], s[0:1] scope:SCOPE_DEV
.LBB211_36:
	s_wait_xcnt 0x0
	s_or_b32 exec_lo, exec_lo, s2
	s_delay_alu instid0(SALU_CYCLE_1) | instskip(SKIP_2) | instid1(VALU_DEP_1)
	s_mov_b32 s2, exec_lo
	s_wait_dscnt 0x0
	v_mbcnt_lo_u32_b32 v0, s2, 0
	v_cmp_eq_u32_e32 vcc_lo, 0, v0
	s_and_b32 s3, exec_lo, vcc_lo
	s_delay_alu instid0(SALU_CYCLE_1)
	s_mov_b32 exec_lo, s3
	s_cbranch_execz .LBB211_38
; %bb.37:
	s_bcnt1_i32_b32 s2, s2
	s_delay_alu instid0(SALU_CYCLE_1) | instskip(NEXT) | instid1(VALU_DEP_1)
	v_cvt_f64_u32_e32 v[0:1], s2
	v_dual_mul_f64 v[0:1], v[2:3], v[0:1] :: v_dual_mov_b32 v2, 0
	global_atomic_add_f64 v2, v[0:1], s[0:1] offset:8 scope:SCOPE_DEV
.LBB211_38:
	s_endpgm
	.section	.rodata,"a",@progbits
	.p2align	6, 0x0
	.amdhsa_kernel _ZN9rocsparseL27csrmvn_lrb_long_rows_kernelIii21rocsparse_complex_numIfES1_IdES3_S3_EEvbT_PjPT0_S7_jNS_24const_host_device_scalarIT4_EEPKS4_PKS6_PKT1_PKT2_SA_PT3_21rocsparse_index_base_b
		.amdhsa_group_segment_fixed_size 4096
		.amdhsa_private_segment_fixed_size 0
		.amdhsa_kernarg_size 120
		.amdhsa_user_sgpr_count 2
		.amdhsa_user_sgpr_dispatch_ptr 0
		.amdhsa_user_sgpr_queue_ptr 0
		.amdhsa_user_sgpr_kernarg_segment_ptr 1
		.amdhsa_user_sgpr_dispatch_id 0
		.amdhsa_user_sgpr_kernarg_preload_length 0
		.amdhsa_user_sgpr_kernarg_preload_offset 0
		.amdhsa_user_sgpr_private_segment_size 0
		.amdhsa_wavefront_size32 1
		.amdhsa_uses_dynamic_stack 0
		.amdhsa_enable_private_segment 0
		.amdhsa_system_sgpr_workgroup_id_x 1
		.amdhsa_system_sgpr_workgroup_id_y 0
		.amdhsa_system_sgpr_workgroup_id_z 0
		.amdhsa_system_sgpr_workgroup_info 0
		.amdhsa_system_vgpr_workitem_id 0
		.amdhsa_next_free_vgpr 20
		.amdhsa_next_free_sgpr 24
		.amdhsa_named_barrier_count 0
		.amdhsa_reserve_vcc 1
		.amdhsa_float_round_mode_32 0
		.amdhsa_float_round_mode_16_64 0
		.amdhsa_float_denorm_mode_32 3
		.amdhsa_float_denorm_mode_16_64 3
		.amdhsa_fp16_overflow 0
		.amdhsa_memory_ordered 1
		.amdhsa_forward_progress 1
		.amdhsa_inst_pref_size 15
		.amdhsa_round_robin_scheduling 0
		.amdhsa_exception_fp_ieee_invalid_op 0
		.amdhsa_exception_fp_denorm_src 0
		.amdhsa_exception_fp_ieee_div_zero 0
		.amdhsa_exception_fp_ieee_overflow 0
		.amdhsa_exception_fp_ieee_underflow 0
		.amdhsa_exception_fp_ieee_inexact 0
		.amdhsa_exception_int_div_zero 0
	.end_amdhsa_kernel
	.section	.text._ZN9rocsparseL27csrmvn_lrb_long_rows_kernelIii21rocsparse_complex_numIfES1_IdES3_S3_EEvbT_PjPT0_S7_jNS_24const_host_device_scalarIT4_EEPKS4_PKS6_PKT1_PKT2_SA_PT3_21rocsparse_index_base_b,"axG",@progbits,_ZN9rocsparseL27csrmvn_lrb_long_rows_kernelIii21rocsparse_complex_numIfES1_IdES3_S3_EEvbT_PjPT0_S7_jNS_24const_host_device_scalarIT4_EEPKS4_PKS6_PKT1_PKT2_SA_PT3_21rocsparse_index_base_b,comdat
.Lfunc_end211:
	.size	_ZN9rocsparseL27csrmvn_lrb_long_rows_kernelIii21rocsparse_complex_numIfES1_IdES3_S3_EEvbT_PjPT0_S7_jNS_24const_host_device_scalarIT4_EEPKS4_PKS6_PKT1_PKT2_SA_PT3_21rocsparse_index_base_b, .Lfunc_end211-_ZN9rocsparseL27csrmvn_lrb_long_rows_kernelIii21rocsparse_complex_numIfES1_IdES3_S3_EEvbT_PjPT0_S7_jNS_24const_host_device_scalarIT4_EEPKS4_PKS6_PKT1_PKT2_SA_PT3_21rocsparse_index_base_b
                                        ; -- End function
	.set _ZN9rocsparseL27csrmvn_lrb_long_rows_kernelIii21rocsparse_complex_numIfES1_IdES3_S3_EEvbT_PjPT0_S7_jNS_24const_host_device_scalarIT4_EEPKS4_PKS6_PKT1_PKT2_SA_PT3_21rocsparse_index_base_b.num_vgpr, 20
	.set _ZN9rocsparseL27csrmvn_lrb_long_rows_kernelIii21rocsparse_complex_numIfES1_IdES3_S3_EEvbT_PjPT0_S7_jNS_24const_host_device_scalarIT4_EEPKS4_PKS6_PKT1_PKT2_SA_PT3_21rocsparse_index_base_b.num_agpr, 0
	.set _ZN9rocsparseL27csrmvn_lrb_long_rows_kernelIii21rocsparse_complex_numIfES1_IdES3_S3_EEvbT_PjPT0_S7_jNS_24const_host_device_scalarIT4_EEPKS4_PKS6_PKT1_PKT2_SA_PT3_21rocsparse_index_base_b.numbered_sgpr, 24
	.set _ZN9rocsparseL27csrmvn_lrb_long_rows_kernelIii21rocsparse_complex_numIfES1_IdES3_S3_EEvbT_PjPT0_S7_jNS_24const_host_device_scalarIT4_EEPKS4_PKS6_PKT1_PKT2_SA_PT3_21rocsparse_index_base_b.num_named_barrier, 0
	.set _ZN9rocsparseL27csrmvn_lrb_long_rows_kernelIii21rocsparse_complex_numIfES1_IdES3_S3_EEvbT_PjPT0_S7_jNS_24const_host_device_scalarIT4_EEPKS4_PKS6_PKT1_PKT2_SA_PT3_21rocsparse_index_base_b.private_seg_size, 0
	.set _ZN9rocsparseL27csrmvn_lrb_long_rows_kernelIii21rocsparse_complex_numIfES1_IdES3_S3_EEvbT_PjPT0_S7_jNS_24const_host_device_scalarIT4_EEPKS4_PKS6_PKT1_PKT2_SA_PT3_21rocsparse_index_base_b.uses_vcc, 1
	.set _ZN9rocsparseL27csrmvn_lrb_long_rows_kernelIii21rocsparse_complex_numIfES1_IdES3_S3_EEvbT_PjPT0_S7_jNS_24const_host_device_scalarIT4_EEPKS4_PKS6_PKT1_PKT2_SA_PT3_21rocsparse_index_base_b.uses_flat_scratch, 0
	.set _ZN9rocsparseL27csrmvn_lrb_long_rows_kernelIii21rocsparse_complex_numIfES1_IdES3_S3_EEvbT_PjPT0_S7_jNS_24const_host_device_scalarIT4_EEPKS4_PKS6_PKT1_PKT2_SA_PT3_21rocsparse_index_base_b.has_dyn_sized_stack, 0
	.set _ZN9rocsparseL27csrmvn_lrb_long_rows_kernelIii21rocsparse_complex_numIfES1_IdES3_S3_EEvbT_PjPT0_S7_jNS_24const_host_device_scalarIT4_EEPKS4_PKS6_PKT1_PKT2_SA_PT3_21rocsparse_index_base_b.has_recursion, 0
	.set _ZN9rocsparseL27csrmvn_lrb_long_rows_kernelIii21rocsparse_complex_numIfES1_IdES3_S3_EEvbT_PjPT0_S7_jNS_24const_host_device_scalarIT4_EEPKS4_PKS6_PKT1_PKT2_SA_PT3_21rocsparse_index_base_b.has_indirect_call, 0
	.section	.AMDGPU.csdata,"",@progbits
; Kernel info:
; codeLenInByte = 1836
; TotalNumSgprs: 26
; NumVgprs: 20
; ScratchSize: 0
; MemoryBound: 0
; FloatMode: 240
; IeeeMode: 1
; LDSByteSize: 4096 bytes/workgroup (compile time only)
; SGPRBlocks: 0
; VGPRBlocks: 1
; NumSGPRsForWavesPerEU: 26
; NumVGPRsForWavesPerEU: 20
; NamedBarCnt: 0
; Occupancy: 16
; WaveLimiterHint : 1
; COMPUTE_PGM_RSRC2:SCRATCH_EN: 0
; COMPUTE_PGM_RSRC2:USER_SGPR: 2
; COMPUTE_PGM_RSRC2:TRAP_HANDLER: 0
; COMPUTE_PGM_RSRC2:TGID_X_EN: 1
; COMPUTE_PGM_RSRC2:TGID_Y_EN: 0
; COMPUTE_PGM_RSRC2:TGID_Z_EN: 0
; COMPUTE_PGM_RSRC2:TIDIG_COMP_CNT: 0
	.section	.text._ZN9rocsparseL28csrmvn_lrb_short_rows_kernelIli21rocsparse_complex_numIfES1_IdES3_S3_EEvbT_PT0_S6_jNS_24const_host_device_scalarIT4_EEPKS4_PKS5_PKT1_PKT2_S9_PT3_21rocsparse_index_base_b,"axG",@progbits,_ZN9rocsparseL28csrmvn_lrb_short_rows_kernelIli21rocsparse_complex_numIfES1_IdES3_S3_EEvbT_PT0_S6_jNS_24const_host_device_scalarIT4_EEPKS4_PKS5_PKT1_PKT2_S9_PT3_21rocsparse_index_base_b,comdat
	.globl	_ZN9rocsparseL28csrmvn_lrb_short_rows_kernelIli21rocsparse_complex_numIfES1_IdES3_S3_EEvbT_PT0_S6_jNS_24const_host_device_scalarIT4_EEPKS4_PKS5_PKT1_PKT2_S9_PT3_21rocsparse_index_base_b ; -- Begin function _ZN9rocsparseL28csrmvn_lrb_short_rows_kernelIli21rocsparse_complex_numIfES1_IdES3_S3_EEvbT_PT0_S6_jNS_24const_host_device_scalarIT4_EEPKS4_PKS5_PKT1_PKT2_S9_PT3_21rocsparse_index_base_b
	.p2align	8
	.type	_ZN9rocsparseL28csrmvn_lrb_short_rows_kernelIli21rocsparse_complex_numIfES1_IdES3_S3_EEvbT_PT0_S6_jNS_24const_host_device_scalarIT4_EEPKS4_PKS5_PKT1_PKT2_S9_PT3_21rocsparse_index_base_b,@function
_ZN9rocsparseL28csrmvn_lrb_short_rows_kernelIli21rocsparse_complex_numIfES1_IdES3_S3_EEvbT_PT0_S6_jNS_24const_host_device_scalarIT4_EEPKS4_PKS5_PKT1_PKT2_S9_PT3_21rocsparse_index_base_b: ; @_ZN9rocsparseL28csrmvn_lrb_short_rows_kernelIli21rocsparse_complex_numIfES1_IdES3_S3_EEvbT_PT0_S6_jNS_24const_host_device_scalarIT4_EEPKS4_PKS5_PKT1_PKT2_S9_PT3_21rocsparse_index_base_b
; %bb.0:
	s_clause 0x1
	s_load_b64 s[16:17], s[0:1], 0x70
	s_load_b64 s[2:3], s[0:1], 0x28
	v_mov_b32_e32 v1, 0
	s_add_nc_u64 s[4:5], s[0:1], 40
	s_load_b64 s[6:7], s[0:1], 0x58
	s_wait_kmcnt 0x0
	s_bitcmp1_b32 s17, 0
	s_cselect_b32 s3, s5, s3
	s_cselect_b32 s2, s4, s2
	flat_load_b128 v[6:9], v1, s[2:3]
	s_wait_xcnt 0x0
	s_add_nc_u64 s[2:3], s[0:1], 0x58
	s_delay_alu instid0(SALU_CYCLE_1)
	s_cselect_b32 s3, s3, s7
	s_cselect_b32 s2, s2, s6
	flat_load_b128 v[2:5], v1, s[2:3]
	s_wait_loadcnt_dscnt 0x101
	v_cmp_eq_f64_e32 vcc_lo, 0, v[6:7]
	s_wait_xcnt 0x0
	v_cmp_eq_f64_e64 s2, 0, v[8:9]
	s_and_b32 s4, vcc_lo, s2
	s_mov_b32 s2, -1
	s_and_saveexec_b32 s3, s4
	s_cbranch_execz .LBB212_2
; %bb.1:
	s_wait_loadcnt_dscnt 0x0
	v_cmp_neq_f64_e32 vcc_lo, 1.0, v[2:3]
	v_cmp_neq_f64_e64 s2, 0, v[4:5]
	s_or_b32 s2, vcc_lo, s2
	s_delay_alu instid0(SALU_CYCLE_1)
	s_or_not1_b32 s2, s2, exec_lo
.LBB212_2:
	s_or_b32 exec_lo, exec_lo, s3
	s_and_saveexec_b32 s3, s2
	s_cbranch_execz .LBB212_16
; %bb.3:
	s_clause 0x1
	s_load_b32 s18, s[0:1], 0x20
	s_load_b128 s[12:15], s[0:1], 0x10
	s_and_b32 s5, ttmp6, 15
	s_getreg_b32 s6, hwreg(HW_REG_IB_STS2, 6, 4)
	s_mov_b32 s17, 0
	s_wait_kmcnt 0x0
	s_add_co_i32 s3, s18, 1
	s_clause 0x1
	s_load_b32 s2, s[14:15], s18 offset:0x0 scale_offset
	s_load_b32 s4, s[14:15], s3 offset:0x0 scale_offset
	s_wait_xcnt 0x0
	s_bfe_u32 s3, ttmp6, 0x4000c
	s_delay_alu instid0(SALU_CYCLE_1) | instskip(NEXT) | instid1(SALU_CYCLE_1)
	s_add_co_i32 s3, s3, 1
	s_mul_i32 s3, ttmp9, s3
	s_delay_alu instid0(SALU_CYCLE_1) | instskip(SKIP_4) | instid1(SALU_CYCLE_1)
	s_add_co_i32 s5, s5, s3
	s_wait_kmcnt 0x0
	s_sub_co_i32 s4, s4, s2
	s_cmp_eq_u32 s6, 0
	s_cselect_b32 s3, ttmp9, s5
	s_lshl_b32 s3, s3, 8
	s_delay_alu instid0(SALU_CYCLE_1) | instskip(NEXT) | instid1(SALU_CYCLE_1)
	s_add_co_i32 s5, s3, 0x100
	s_min_u32 s14, s4, s5
	s_cmp_gt_u32 s18, 23
	s_cbranch_scc1 .LBB212_10
; %bb.4:
	s_clause 0x1
	s_load_b32 s19, s[0:1], 0x0
	s_load_b256 s[4:11], s[0:1], 0x38
	s_lshl_b32 s15, 0x100, s18
	v_bfe_u32 v14, v0, 0, s18
	v_mov_b32_e32 v15, 0
	v_lshl_add_u32 v1, v0, 4, 0
	s_mov_b32 s20, s17
	s_wait_kmcnt 0x0
	s_bitcmp1_b32 s19, 0
	s_cselect_b32 s19, -1, 0
	s_branch .LBB212_7
.LBB212_5:                              ;   in Loop: Header=BB212_7 Depth=1
	s_or_b32 exec_lo, exec_lo, s22
	ds_store_2addr_b64 v1, v[12:13], v[16:17] offset1:1
.LBB212_6:                              ;   in Loop: Header=BB212_7 Depth=1
	s_or_b32 exec_lo, exec_lo, s21
	v_add_nc_u32_e32 v1, 0x1000, v1
	s_addk_co_i32 s20, 0x100
	s_delay_alu instid0(SALU_CYCLE_1)
	s_cmp_ge_u32 s20, s15
	s_cbranch_scc1 .LBB212_10
.LBB212_7:                              ; =>This Inner Loop Header: Depth=1
	v_add_nc_u32_e32 v10, s20, v0
	s_mov_b32 s21, exec_lo
	s_delay_alu instid0(VALU_DEP_1) | instskip(NEXT) | instid1(VALU_DEP_1)
	v_lshrrev_b32_e32 v10, s18, v10
	v_add_nc_u32_e32 v10, s3, v10
	s_delay_alu instid0(VALU_DEP_1)
	v_cmpx_gt_u32_e64 s14, v10
	s_cbranch_execz .LBB212_6
; %bb.8:                                ;   in Loop: Header=BB212_7 Depth=1
	v_add_nc_u32_e32 v10, s2, v10
	global_load_b32 v10, v10, s[12:13] scale_offset
	s_wait_loadcnt 0x0
	v_ashrrev_i32_e32 v11, 31, v10
	s_wait_xcnt 0x0
	s_delay_alu instid0(VALU_DEP_1) | instskip(SKIP_4) | instid1(VALU_DEP_2)
	v_lshl_add_u64 v[10:11], v[10:11], 3, s[4:5]
	global_load_b128 v[10:13], v[10:11], off
	s_wait_loadcnt 0x0
	v_sub_nc_u64_e32 v[16:17], v[12:13], v[10:11]
	v_mov_b64_e32 v[12:13], 0
	v_cmp_gt_i64_e32 vcc_lo, v[16:17], v[14:15]
	v_mov_b64_e32 v[16:17], 0
	s_wait_xcnt 0x0
	s_and_saveexec_b32 s22, vcc_lo
	s_cbranch_execz .LBB212_5
; %bb.9:                                ;   in Loop: Header=BB212_7 Depth=1
	v_sub_nc_u64_e64 v[10:11], v[10:11], s[16:17]
	s_delay_alu instid0(VALU_DEP_1) | instskip(NEXT) | instid1(VALU_DEP_1)
	v_add_nc_u64_e32 v[10:11], v[10:11], v[14:15]
	v_lshl_add_u64 v[12:13], v[10:11], 2, s[6:7]
	v_lshl_add_u64 v[10:11], v[10:11], 3, s[8:9]
	global_load_b32 v12, v[12:13], off
	global_load_b64 v[10:11], v[10:11], off
	s_wait_loadcnt 0x1
	s_wait_xcnt 0x1
	v_subrev_nc_u32_e32 v12, s16, v12
	s_wait_loadcnt 0x0
	s_wait_xcnt 0x0
	v_cndmask_b32_e64 v11, v11, -v11, s19
	global_load_b128 v[18:21], v12, s[10:11] scale_offset
	s_wait_xcnt 0x0
	v_cvt_f64_f32_e32 v[12:13], v11
	v_cvt_f64_f32_e32 v[10:11], v10
	s_delay_alu instid0(VALU_DEP_2) | instskip(SKIP_1) | instid1(VALU_DEP_2)
	v_mul_f64_e32 v[22:23], v[6:7], v[12:13]
	v_mul_f64_e64 v[24:25], -v[8:9], v[12:13]
	v_fmac_f64_e32 v[22:23], v[8:9], v[10:11]
	s_delay_alu instid0(VALU_DEP_2) | instskip(SKIP_1) | instid1(VALU_DEP_2)
	v_fmac_f64_e32 v[24:25], v[6:7], v[10:11]
	s_wait_loadcnt 0x0
	v_mul_f64_e64 v[12:13], v[20:21], -v[22:23]
	s_delay_alu instid0(VALU_DEP_2) | instskip(NEXT) | instid1(VALU_DEP_2)
	v_mul_f64_e32 v[16:17], v[20:21], v[24:25]
	v_fmac_f64_e32 v[12:13], v[24:25], v[18:19]
	s_delay_alu instid0(VALU_DEP_2)
	v_fmac_f64_e32 v[16:17], v[22:23], v[18:19]
	s_branch .LBB212_5
.LBB212_10:
	s_sub_co_i32 s4, s14, s3
	s_wait_loadcnt_dscnt 0x0
	v_cmp_gt_u32_e32 vcc_lo, s4, v0
	s_barrier_signal -1
	s_barrier_wait -1
	s_and_b32 exec_lo, exec_lo, vcc_lo
	s_cbranch_execz .LBB212_16
; %bb.11:
	v_add3_u32 v1, s2, s3, v0
	s_load_b64 s[2:3], s[0:1], 0x68
	v_mov_b64_e32 v[8:9], 0
	v_lshlrev_b32_e32 v0, s18, v0
	s_wait_xcnt 0x0
	s_mov_b32 s0, 1
	global_load_b32 v10, v1, s[12:13] scale_offset
	v_lshl_add_u32 v0, v0, 4, 0
	v_mov_b64_e32 v[6:7], v[8:9]
.LBB212_12:                             ; =>This Inner Loop Header: Depth=1
	ds_load_2addr_b64 v[12:15], v0 offset1:1
	s_lshr_b32 s1, s0, s18
	s_add_co_i32 s0, s0, 1
	s_cmp_lg_u32 s1, 0
	s_wait_dscnt 0x0
	v_dual_add_f64 v[8:9], v[8:9], v[14:15] :: v_dual_add_nc_u32 v0, 16, v0
	v_add_f64_e32 v[6:7], v[6:7], v[12:13]
	s_cbranch_scc0 .LBB212_12
; %bb.13:
	v_cmp_neq_f64_e32 vcc_lo, 0, v[2:3]
	v_cmp_neq_f64_e64 s0, 0, v[4:5]
	s_wait_loadcnt 0x0
	v_ashrrev_i32_e32 v11, 31, v10
	s_wait_kmcnt 0x0
	s_delay_alu instid0(VALU_DEP_1) | instskip(SKIP_1) | instid1(SALU_CYCLE_1)
	v_lshl_add_u64 v[0:1], v[10:11], 4, s[2:3]
	s_or_b32 s1, vcc_lo, s0
	s_and_saveexec_b32 s0, s1
	s_cbranch_execz .LBB212_15
; %bb.14:
	global_load_b128 v[10:13], v[0:1], off
	s_wait_loadcnt 0x0
	v_fmac_f64_e32 v[6:7], v[2:3], v[10:11]
	v_fmac_f64_e32 v[8:9], v[4:5], v[10:11]
	s_delay_alu instid0(VALU_DEP_2) | instskip(NEXT) | instid1(VALU_DEP_2)
	v_fma_f64 v[6:7], -v[4:5], v[12:13], v[6:7]
	v_fmac_f64_e32 v[8:9], v[2:3], v[12:13]
.LBB212_15:
	s_or_b32 exec_lo, exec_lo, s0
	global_store_b128 v[0:1], v[6:9], off
.LBB212_16:
	s_endpgm
	.section	.rodata,"a",@progbits
	.p2align	6, 0x0
	.amdhsa_kernel _ZN9rocsparseL28csrmvn_lrb_short_rows_kernelIli21rocsparse_complex_numIfES1_IdES3_S3_EEvbT_PT0_S6_jNS_24const_host_device_scalarIT4_EEPKS4_PKS5_PKT1_PKT2_S9_PT3_21rocsparse_index_base_b
		.amdhsa_group_segment_fixed_size 0
		.amdhsa_private_segment_fixed_size 0
		.amdhsa_kernarg_size 120
		.amdhsa_user_sgpr_count 2
		.amdhsa_user_sgpr_dispatch_ptr 0
		.amdhsa_user_sgpr_queue_ptr 0
		.amdhsa_user_sgpr_kernarg_segment_ptr 1
		.amdhsa_user_sgpr_dispatch_id 0
		.amdhsa_user_sgpr_kernarg_preload_length 0
		.amdhsa_user_sgpr_kernarg_preload_offset 0
		.amdhsa_user_sgpr_private_segment_size 0
		.amdhsa_wavefront_size32 1
		.amdhsa_uses_dynamic_stack 0
		.amdhsa_enable_private_segment 0
		.amdhsa_system_sgpr_workgroup_id_x 1
		.amdhsa_system_sgpr_workgroup_id_y 0
		.amdhsa_system_sgpr_workgroup_id_z 0
		.amdhsa_system_sgpr_workgroup_info 0
		.amdhsa_system_vgpr_workitem_id 0
		.amdhsa_next_free_vgpr 26
		.amdhsa_next_free_sgpr 23
		.amdhsa_named_barrier_count 0
		.amdhsa_reserve_vcc 1
		.amdhsa_float_round_mode_32 0
		.amdhsa_float_round_mode_16_64 0
		.amdhsa_float_denorm_mode_32 3
		.amdhsa_float_denorm_mode_16_64 3
		.amdhsa_fp16_overflow 0
		.amdhsa_memory_ordered 1
		.amdhsa_forward_progress 1
		.amdhsa_inst_pref_size 8
		.amdhsa_round_robin_scheduling 0
		.amdhsa_exception_fp_ieee_invalid_op 0
		.amdhsa_exception_fp_denorm_src 0
		.amdhsa_exception_fp_ieee_div_zero 0
		.amdhsa_exception_fp_ieee_overflow 0
		.amdhsa_exception_fp_ieee_underflow 0
		.amdhsa_exception_fp_ieee_inexact 0
		.amdhsa_exception_int_div_zero 0
	.end_amdhsa_kernel
	.section	.text._ZN9rocsparseL28csrmvn_lrb_short_rows_kernelIli21rocsparse_complex_numIfES1_IdES3_S3_EEvbT_PT0_S6_jNS_24const_host_device_scalarIT4_EEPKS4_PKS5_PKT1_PKT2_S9_PT3_21rocsparse_index_base_b,"axG",@progbits,_ZN9rocsparseL28csrmvn_lrb_short_rows_kernelIli21rocsparse_complex_numIfES1_IdES3_S3_EEvbT_PT0_S6_jNS_24const_host_device_scalarIT4_EEPKS4_PKS5_PKT1_PKT2_S9_PT3_21rocsparse_index_base_b,comdat
.Lfunc_end212:
	.size	_ZN9rocsparseL28csrmvn_lrb_short_rows_kernelIli21rocsparse_complex_numIfES1_IdES3_S3_EEvbT_PT0_S6_jNS_24const_host_device_scalarIT4_EEPKS4_PKS5_PKT1_PKT2_S9_PT3_21rocsparse_index_base_b, .Lfunc_end212-_ZN9rocsparseL28csrmvn_lrb_short_rows_kernelIli21rocsparse_complex_numIfES1_IdES3_S3_EEvbT_PT0_S6_jNS_24const_host_device_scalarIT4_EEPKS4_PKS5_PKT1_PKT2_S9_PT3_21rocsparse_index_base_b
                                        ; -- End function
	.set _ZN9rocsparseL28csrmvn_lrb_short_rows_kernelIli21rocsparse_complex_numIfES1_IdES3_S3_EEvbT_PT0_S6_jNS_24const_host_device_scalarIT4_EEPKS4_PKS5_PKT1_PKT2_S9_PT3_21rocsparse_index_base_b.num_vgpr, 26
	.set _ZN9rocsparseL28csrmvn_lrb_short_rows_kernelIli21rocsparse_complex_numIfES1_IdES3_S3_EEvbT_PT0_S6_jNS_24const_host_device_scalarIT4_EEPKS4_PKS5_PKT1_PKT2_S9_PT3_21rocsparse_index_base_b.num_agpr, 0
	.set _ZN9rocsparseL28csrmvn_lrb_short_rows_kernelIli21rocsparse_complex_numIfES1_IdES3_S3_EEvbT_PT0_S6_jNS_24const_host_device_scalarIT4_EEPKS4_PKS5_PKT1_PKT2_S9_PT3_21rocsparse_index_base_b.numbered_sgpr, 23
	.set _ZN9rocsparseL28csrmvn_lrb_short_rows_kernelIli21rocsparse_complex_numIfES1_IdES3_S3_EEvbT_PT0_S6_jNS_24const_host_device_scalarIT4_EEPKS4_PKS5_PKT1_PKT2_S9_PT3_21rocsparse_index_base_b.num_named_barrier, 0
	.set _ZN9rocsparseL28csrmvn_lrb_short_rows_kernelIli21rocsparse_complex_numIfES1_IdES3_S3_EEvbT_PT0_S6_jNS_24const_host_device_scalarIT4_EEPKS4_PKS5_PKT1_PKT2_S9_PT3_21rocsparse_index_base_b.private_seg_size, 0
	.set _ZN9rocsparseL28csrmvn_lrb_short_rows_kernelIli21rocsparse_complex_numIfES1_IdES3_S3_EEvbT_PT0_S6_jNS_24const_host_device_scalarIT4_EEPKS4_PKS5_PKT1_PKT2_S9_PT3_21rocsparse_index_base_b.uses_vcc, 1
	.set _ZN9rocsparseL28csrmvn_lrb_short_rows_kernelIli21rocsparse_complex_numIfES1_IdES3_S3_EEvbT_PT0_S6_jNS_24const_host_device_scalarIT4_EEPKS4_PKS5_PKT1_PKT2_S9_PT3_21rocsparse_index_base_b.uses_flat_scratch, 0
	.set _ZN9rocsparseL28csrmvn_lrb_short_rows_kernelIli21rocsparse_complex_numIfES1_IdES3_S3_EEvbT_PT0_S6_jNS_24const_host_device_scalarIT4_EEPKS4_PKS5_PKT1_PKT2_S9_PT3_21rocsparse_index_base_b.has_dyn_sized_stack, 0
	.set _ZN9rocsparseL28csrmvn_lrb_short_rows_kernelIli21rocsparse_complex_numIfES1_IdES3_S3_EEvbT_PT0_S6_jNS_24const_host_device_scalarIT4_EEPKS4_PKS5_PKT1_PKT2_S9_PT3_21rocsparse_index_base_b.has_recursion, 0
	.set _ZN9rocsparseL28csrmvn_lrb_short_rows_kernelIli21rocsparse_complex_numIfES1_IdES3_S3_EEvbT_PT0_S6_jNS_24const_host_device_scalarIT4_EEPKS4_PKS5_PKT1_PKT2_S9_PT3_21rocsparse_index_base_b.has_indirect_call, 0
	.section	.AMDGPU.csdata,"",@progbits
; Kernel info:
; codeLenInByte = 948
; TotalNumSgprs: 25
; NumVgprs: 26
; ScratchSize: 0
; MemoryBound: 0
; FloatMode: 240
; IeeeMode: 1
; LDSByteSize: 0 bytes/workgroup (compile time only)
; SGPRBlocks: 0
; VGPRBlocks: 1
; NumSGPRsForWavesPerEU: 25
; NumVGPRsForWavesPerEU: 26
; NamedBarCnt: 0
; Occupancy: 16
; WaveLimiterHint : 1
; COMPUTE_PGM_RSRC2:SCRATCH_EN: 0
; COMPUTE_PGM_RSRC2:USER_SGPR: 2
; COMPUTE_PGM_RSRC2:TRAP_HANDLER: 0
; COMPUTE_PGM_RSRC2:TGID_X_EN: 1
; COMPUTE_PGM_RSRC2:TGID_Y_EN: 0
; COMPUTE_PGM_RSRC2:TGID_Z_EN: 0
; COMPUTE_PGM_RSRC2:TIDIG_COMP_CNT: 0
	.section	.text._ZN9rocsparseL30csrmvn_lrb_short_rows_2_kernelIli21rocsparse_complex_numIfES1_IdES3_S3_EEvbT_PT0_S6_jNS_24const_host_device_scalarIT4_EEPKS4_PKS5_PKT1_PKT2_S9_PT3_21rocsparse_index_base_b,"axG",@progbits,_ZN9rocsparseL30csrmvn_lrb_short_rows_2_kernelIli21rocsparse_complex_numIfES1_IdES3_S3_EEvbT_PT0_S6_jNS_24const_host_device_scalarIT4_EEPKS4_PKS5_PKT1_PKT2_S9_PT3_21rocsparse_index_base_b,comdat
	.globl	_ZN9rocsparseL30csrmvn_lrb_short_rows_2_kernelIli21rocsparse_complex_numIfES1_IdES3_S3_EEvbT_PT0_S6_jNS_24const_host_device_scalarIT4_EEPKS4_PKS5_PKT1_PKT2_S9_PT3_21rocsparse_index_base_b ; -- Begin function _ZN9rocsparseL30csrmvn_lrb_short_rows_2_kernelIli21rocsparse_complex_numIfES1_IdES3_S3_EEvbT_PT0_S6_jNS_24const_host_device_scalarIT4_EEPKS4_PKS5_PKT1_PKT2_S9_PT3_21rocsparse_index_base_b
	.p2align	8
	.type	_ZN9rocsparseL30csrmvn_lrb_short_rows_2_kernelIli21rocsparse_complex_numIfES1_IdES3_S3_EEvbT_PT0_S6_jNS_24const_host_device_scalarIT4_EEPKS4_PKS5_PKT1_PKT2_S9_PT3_21rocsparse_index_base_b,@function
_ZN9rocsparseL30csrmvn_lrb_short_rows_2_kernelIli21rocsparse_complex_numIfES1_IdES3_S3_EEvbT_PT0_S6_jNS_24const_host_device_scalarIT4_EEPKS4_PKS5_PKT1_PKT2_S9_PT3_21rocsparse_index_base_b: ; @_ZN9rocsparseL30csrmvn_lrb_short_rows_2_kernelIli21rocsparse_complex_numIfES1_IdES3_S3_EEvbT_PT0_S6_jNS_24const_host_device_scalarIT4_EEPKS4_PKS5_PKT1_PKT2_S9_PT3_21rocsparse_index_base_b
; %bb.0:
	s_clause 0x1
	s_load_b64 s[16:17], s[0:1], 0x70
	s_load_b64 s[2:3], s[0:1], 0x28
	v_mov_b32_e32 v1, 0
	s_add_nc_u64 s[4:5], s[0:1], 40
	s_load_b64 s[6:7], s[0:1], 0x58
	s_wait_kmcnt 0x0
	s_bitcmp1_b32 s17, 0
	s_cselect_b32 s3, s5, s3
	s_cselect_b32 s2, s4, s2
	flat_load_b128 v[6:9], v1, s[2:3]
	s_wait_xcnt 0x0
	s_add_nc_u64 s[2:3], s[0:1], 0x58
	s_delay_alu instid0(SALU_CYCLE_1)
	s_cselect_b32 s3, s3, s7
	s_cselect_b32 s2, s2, s6
	flat_load_b128 v[2:5], v1, s[2:3]
	s_wait_loadcnt_dscnt 0x101
	v_cmp_eq_f64_e32 vcc_lo, 0, v[6:7]
	s_wait_xcnt 0x0
	v_cmp_eq_f64_e64 s2, 0, v[8:9]
	s_and_b32 s4, vcc_lo, s2
	s_mov_b32 s2, -1
	s_and_saveexec_b32 s3, s4
	s_cbranch_execz .LBB213_2
; %bb.1:
	s_wait_loadcnt_dscnt 0x0
	v_cmp_neq_f64_e32 vcc_lo, 1.0, v[2:3]
	v_cmp_neq_f64_e64 s2, 0, v[4:5]
	s_or_b32 s2, vcc_lo, s2
	s_delay_alu instid0(SALU_CYCLE_1)
	s_or_not1_b32 s2, s2, exec_lo
.LBB213_2:
	s_or_b32 exec_lo, exec_lo, s3
	s_and_saveexec_b32 s3, s2
	s_cbranch_execz .LBB213_28
; %bb.3:
	s_clause 0x2
	s_load_b32 s18, s[0:1], 0x20
	s_load_b32 s2, s[0:1], 0x0
	s_load_b128 s[12:15], s[0:1], 0x10
	s_wait_kmcnt 0x0
	v_dual_mov_b32 v19, 0 :: v_dual_lshrrev_b32 v1, s18, v0
	s_bitcmp1_b32 s2, 0
	v_bfe_u32 v18, v0, 0, s18
	s_cselect_b32 s21, -1, 0
	s_add_co_i32 s2, s18, 1
	s_clause 0x1
	s_load_b32 s19, s[14:15], s18 offset:0x0 scale_offset
	s_load_b32 s3, s[14:15], s2 offset:0x0 scale_offset
	s_load_b256 s[4:11], s[0:1], 0x38
	s_wait_xcnt 0x0
	s_bfe_u32 s2, ttmp6, 0x4000c
	s_and_b32 s17, ttmp6, 15
	s_add_co_i32 s2, s2, 1
	s_getreg_b32 s15, hwreg(HW_REG_IB_STS2, 6, 4)
	s_mul_i32 s2, ttmp9, s2
	s_lshr_b32 s14, 0x400, s18
	s_add_co_i32 s17, s17, s2
	s_wait_kmcnt 0x0
	s_sub_co_i32 s2, s3, s19
	s_cmp_eq_u32 s15, 0
	s_cselect_b32 s3, ttmp9, s17
	s_mov_b32 s17, 0
	s_mul_i32 s15, s14, s3
	s_delay_alu instid0(SALU_CYCLE_1) | instskip(SKIP_1) | instid1(SALU_CYCLE_1)
	v_add_nc_u32_e32 v1, s15, v1
	s_add_co_i32 s3, s15, s14
	s_min_u32 s20, s2, s3
	s_mov_b32 s2, exec_lo
	s_delay_alu instid0(VALU_DEP_1)
	v_cmpx_gt_u32_e64 s20, v1
	s_cbranch_execz .LBB213_7
; %bb.4:
	v_add_nc_u32_e32 v1, s19, v1
	global_load_b32 v10, v1, s[12:13] scale_offset
	s_wait_loadcnt 0x0
	v_ashrrev_i32_e32 v11, 31, v10
	s_delay_alu instid0(VALU_DEP_1)
	v_lshl_add_u64 v[10:11], v[10:11], 3, s[4:5]
	global_load_b128 v[14:17], v[10:11], off
	s_wait_xcnt 0x0
	v_mov_b64_e32 v[10:11], 0
	s_wait_loadcnt 0x0
	v_sub_nc_u64_e32 v[12:13], v[16:17], v[14:15]
	s_delay_alu instid0(VALU_DEP_1)
	v_cmp_gt_i64_e32 vcc_lo, v[12:13], v[18:19]
	v_mov_b64_e32 v[12:13], 0
	s_and_saveexec_b32 s3, vcc_lo
	s_cbranch_execz .LBB213_6
; %bb.5:
	v_sub_nc_u64_e64 v[10:11], v[14:15], s[16:17]
	s_delay_alu instid0(VALU_DEP_1) | instskip(NEXT) | instid1(VALU_DEP_1)
	v_add_nc_u64_e32 v[10:11], v[10:11], v[18:19]
	v_lshl_add_u64 v[12:13], v[10:11], 2, s[6:7]
	v_lshl_add_u64 v[10:11], v[10:11], 3, s[8:9]
	global_load_b32 v1, v[12:13], off
	global_load_b64 v[10:11], v[10:11], off
	s_wait_loadcnt 0x1
	v_subrev_nc_u32_e32 v1, s16, v1
	global_load_b128 v[14:17], v1, s[10:11] scale_offset
	s_wait_loadcnt 0x1
	s_wait_xcnt 0x0
	v_cndmask_b32_e64 v1, v11, -v11, s21
	v_cvt_f64_f32_e32 v[10:11], v10
	s_delay_alu instid0(VALU_DEP_2) | instskip(NEXT) | instid1(VALU_DEP_1)
	v_cvt_f64_f32_e32 v[12:13], v1
	v_mul_f64_e32 v[20:21], v[6:7], v[12:13]
	v_mul_f64_e64 v[22:23], -v[8:9], v[12:13]
	s_delay_alu instid0(VALU_DEP_2) | instskip(NEXT) | instid1(VALU_DEP_2)
	v_fmac_f64_e32 v[20:21], v[8:9], v[10:11]
	v_fmac_f64_e32 v[22:23], v[6:7], v[10:11]
	s_wait_loadcnt 0x0
	s_delay_alu instid0(VALU_DEP_2) | instskip(NEXT) | instid1(VALU_DEP_2)
	v_mul_f64_e64 v[10:11], v[16:17], -v[20:21]
	v_mul_f64_e32 v[12:13], v[16:17], v[22:23]
	s_delay_alu instid0(VALU_DEP_2) | instskip(NEXT) | instid1(VALU_DEP_2)
	v_fmac_f64_e32 v[10:11], v[22:23], v[14:15]
	v_fmac_f64_e32 v[12:13], v[20:21], v[14:15]
.LBB213_6:
	s_or_b32 exec_lo, exec_lo, s3
	v_lshlrev_b32_e32 v1, 4, v0
	ds_store_b128 v1, v[10:13]
.LBB213_7:
	s_or_b32 exec_lo, exec_lo, s2
	s_load_b64 s[2:3], s[0:1], 0x68
	v_or_b32_e32 v1, 0x100, v0
	s_wait_xcnt 0x0
	s_mov_b32 s0, exec_lo
	s_delay_alu instid0(VALU_DEP_1) | instskip(NEXT) | instid1(VALU_DEP_1)
	v_lshrrev_b32_e32 v1, s18, v1
	v_add_nc_u32_e32 v1, s15, v1
	s_delay_alu instid0(VALU_DEP_1)
	v_cmpx_gt_u32_e64 s20, v1
	s_cbranch_execz .LBB213_11
; %bb.8:
	v_add_nc_u32_e32 v1, s19, v1
	global_load_b32 v10, v1, s[12:13] scale_offset
	s_wait_loadcnt 0x0
	v_ashrrev_i32_e32 v11, 31, v10
	s_delay_alu instid0(VALU_DEP_1)
	v_lshl_add_u64 v[10:11], v[10:11], 3, s[4:5]
	global_load_b128 v[14:17], v[10:11], off
	s_wait_xcnt 0x0
	v_mov_b64_e32 v[10:11], 0
	s_wait_loadcnt 0x0
	v_sub_nc_u64_e32 v[12:13], v[16:17], v[14:15]
	s_delay_alu instid0(VALU_DEP_1)
	v_cmp_gt_i64_e32 vcc_lo, v[12:13], v[18:19]
	v_mov_b64_e32 v[12:13], 0
	s_and_saveexec_b32 s1, vcc_lo
	s_cbranch_execz .LBB213_10
; %bb.9:
	v_sub_nc_u64_e64 v[10:11], v[14:15], s[16:17]
	s_delay_alu instid0(VALU_DEP_1) | instskip(NEXT) | instid1(VALU_DEP_1)
	v_add_nc_u64_e32 v[10:11], v[10:11], v[18:19]
	v_lshl_add_u64 v[12:13], v[10:11], 2, s[6:7]
	v_lshl_add_u64 v[10:11], v[10:11], 3, s[8:9]
	global_load_b32 v1, v[12:13], off
	global_load_b64 v[10:11], v[10:11], off
	s_wait_loadcnt 0x1
	v_subrev_nc_u32_e32 v1, s16, v1
	global_load_b128 v[14:17], v1, s[10:11] scale_offset
	s_wait_loadcnt 0x1
	s_wait_xcnt 0x0
	v_cndmask_b32_e64 v1, v11, -v11, s21
	v_cvt_f64_f32_e32 v[10:11], v10
	s_delay_alu instid0(VALU_DEP_2) | instskip(NEXT) | instid1(VALU_DEP_1)
	v_cvt_f64_f32_e32 v[12:13], v1
	v_mul_f64_e32 v[20:21], v[6:7], v[12:13]
	v_mul_f64_e64 v[22:23], -v[8:9], v[12:13]
	s_delay_alu instid0(VALU_DEP_2) | instskip(NEXT) | instid1(VALU_DEP_2)
	v_fmac_f64_e32 v[20:21], v[8:9], v[10:11]
	v_fmac_f64_e32 v[22:23], v[6:7], v[10:11]
	s_wait_loadcnt 0x0
	s_delay_alu instid0(VALU_DEP_2) | instskip(NEXT) | instid1(VALU_DEP_2)
	v_mul_f64_e64 v[10:11], v[16:17], -v[20:21]
	v_mul_f64_e32 v[12:13], v[16:17], v[22:23]
	s_delay_alu instid0(VALU_DEP_2) | instskip(NEXT) | instid1(VALU_DEP_2)
	v_fmac_f64_e32 v[10:11], v[22:23], v[14:15]
	v_fmac_f64_e32 v[12:13], v[20:21], v[14:15]
.LBB213_10:
	s_or_b32 exec_lo, exec_lo, s1
	v_lshlrev_b32_e32 v1, 4, v0
	ds_store_b128 v1, v[10:13] offset:4096
.LBB213_11:
	s_or_b32 exec_lo, exec_lo, s0
	v_or_b32_e32 v1, 0x200, v0
	s_mov_b32 s0, exec_lo
	s_delay_alu instid0(VALU_DEP_1) | instskip(NEXT) | instid1(VALU_DEP_1)
	v_lshrrev_b32_e32 v1, s18, v1
	v_add_nc_u32_e32 v1, s15, v1
	s_delay_alu instid0(VALU_DEP_1)
	v_cmpx_gt_u32_e64 s20, v1
	s_cbranch_execz .LBB213_15
; %bb.12:
	v_add_nc_u32_e32 v1, s19, v1
	global_load_b32 v10, v1, s[12:13] scale_offset
	s_wait_loadcnt 0x0
	v_ashrrev_i32_e32 v11, 31, v10
	s_delay_alu instid0(VALU_DEP_1)
	v_lshl_add_u64 v[10:11], v[10:11], 3, s[4:5]
	global_load_b128 v[14:17], v[10:11], off
	s_wait_xcnt 0x0
	v_mov_b64_e32 v[10:11], 0
	s_wait_loadcnt 0x0
	v_sub_nc_u64_e32 v[12:13], v[16:17], v[14:15]
	s_delay_alu instid0(VALU_DEP_1)
	v_cmp_gt_i64_e32 vcc_lo, v[12:13], v[18:19]
	v_mov_b64_e32 v[12:13], 0
	s_and_saveexec_b32 s1, vcc_lo
	s_cbranch_execz .LBB213_14
; %bb.13:
	v_sub_nc_u64_e64 v[10:11], v[14:15], s[16:17]
	s_delay_alu instid0(VALU_DEP_1) | instskip(NEXT) | instid1(VALU_DEP_1)
	v_add_nc_u64_e32 v[10:11], v[10:11], v[18:19]
	v_lshl_add_u64 v[12:13], v[10:11], 2, s[6:7]
	v_lshl_add_u64 v[10:11], v[10:11], 3, s[8:9]
	global_load_b32 v1, v[12:13], off
	global_load_b64 v[10:11], v[10:11], off
	s_wait_loadcnt 0x1
	v_subrev_nc_u32_e32 v1, s16, v1
	global_load_b128 v[14:17], v1, s[10:11] scale_offset
	s_wait_loadcnt 0x1
	s_wait_xcnt 0x0
	v_cndmask_b32_e64 v1, v11, -v11, s21
	v_cvt_f64_f32_e32 v[10:11], v10
	s_delay_alu instid0(VALU_DEP_2) | instskip(NEXT) | instid1(VALU_DEP_1)
	v_cvt_f64_f32_e32 v[12:13], v1
	v_mul_f64_e32 v[20:21], v[6:7], v[12:13]
	v_mul_f64_e64 v[22:23], -v[8:9], v[12:13]
	s_delay_alu instid0(VALU_DEP_2) | instskip(NEXT) | instid1(VALU_DEP_2)
	v_fmac_f64_e32 v[20:21], v[8:9], v[10:11]
	v_fmac_f64_e32 v[22:23], v[6:7], v[10:11]
	s_wait_loadcnt 0x0
	s_delay_alu instid0(VALU_DEP_2) | instskip(NEXT) | instid1(VALU_DEP_2)
	v_mul_f64_e64 v[10:11], v[16:17], -v[20:21]
	v_mul_f64_e32 v[12:13], v[16:17], v[22:23]
	s_delay_alu instid0(VALU_DEP_2) | instskip(NEXT) | instid1(VALU_DEP_2)
	v_fmac_f64_e32 v[10:11], v[22:23], v[14:15]
	v_fmac_f64_e32 v[12:13], v[20:21], v[14:15]
.LBB213_14:
	s_or_b32 exec_lo, exec_lo, s1
	v_lshlrev_b32_e32 v1, 4, v0
	ds_store_b128 v1, v[10:13] offset:8192
.LBB213_15:
	s_or_b32 exec_lo, exec_lo, s0
	v_or_b32_e32 v1, 0x300, v0
	s_mov_b32 s0, exec_lo
	s_delay_alu instid0(VALU_DEP_1) | instskip(NEXT) | instid1(VALU_DEP_1)
	v_lshrrev_b32_e32 v1, s18, v1
	v_add_nc_u32_e32 v1, s15, v1
	s_delay_alu instid0(VALU_DEP_1)
	v_cmpx_gt_u32_e64 s20, v1
	s_cbranch_execz .LBB213_19
; %bb.16:
	v_add_nc_u32_e32 v1, s19, v1
	global_load_b32 v10, v1, s[12:13] scale_offset
	s_wait_loadcnt 0x0
	v_ashrrev_i32_e32 v11, 31, v10
	s_delay_alu instid0(VALU_DEP_1)
	v_lshl_add_u64 v[10:11], v[10:11], 3, s[4:5]
	global_load_b128 v[14:17], v[10:11], off
	s_wait_xcnt 0x0
	v_mov_b64_e32 v[10:11], 0
	s_wait_loadcnt 0x0
	v_sub_nc_u64_e32 v[12:13], v[16:17], v[14:15]
	s_delay_alu instid0(VALU_DEP_1)
	v_cmp_gt_i64_e32 vcc_lo, v[12:13], v[18:19]
	v_mov_b64_e32 v[12:13], 0
	s_and_saveexec_b32 s1, vcc_lo
	s_cbranch_execz .LBB213_18
; %bb.17:
	v_sub_nc_u64_e64 v[10:11], v[14:15], s[16:17]
	s_delay_alu instid0(VALU_DEP_1) | instskip(NEXT) | instid1(VALU_DEP_1)
	v_add_nc_u64_e32 v[10:11], v[10:11], v[18:19]
	v_lshl_add_u64 v[12:13], v[10:11], 2, s[6:7]
	v_lshl_add_u64 v[10:11], v[10:11], 3, s[8:9]
	global_load_b32 v1, v[12:13], off
	global_load_b64 v[10:11], v[10:11], off
	s_wait_loadcnt 0x1
	v_subrev_nc_u32_e32 v1, s16, v1
	global_load_b128 v[14:17], v1, s[10:11] scale_offset
	s_wait_loadcnt 0x1
	s_wait_xcnt 0x0
	v_cndmask_b32_e64 v1, v11, -v11, s21
	v_cvt_f64_f32_e32 v[10:11], v10
	s_delay_alu instid0(VALU_DEP_2) | instskip(NEXT) | instid1(VALU_DEP_1)
	v_cvt_f64_f32_e32 v[12:13], v1
	v_mul_f64_e32 v[18:19], v[6:7], v[12:13]
	v_mul_f64_e64 v[20:21], -v[8:9], v[12:13]
	s_delay_alu instid0(VALU_DEP_2) | instskip(NEXT) | instid1(VALU_DEP_2)
	v_fmac_f64_e32 v[18:19], v[8:9], v[10:11]
	v_fmac_f64_e32 v[20:21], v[6:7], v[10:11]
	s_wait_loadcnt 0x0
	s_delay_alu instid0(VALU_DEP_2) | instskip(NEXT) | instid1(VALU_DEP_2)
	v_mul_f64_e64 v[10:11], v[16:17], -v[18:19]
	v_mul_f64_e32 v[12:13], v[16:17], v[20:21]
	s_delay_alu instid0(VALU_DEP_2) | instskip(NEXT) | instid1(VALU_DEP_2)
	v_fmac_f64_e32 v[10:11], v[20:21], v[14:15]
	v_fmac_f64_e32 v[12:13], v[18:19], v[14:15]
.LBB213_18:
	s_or_b32 exec_lo, exec_lo, s1
	v_lshlrev_b32_e32 v1, 4, v0
	ds_store_b128 v1, v[10:13] offset:12288
.LBB213_19:
	s_or_b32 exec_lo, exec_lo, s0
	s_cmp_lt_u32 s18, 11
	s_wait_loadcnt_dscnt 0x0
	s_barrier_signal -1
	s_barrier_wait -1
	s_cbranch_scc0 .LBB213_28
; %bb.20:
	v_cmp_neq_f64_e32 vcc_lo, 0, v[2:3]
	v_cmp_neq_f64_e64 s0, 0, v[4:5]
	s_sub_co_i32 s1, s20, s15
	s_add_co_i32 s19, s19, s15
	s_mov_b32 s4, 0
	s_or_b32 s0, vcc_lo, s0
	s_branch .LBB213_23
.LBB213_21:                             ;   in Loop: Header=BB213_23 Depth=1
	s_wait_xcnt 0x0
	s_or_b32 exec_lo, exec_lo, s6
	global_store_b128 v[10:11], v[6:9], off
.LBB213_22:                             ;   in Loop: Header=BB213_23 Depth=1
	s_wait_xcnt 0x0
	s_or_b32 exec_lo, exec_lo, s5
	s_addk_co_i32 s4, 0x100
	s_delay_alu instid0(SALU_CYCLE_1)
	s_cmp_lt_u32 s4, s14
	s_cbranch_scc0 .LBB213_28
.LBB213_23:                             ; =>This Loop Header: Depth=1
                                        ;     Child Loop BB213_25 Depth 2
	v_add_nc_u32_e32 v1, s4, v0
	s_mov_b32 s5, exec_lo
	s_delay_alu instid0(VALU_DEP_1)
	v_cmpx_gt_u32_e64 s1, v1
	s_cbranch_execz .LBB213_22
; %bb.24:                               ;   in Loop: Header=BB213_23 Depth=1
	v_dual_add_nc_u32 v6, s19, v1 :: v_dual_lshlrev_b32 v1, s18, v1
	v_mov_b64_e32 v[8:9], 0
	s_mov_b32 s6, 1
	global_load_b32 v10, v6, s[12:13] scale_offset
	v_lshlrev_b32_e32 v1, 4, v1
	s_wait_xcnt 0x0
	v_mov_b64_e32 v[6:7], v[8:9]
.LBB213_25:                             ;   Parent Loop BB213_23 Depth=1
                                        ; =>  This Inner Loop Header: Depth=2
	ds_load_b128 v[12:15], v1
	s_lshr_b32 s7, s6, s18
	s_add_co_i32 s6, s6, 1
	s_cmp_lg_u32 s7, 0
	s_wait_dscnt 0x0
	v_dual_add_f64 v[8:9], v[8:9], v[14:15] :: v_dual_add_nc_u32 v1, 16, v1
	v_add_f64_e32 v[6:7], v[6:7], v[12:13]
	s_cbranch_scc0 .LBB213_25
; %bb.26:                               ;   in Loop: Header=BB213_23 Depth=1
	s_wait_loadcnt 0x0
	v_ashrrev_i32_e32 v11, 31, v10
	s_wait_kmcnt 0x0
	s_delay_alu instid0(VALU_DEP_1)
	v_lshl_add_u64 v[10:11], v[10:11], 4, s[2:3]
	s_and_saveexec_b32 s6, s0
	s_cbranch_execz .LBB213_21
; %bb.27:                               ;   in Loop: Header=BB213_23 Depth=1
	global_load_b128 v[12:15], v[10:11], off
	s_wait_loadcnt 0x0
	v_fmac_f64_e32 v[6:7], v[2:3], v[12:13]
	v_fmac_f64_e32 v[8:9], v[4:5], v[12:13]
	s_delay_alu instid0(VALU_DEP_2) | instskip(NEXT) | instid1(VALU_DEP_2)
	v_fma_f64 v[6:7], -v[4:5], v[14:15], v[6:7]
	v_fmac_f64_e32 v[8:9], v[2:3], v[14:15]
	s_branch .LBB213_21
.LBB213_28:
	s_endpgm
	.section	.rodata,"a",@progbits
	.p2align	6, 0x0
	.amdhsa_kernel _ZN9rocsparseL30csrmvn_lrb_short_rows_2_kernelIli21rocsparse_complex_numIfES1_IdES3_S3_EEvbT_PT0_S6_jNS_24const_host_device_scalarIT4_EEPKS4_PKS5_PKT1_PKT2_S9_PT3_21rocsparse_index_base_b
		.amdhsa_group_segment_fixed_size 16384
		.amdhsa_private_segment_fixed_size 0
		.amdhsa_kernarg_size 120
		.amdhsa_user_sgpr_count 2
		.amdhsa_user_sgpr_dispatch_ptr 0
		.amdhsa_user_sgpr_queue_ptr 0
		.amdhsa_user_sgpr_kernarg_segment_ptr 1
		.amdhsa_user_sgpr_dispatch_id 0
		.amdhsa_user_sgpr_kernarg_preload_length 0
		.amdhsa_user_sgpr_kernarg_preload_offset 0
		.amdhsa_user_sgpr_private_segment_size 0
		.amdhsa_wavefront_size32 1
		.amdhsa_uses_dynamic_stack 0
		.amdhsa_enable_private_segment 0
		.amdhsa_system_sgpr_workgroup_id_x 1
		.amdhsa_system_sgpr_workgroup_id_y 0
		.amdhsa_system_sgpr_workgroup_id_z 0
		.amdhsa_system_sgpr_workgroup_info 0
		.amdhsa_system_vgpr_workitem_id 0
		.amdhsa_next_free_vgpr 24
		.amdhsa_next_free_sgpr 22
		.amdhsa_named_barrier_count 0
		.amdhsa_reserve_vcc 1
		.amdhsa_float_round_mode_32 0
		.amdhsa_float_round_mode_16_64 0
		.amdhsa_float_denorm_mode_32 3
		.amdhsa_float_denorm_mode_16_64 3
		.amdhsa_fp16_overflow 0
		.amdhsa_memory_ordered 1
		.amdhsa_forward_progress 1
		.amdhsa_inst_pref_size 15
		.amdhsa_round_robin_scheduling 0
		.amdhsa_exception_fp_ieee_invalid_op 0
		.amdhsa_exception_fp_denorm_src 0
		.amdhsa_exception_fp_ieee_div_zero 0
		.amdhsa_exception_fp_ieee_overflow 0
		.amdhsa_exception_fp_ieee_underflow 0
		.amdhsa_exception_fp_ieee_inexact 0
		.amdhsa_exception_int_div_zero 0
	.end_amdhsa_kernel
	.section	.text._ZN9rocsparseL30csrmvn_lrb_short_rows_2_kernelIli21rocsparse_complex_numIfES1_IdES3_S3_EEvbT_PT0_S6_jNS_24const_host_device_scalarIT4_EEPKS4_PKS5_PKT1_PKT2_S9_PT3_21rocsparse_index_base_b,"axG",@progbits,_ZN9rocsparseL30csrmvn_lrb_short_rows_2_kernelIli21rocsparse_complex_numIfES1_IdES3_S3_EEvbT_PT0_S6_jNS_24const_host_device_scalarIT4_EEPKS4_PKS5_PKT1_PKT2_S9_PT3_21rocsparse_index_base_b,comdat
.Lfunc_end213:
	.size	_ZN9rocsparseL30csrmvn_lrb_short_rows_2_kernelIli21rocsparse_complex_numIfES1_IdES3_S3_EEvbT_PT0_S6_jNS_24const_host_device_scalarIT4_EEPKS4_PKS5_PKT1_PKT2_S9_PT3_21rocsparse_index_base_b, .Lfunc_end213-_ZN9rocsparseL30csrmvn_lrb_short_rows_2_kernelIli21rocsparse_complex_numIfES1_IdES3_S3_EEvbT_PT0_S6_jNS_24const_host_device_scalarIT4_EEPKS4_PKS5_PKT1_PKT2_S9_PT3_21rocsparse_index_base_b
                                        ; -- End function
	.set _ZN9rocsparseL30csrmvn_lrb_short_rows_2_kernelIli21rocsparse_complex_numIfES1_IdES3_S3_EEvbT_PT0_S6_jNS_24const_host_device_scalarIT4_EEPKS4_PKS5_PKT1_PKT2_S9_PT3_21rocsparse_index_base_b.num_vgpr, 24
	.set _ZN9rocsparseL30csrmvn_lrb_short_rows_2_kernelIli21rocsparse_complex_numIfES1_IdES3_S3_EEvbT_PT0_S6_jNS_24const_host_device_scalarIT4_EEPKS4_PKS5_PKT1_PKT2_S9_PT3_21rocsparse_index_base_b.num_agpr, 0
	.set _ZN9rocsparseL30csrmvn_lrb_short_rows_2_kernelIli21rocsparse_complex_numIfES1_IdES3_S3_EEvbT_PT0_S6_jNS_24const_host_device_scalarIT4_EEPKS4_PKS5_PKT1_PKT2_S9_PT3_21rocsparse_index_base_b.numbered_sgpr, 22
	.set _ZN9rocsparseL30csrmvn_lrb_short_rows_2_kernelIli21rocsparse_complex_numIfES1_IdES3_S3_EEvbT_PT0_S6_jNS_24const_host_device_scalarIT4_EEPKS4_PKS5_PKT1_PKT2_S9_PT3_21rocsparse_index_base_b.num_named_barrier, 0
	.set _ZN9rocsparseL30csrmvn_lrb_short_rows_2_kernelIli21rocsparse_complex_numIfES1_IdES3_S3_EEvbT_PT0_S6_jNS_24const_host_device_scalarIT4_EEPKS4_PKS5_PKT1_PKT2_S9_PT3_21rocsparse_index_base_b.private_seg_size, 0
	.set _ZN9rocsparseL30csrmvn_lrb_short_rows_2_kernelIli21rocsparse_complex_numIfES1_IdES3_S3_EEvbT_PT0_S6_jNS_24const_host_device_scalarIT4_EEPKS4_PKS5_PKT1_PKT2_S9_PT3_21rocsparse_index_base_b.uses_vcc, 1
	.set _ZN9rocsparseL30csrmvn_lrb_short_rows_2_kernelIli21rocsparse_complex_numIfES1_IdES3_S3_EEvbT_PT0_S6_jNS_24const_host_device_scalarIT4_EEPKS4_PKS5_PKT1_PKT2_S9_PT3_21rocsparse_index_base_b.uses_flat_scratch, 0
	.set _ZN9rocsparseL30csrmvn_lrb_short_rows_2_kernelIli21rocsparse_complex_numIfES1_IdES3_S3_EEvbT_PT0_S6_jNS_24const_host_device_scalarIT4_EEPKS4_PKS5_PKT1_PKT2_S9_PT3_21rocsparse_index_base_b.has_dyn_sized_stack, 0
	.set _ZN9rocsparseL30csrmvn_lrb_short_rows_2_kernelIli21rocsparse_complex_numIfES1_IdES3_S3_EEvbT_PT0_S6_jNS_24const_host_device_scalarIT4_EEPKS4_PKS5_PKT1_PKT2_S9_PT3_21rocsparse_index_base_b.has_recursion, 0
	.set _ZN9rocsparseL30csrmvn_lrb_short_rows_2_kernelIli21rocsparse_complex_numIfES1_IdES3_S3_EEvbT_PT0_S6_jNS_24const_host_device_scalarIT4_EEPKS4_PKS5_PKT1_PKT2_S9_PT3_21rocsparse_index_base_b.has_indirect_call, 0
	.section	.AMDGPU.csdata,"",@progbits
; Kernel info:
; codeLenInByte = 1844
; TotalNumSgprs: 24
; NumVgprs: 24
; ScratchSize: 0
; MemoryBound: 0
; FloatMode: 240
; IeeeMode: 1
; LDSByteSize: 16384 bytes/workgroup (compile time only)
; SGPRBlocks: 0
; VGPRBlocks: 1
; NumSGPRsForWavesPerEU: 24
; NumVGPRsForWavesPerEU: 24
; NamedBarCnt: 0
; Occupancy: 16
; WaveLimiterHint : 1
; COMPUTE_PGM_RSRC2:SCRATCH_EN: 0
; COMPUTE_PGM_RSRC2:USER_SGPR: 2
; COMPUTE_PGM_RSRC2:TRAP_HANDLER: 0
; COMPUTE_PGM_RSRC2:TGID_X_EN: 1
; COMPUTE_PGM_RSRC2:TGID_Y_EN: 0
; COMPUTE_PGM_RSRC2:TGID_Z_EN: 0
; COMPUTE_PGM_RSRC2:TIDIG_COMP_CNT: 0
	.section	.text._ZN9rocsparseL41csrmvn_lrb_medium_rows_warp_reduce_kernelILj256ELj32Eli21rocsparse_complex_numIfES1_IdES3_S3_EEvbT1_lPT2_S6_jNS_24const_host_device_scalarIT6_EEPKS4_PKS5_PKT3_PKT4_S9_PT5_21rocsparse_index_base_b,"axG",@progbits,_ZN9rocsparseL41csrmvn_lrb_medium_rows_warp_reduce_kernelILj256ELj32Eli21rocsparse_complex_numIfES1_IdES3_S3_EEvbT1_lPT2_S6_jNS_24const_host_device_scalarIT6_EEPKS4_PKS5_PKT3_PKT4_S9_PT5_21rocsparse_index_base_b,comdat
	.globl	_ZN9rocsparseL41csrmvn_lrb_medium_rows_warp_reduce_kernelILj256ELj32Eli21rocsparse_complex_numIfES1_IdES3_S3_EEvbT1_lPT2_S6_jNS_24const_host_device_scalarIT6_EEPKS4_PKS5_PKT3_PKT4_S9_PT5_21rocsparse_index_base_b ; -- Begin function _ZN9rocsparseL41csrmvn_lrb_medium_rows_warp_reduce_kernelILj256ELj32Eli21rocsparse_complex_numIfES1_IdES3_S3_EEvbT1_lPT2_S6_jNS_24const_host_device_scalarIT6_EEPKS4_PKS5_PKT3_PKT4_S9_PT5_21rocsparse_index_base_b
	.p2align	8
	.type	_ZN9rocsparseL41csrmvn_lrb_medium_rows_warp_reduce_kernelILj256ELj32Eli21rocsparse_complex_numIfES1_IdES3_S3_EEvbT1_lPT2_S6_jNS_24const_host_device_scalarIT6_EEPKS4_PKS5_PKT3_PKT4_S9_PT5_21rocsparse_index_base_b,@function
_ZN9rocsparseL41csrmvn_lrb_medium_rows_warp_reduce_kernelILj256ELj32Eli21rocsparse_complex_numIfES1_IdES3_S3_EEvbT1_lPT2_S6_jNS_24const_host_device_scalarIT6_EEPKS4_PKS5_PKT3_PKT4_S9_PT5_21rocsparse_index_base_b: ; @_ZN9rocsparseL41csrmvn_lrb_medium_rows_warp_reduce_kernelILj256ELj32Eli21rocsparse_complex_numIfES1_IdES3_S3_EEvbT1_lPT2_S6_jNS_24const_host_device_scalarIT6_EEPKS4_PKS5_PKT3_PKT4_S9_PT5_21rocsparse_index_base_b
; %bb.0:
	s_clause 0x1
	s_load_b64 s[4:5], s[0:1], 0x78
	s_load_b64 s[2:3], s[0:1], 0x30
	v_mov_b32_e32 v1, 0
	s_add_nc_u64 s[6:7], s[0:1], 48
	s_load_b64 s[8:9], s[0:1], 0x60
	s_wait_kmcnt 0x0
	s_bitcmp1_b32 s5, 0
	s_cselect_b32 s3, s7, s3
	s_cselect_b32 s2, s6, s2
	flat_load_b128 v[6:9], v1, s[2:3]
	s_wait_xcnt 0x0
	s_add_nc_u64 s[2:3], s[0:1], 0x60
	s_delay_alu instid0(SALU_CYCLE_1)
	s_cselect_b32 s3, s3, s9
	s_cselect_b32 s2, s2, s8
	flat_load_b128 v[2:5], v1, s[2:3]
	s_wait_loadcnt_dscnt 0x101
	v_cmp_eq_f64_e32 vcc_lo, 0, v[6:7]
	s_wait_xcnt 0x0
	v_cmp_eq_f64_e64 s2, 0, v[8:9]
	s_and_b32 s5, vcc_lo, s2
	s_mov_b32 s2, -1
	s_and_saveexec_b32 s3, s5
	s_cbranch_execz .LBB214_2
; %bb.1:
	s_wait_loadcnt_dscnt 0x0
	v_cmp_neq_f64_e32 vcc_lo, 1.0, v[2:3]
	v_cmp_neq_f64_e64 s2, 0, v[4:5]
	s_or_b32 s2, vcc_lo, s2
	s_delay_alu instid0(SALU_CYCLE_1)
	s_or_not1_b32 s2, s2, exec_lo
.LBB214_2:
	s_or_b32 exec_lo, exec_lo, s3
	s_and_saveexec_b32 s3, s2
	s_cbranch_execz .LBB214_12
; %bb.3:
	s_bfe_u32 s5, ttmp6, 0x4000c
	s_load_b64 s[2:3], s[0:1], 0x10
	s_add_co_i32 s5, s5, 1
	s_and_b32 s6, ttmp6, 15
	s_mul_i32 s5, ttmp9, s5
	s_getreg_b32 s7, hwreg(HW_REG_IB_STS2, 6, 4)
	v_lshrrev_b32_e32 v1, 5, v0
	s_add_co_i32 s6, s6, s5
	s_cmp_eq_u32 s7, 0
	s_cselect_b32 s5, ttmp9, s6
	s_delay_alu instid0(VALU_DEP_1) | instid1(SALU_CYCLE_1)
	v_lshl_or_b32 v10, s5, 3, v1
	s_mov_b32 s5, 0
	s_delay_alu instid0(VALU_DEP_1) | instskip(SKIP_1) | instid1(VALU_DEP_1)
	v_ashrrev_i32_e32 v11, 31, v10
	s_wait_kmcnt 0x0
	v_cmp_gt_i64_e32 vcc_lo, s[2:3], v[10:11]
	s_and_b32 exec_lo, exec_lo, vcc_lo
	s_cbranch_execz .LBB214_12
; %bb.4:
	s_clause 0x1
	s_load_b128 s[8:11], s[0:1], 0x18
	s_load_b32 s2, s[0:1], 0x28
	v_and_b32_e32 v0, 31, v0
	s_wait_kmcnt 0x0
	s_load_b32 s2, s[10:11], s2 offset:0x0 scale_offset
	s_wait_kmcnt 0x0
	v_add_nc_u32_e32 v1, s2, v10
	s_load_b64 s[2:3], s[0:1], 0x40
	global_load_b32 v10, v1, s[8:9] scale_offset
	s_wait_xcnt 0x0
	v_mov_b32_e32 v1, 0
	s_delay_alu instid0(VALU_DEP_1) | instskip(SKIP_3) | instid1(VALU_DEP_1)
	v_sub_nc_u64_e64 v[18:19], v[0:1], s[4:5]
	s_wait_loadcnt 0x0
	v_ashrrev_i32_e32 v11, 31, v10
	s_wait_kmcnt 0x0
	v_lshl_add_u64 v[12:13], v[10:11], 3, s[2:3]
	global_load_b128 v[12:15], v[12:13], off
	s_wait_loadcnt 0x0
	v_sub_nc_u64_e64 v[16:17], v[14:15], s[4:5]
	v_add_nc_u64_e32 v[18:19], v[12:13], v[18:19]
	v_mov_b64_e32 v[12:13], 0
	v_mov_b64_e32 v[14:15], 0
	s_mov_b32 s5, exec_lo
	s_delay_alu instid0(VALU_DEP_3)
	v_cmpx_lt_i64_e64 v[18:19], v[16:17]
	s_cbranch_execz .LBB214_8
; %bb.5:
	s_clause 0x2
	s_load_b128 s[8:11], s[0:1], 0x48
	s_load_b32 s6, s[0:1], 0x0
	s_load_b64 s[2:3], s[0:1], 0x58
	v_mov_b64_e32 v[12:13], 0
	s_wait_kmcnt 0x0
	v_lshl_add_u64 v[14:15], v[18:19], 3, s[10:11]
	v_lshl_add_u64 v[22:23], v[18:19], 2, s[8:9]
	s_bitcmp1_b32 s6, 0
	s_mov_b32 s6, 0
	s_cselect_b32 s7, -1, 0
	v_add_nc_u64_e32 v[20:21], 4, v[14:15]
	v_mov_b64_e32 v[14:15], 0
.LBB214_6:                              ; =>This Inner Loop Header: Depth=1
	global_load_b32 v1, v[22:23], off
	global_load_b64 v[28:29], v[20:21], off offset:-4
	v_add_nc_u64_e32 v[18:19], 32, v[18:19]
	s_wait_xcnt 0x0
	v_add_nc_u64_e32 v[20:21], 0x100, v[20:21]
	v_add_nc_u64_e32 v[22:23], 0x80, v[22:23]
	s_delay_alu instid0(VALU_DEP_3)
	v_cmp_ge_i64_e32 vcc_lo, v[18:19], v[16:17]
	s_or_b32 s6, vcc_lo, s6
	s_wait_loadcnt 0x1
	v_subrev_nc_u32_e32 v1, s4, v1
	global_load_b128 v[24:27], v1, s[2:3] scale_offset
	s_wait_loadcnt 0x1
	s_wait_xcnt 0x0
	v_cndmask_b32_e64 v1, v29, -v29, s7
	v_cvt_f64_f32_e32 v[28:29], v28
	s_delay_alu instid0(VALU_DEP_2) | instskip(NEXT) | instid1(VALU_DEP_1)
	v_cvt_f64_f32_e32 v[30:31], v1
	v_mul_f64_e64 v[32:33], -v[8:9], v[30:31]
	v_mul_f64_e32 v[30:31], v[6:7], v[30:31]
	s_delay_alu instid0(VALU_DEP_2) | instskip(NEXT) | instid1(VALU_DEP_2)
	v_fmac_f64_e32 v[32:33], v[6:7], v[28:29]
	v_fmac_f64_e32 v[30:31], v[8:9], v[28:29]
	s_wait_loadcnt 0x0
	s_delay_alu instid0(VALU_DEP_2) | instskip(NEXT) | instid1(VALU_DEP_2)
	v_fmac_f64_e32 v[14:15], v[32:33], v[24:25]
	v_fmac_f64_e32 v[12:13], v[30:31], v[24:25]
	s_delay_alu instid0(VALU_DEP_2) | instskip(NEXT) | instid1(VALU_DEP_2)
	v_fma_f64 v[14:15], -v[30:31], v[26:27], v[14:15]
	v_fmac_f64_e32 v[12:13], v[32:33], v[26:27]
	s_and_not1_b32 exec_lo, exec_lo, s6
	s_cbranch_execnz .LBB214_6
; %bb.7:
	s_or_b32 exec_lo, exec_lo, s6
.LBB214_8:
	s_delay_alu instid0(SALU_CYCLE_1) | instskip(SKIP_2) | instid1(VALU_DEP_1)
	s_or_b32 exec_lo, exec_lo, s5
	v_mbcnt_lo_u32_b32 v1, -1, 0
	s_load_b64 s[2:3], s[0:1], 0x70
	v_xor_b32_e32 v6, 16, v1
	s_delay_alu instid0(VALU_DEP_1) | instskip(SKIP_1) | instid1(VALU_DEP_1)
	v_cmp_gt_i32_e32 vcc_lo, 32, v6
	v_cndmask_b32_e32 v6, v1, v6, vcc_lo
	v_lshlrev_b32_e32 v9, 2, v6
	ds_bpermute_b32 v6, v9, v14
	ds_bpermute_b32 v7, v9, v15
	;; [unrolled: 1-line block ×4, first 2 shown]
	s_wait_dscnt 0x2
	v_add_f64_e32 v[6:7], v[14:15], v[6:7]
	s_wait_dscnt 0x0
	v_add_f64_e32 v[8:9], v[12:13], v[8:9]
	v_xor_b32_e32 v12, 8, v1
	s_delay_alu instid0(VALU_DEP_1) | instskip(SKIP_1) | instid1(VALU_DEP_1)
	v_cmp_gt_i32_e32 vcc_lo, 32, v12
	v_cndmask_b32_e32 v12, v1, v12, vcc_lo
	v_lshlrev_b32_e32 v15, 2, v12
	ds_bpermute_b32 v12, v15, v6
	ds_bpermute_b32 v13, v15, v7
	;; [unrolled: 1-line block ×4, first 2 shown]
	s_wait_dscnt 0x2
	v_add_f64_e32 v[6:7], v[6:7], v[12:13]
	v_xor_b32_e32 v12, 4, v1
	s_delay_alu instid0(VALU_DEP_1) | instskip(SKIP_2) | instid1(VALU_DEP_1)
	v_cmp_gt_i32_e32 vcc_lo, 32, v12
	v_cndmask_b32_e32 v12, v1, v12, vcc_lo
	s_wait_dscnt 0x0
	v_dual_add_f64 v[8:9], v[8:9], v[14:15] :: v_dual_lshlrev_b32 v15, 2, v12
	ds_bpermute_b32 v12, v15, v6
	ds_bpermute_b32 v13, v15, v7
	;; [unrolled: 1-line block ×4, first 2 shown]
	s_wait_dscnt 0x2
	v_add_f64_e32 v[6:7], v[6:7], v[12:13]
	v_xor_b32_e32 v12, 2, v1
	s_delay_alu instid0(VALU_DEP_1) | instskip(SKIP_2) | instid1(VALU_DEP_1)
	v_cmp_gt_i32_e32 vcc_lo, 32, v12
	v_cndmask_b32_e32 v12, v1, v12, vcc_lo
	s_wait_dscnt 0x0
	v_dual_add_f64 v[8:9], v[8:9], v[14:15] :: v_dual_lshlrev_b32 v15, 2, v12
	ds_bpermute_b32 v12, v15, v6
	ds_bpermute_b32 v13, v15, v7
	s_wait_dscnt 0x0
	v_add_f64_e32 v[6:7], v[6:7], v[12:13]
	v_xor_b32_e32 v12, 1, v1
	ds_bpermute_b32 v14, v15, v8
	ds_bpermute_b32 v15, v15, v9
	v_cmp_gt_i32_e32 vcc_lo, 32, v12
	v_cndmask_b32_e32 v1, v1, v12, vcc_lo
	v_cmp_eq_u32_e32 vcc_lo, 31, v0
	s_wait_dscnt 0x0
	s_delay_alu instid0(VALU_DEP_2)
	v_dual_add_f64 v[8:9], v[8:9], v[14:15] :: v_dual_lshlrev_b32 v1, 2, v1
	ds_bpermute_b32 v12, v1, v6
	ds_bpermute_b32 v13, v1, v7
	;; [unrolled: 1-line block ×4, first 2 shown]
	s_and_b32 exec_lo, exec_lo, vcc_lo
	s_cbranch_execz .LBB214_12
; %bb.9:
	v_cmp_neq_f64_e32 vcc_lo, 0, v[2:3]
	s_wait_xcnt 0x0
	v_cmp_neq_f64_e64 s0, 0, v[4:5]
	s_wait_dscnt 0x2
	v_add_f64_e32 v[6:7], v[6:7], v[12:13]
	s_wait_dscnt 0x0
	v_add_f64_e32 v[8:9], v[8:9], v[14:15]
	s_wait_kmcnt 0x0
	v_lshl_add_u64 v[0:1], v[10:11], 4, s[2:3]
	s_or_b32 s1, vcc_lo, s0
	s_delay_alu instid0(SALU_CYCLE_1)
	s_and_saveexec_b32 s0, s1
	s_cbranch_execz .LBB214_11
; %bb.10:
	global_load_b128 v[10:13], v[0:1], off
	s_wait_loadcnt 0x0
	v_fmac_f64_e32 v[6:7], v[2:3], v[10:11]
	v_fmac_f64_e32 v[8:9], v[4:5], v[10:11]
	s_delay_alu instid0(VALU_DEP_2) | instskip(NEXT) | instid1(VALU_DEP_2)
	v_fma_f64 v[6:7], -v[4:5], v[12:13], v[6:7]
	v_fmac_f64_e32 v[8:9], v[2:3], v[12:13]
.LBB214_11:
	s_or_b32 exec_lo, exec_lo, s0
	global_store_b128 v[0:1], v[6:9], off
.LBB214_12:
	s_endpgm
	.section	.rodata,"a",@progbits
	.p2align	6, 0x0
	.amdhsa_kernel _ZN9rocsparseL41csrmvn_lrb_medium_rows_warp_reduce_kernelILj256ELj32Eli21rocsparse_complex_numIfES1_IdES3_S3_EEvbT1_lPT2_S6_jNS_24const_host_device_scalarIT6_EEPKS4_PKS5_PKT3_PKT4_S9_PT5_21rocsparse_index_base_b
		.amdhsa_group_segment_fixed_size 0
		.amdhsa_private_segment_fixed_size 0
		.amdhsa_kernarg_size 128
		.amdhsa_user_sgpr_count 2
		.amdhsa_user_sgpr_dispatch_ptr 0
		.amdhsa_user_sgpr_queue_ptr 0
		.amdhsa_user_sgpr_kernarg_segment_ptr 1
		.amdhsa_user_sgpr_dispatch_id 0
		.amdhsa_user_sgpr_kernarg_preload_length 0
		.amdhsa_user_sgpr_kernarg_preload_offset 0
		.amdhsa_user_sgpr_private_segment_size 0
		.amdhsa_wavefront_size32 1
		.amdhsa_uses_dynamic_stack 0
		.amdhsa_enable_private_segment 0
		.amdhsa_system_sgpr_workgroup_id_x 1
		.amdhsa_system_sgpr_workgroup_id_y 0
		.amdhsa_system_sgpr_workgroup_id_z 0
		.amdhsa_system_sgpr_workgroup_info 0
		.amdhsa_system_vgpr_workitem_id 0
		.amdhsa_next_free_vgpr 34
		.amdhsa_next_free_sgpr 12
		.amdhsa_named_barrier_count 0
		.amdhsa_reserve_vcc 1
		.amdhsa_float_round_mode_32 0
		.amdhsa_float_round_mode_16_64 0
		.amdhsa_float_denorm_mode_32 3
		.amdhsa_float_denorm_mode_16_64 3
		.amdhsa_fp16_overflow 0
		.amdhsa_memory_ordered 1
		.amdhsa_forward_progress 1
		.amdhsa_inst_pref_size 10
		.amdhsa_round_robin_scheduling 0
		.amdhsa_exception_fp_ieee_invalid_op 0
		.amdhsa_exception_fp_denorm_src 0
		.amdhsa_exception_fp_ieee_div_zero 0
		.amdhsa_exception_fp_ieee_overflow 0
		.amdhsa_exception_fp_ieee_underflow 0
		.amdhsa_exception_fp_ieee_inexact 0
		.amdhsa_exception_int_div_zero 0
	.end_amdhsa_kernel
	.section	.text._ZN9rocsparseL41csrmvn_lrb_medium_rows_warp_reduce_kernelILj256ELj32Eli21rocsparse_complex_numIfES1_IdES3_S3_EEvbT1_lPT2_S6_jNS_24const_host_device_scalarIT6_EEPKS4_PKS5_PKT3_PKT4_S9_PT5_21rocsparse_index_base_b,"axG",@progbits,_ZN9rocsparseL41csrmvn_lrb_medium_rows_warp_reduce_kernelILj256ELj32Eli21rocsparse_complex_numIfES1_IdES3_S3_EEvbT1_lPT2_S6_jNS_24const_host_device_scalarIT6_EEPKS4_PKS5_PKT3_PKT4_S9_PT5_21rocsparse_index_base_b,comdat
.Lfunc_end214:
	.size	_ZN9rocsparseL41csrmvn_lrb_medium_rows_warp_reduce_kernelILj256ELj32Eli21rocsparse_complex_numIfES1_IdES3_S3_EEvbT1_lPT2_S6_jNS_24const_host_device_scalarIT6_EEPKS4_PKS5_PKT3_PKT4_S9_PT5_21rocsparse_index_base_b, .Lfunc_end214-_ZN9rocsparseL41csrmvn_lrb_medium_rows_warp_reduce_kernelILj256ELj32Eli21rocsparse_complex_numIfES1_IdES3_S3_EEvbT1_lPT2_S6_jNS_24const_host_device_scalarIT6_EEPKS4_PKS5_PKT3_PKT4_S9_PT5_21rocsparse_index_base_b
                                        ; -- End function
	.set _ZN9rocsparseL41csrmvn_lrb_medium_rows_warp_reduce_kernelILj256ELj32Eli21rocsparse_complex_numIfES1_IdES3_S3_EEvbT1_lPT2_S6_jNS_24const_host_device_scalarIT6_EEPKS4_PKS5_PKT3_PKT4_S9_PT5_21rocsparse_index_base_b.num_vgpr, 34
	.set _ZN9rocsparseL41csrmvn_lrb_medium_rows_warp_reduce_kernelILj256ELj32Eli21rocsparse_complex_numIfES1_IdES3_S3_EEvbT1_lPT2_S6_jNS_24const_host_device_scalarIT6_EEPKS4_PKS5_PKT3_PKT4_S9_PT5_21rocsparse_index_base_b.num_agpr, 0
	.set _ZN9rocsparseL41csrmvn_lrb_medium_rows_warp_reduce_kernelILj256ELj32Eli21rocsparse_complex_numIfES1_IdES3_S3_EEvbT1_lPT2_S6_jNS_24const_host_device_scalarIT6_EEPKS4_PKS5_PKT3_PKT4_S9_PT5_21rocsparse_index_base_b.numbered_sgpr, 12
	.set _ZN9rocsparseL41csrmvn_lrb_medium_rows_warp_reduce_kernelILj256ELj32Eli21rocsparse_complex_numIfES1_IdES3_S3_EEvbT1_lPT2_S6_jNS_24const_host_device_scalarIT6_EEPKS4_PKS5_PKT3_PKT4_S9_PT5_21rocsparse_index_base_b.num_named_barrier, 0
	.set _ZN9rocsparseL41csrmvn_lrb_medium_rows_warp_reduce_kernelILj256ELj32Eli21rocsparse_complex_numIfES1_IdES3_S3_EEvbT1_lPT2_S6_jNS_24const_host_device_scalarIT6_EEPKS4_PKS5_PKT3_PKT4_S9_PT5_21rocsparse_index_base_b.private_seg_size, 0
	.set _ZN9rocsparseL41csrmvn_lrb_medium_rows_warp_reduce_kernelILj256ELj32Eli21rocsparse_complex_numIfES1_IdES3_S3_EEvbT1_lPT2_S6_jNS_24const_host_device_scalarIT6_EEPKS4_PKS5_PKT3_PKT4_S9_PT5_21rocsparse_index_base_b.uses_vcc, 1
	.set _ZN9rocsparseL41csrmvn_lrb_medium_rows_warp_reduce_kernelILj256ELj32Eli21rocsparse_complex_numIfES1_IdES3_S3_EEvbT1_lPT2_S6_jNS_24const_host_device_scalarIT6_EEPKS4_PKS5_PKT3_PKT4_S9_PT5_21rocsparse_index_base_b.uses_flat_scratch, 0
	.set _ZN9rocsparseL41csrmvn_lrb_medium_rows_warp_reduce_kernelILj256ELj32Eli21rocsparse_complex_numIfES1_IdES3_S3_EEvbT1_lPT2_S6_jNS_24const_host_device_scalarIT6_EEPKS4_PKS5_PKT3_PKT4_S9_PT5_21rocsparse_index_base_b.has_dyn_sized_stack, 0
	.set _ZN9rocsparseL41csrmvn_lrb_medium_rows_warp_reduce_kernelILj256ELj32Eli21rocsparse_complex_numIfES1_IdES3_S3_EEvbT1_lPT2_S6_jNS_24const_host_device_scalarIT6_EEPKS4_PKS5_PKT3_PKT4_S9_PT5_21rocsparse_index_base_b.has_recursion, 0
	.set _ZN9rocsparseL41csrmvn_lrb_medium_rows_warp_reduce_kernelILj256ELj32Eli21rocsparse_complex_numIfES1_IdES3_S3_EEvbT1_lPT2_S6_jNS_24const_host_device_scalarIT6_EEPKS4_PKS5_PKT3_PKT4_S9_PT5_21rocsparse_index_base_b.has_indirect_call, 0
	.section	.AMDGPU.csdata,"",@progbits
; Kernel info:
; codeLenInByte = 1164
; TotalNumSgprs: 14
; NumVgprs: 34
; ScratchSize: 0
; MemoryBound: 0
; FloatMode: 240
; IeeeMode: 1
; LDSByteSize: 0 bytes/workgroup (compile time only)
; SGPRBlocks: 0
; VGPRBlocks: 2
; NumSGPRsForWavesPerEU: 14
; NumVGPRsForWavesPerEU: 34
; NamedBarCnt: 0
; Occupancy: 16
; WaveLimiterHint : 1
; COMPUTE_PGM_RSRC2:SCRATCH_EN: 0
; COMPUTE_PGM_RSRC2:USER_SGPR: 2
; COMPUTE_PGM_RSRC2:TRAP_HANDLER: 0
; COMPUTE_PGM_RSRC2:TGID_X_EN: 1
; COMPUTE_PGM_RSRC2:TGID_Y_EN: 0
; COMPUTE_PGM_RSRC2:TGID_Z_EN: 0
; COMPUTE_PGM_RSRC2:TIDIG_COMP_CNT: 0
	.section	.text._ZN9rocsparseL41csrmvn_lrb_medium_rows_warp_reduce_kernelILj256ELj64Eli21rocsparse_complex_numIfES1_IdES3_S3_EEvbT1_lPT2_S6_jNS_24const_host_device_scalarIT6_EEPKS4_PKS5_PKT3_PKT4_S9_PT5_21rocsparse_index_base_b,"axG",@progbits,_ZN9rocsparseL41csrmvn_lrb_medium_rows_warp_reduce_kernelILj256ELj64Eli21rocsparse_complex_numIfES1_IdES3_S3_EEvbT1_lPT2_S6_jNS_24const_host_device_scalarIT6_EEPKS4_PKS5_PKT3_PKT4_S9_PT5_21rocsparse_index_base_b,comdat
	.globl	_ZN9rocsparseL41csrmvn_lrb_medium_rows_warp_reduce_kernelILj256ELj64Eli21rocsparse_complex_numIfES1_IdES3_S3_EEvbT1_lPT2_S6_jNS_24const_host_device_scalarIT6_EEPKS4_PKS5_PKT3_PKT4_S9_PT5_21rocsparse_index_base_b ; -- Begin function _ZN9rocsparseL41csrmvn_lrb_medium_rows_warp_reduce_kernelILj256ELj64Eli21rocsparse_complex_numIfES1_IdES3_S3_EEvbT1_lPT2_S6_jNS_24const_host_device_scalarIT6_EEPKS4_PKS5_PKT3_PKT4_S9_PT5_21rocsparse_index_base_b
	.p2align	8
	.type	_ZN9rocsparseL41csrmvn_lrb_medium_rows_warp_reduce_kernelILj256ELj64Eli21rocsparse_complex_numIfES1_IdES3_S3_EEvbT1_lPT2_S6_jNS_24const_host_device_scalarIT6_EEPKS4_PKS5_PKT3_PKT4_S9_PT5_21rocsparse_index_base_b,@function
_ZN9rocsparseL41csrmvn_lrb_medium_rows_warp_reduce_kernelILj256ELj64Eli21rocsparse_complex_numIfES1_IdES3_S3_EEvbT1_lPT2_S6_jNS_24const_host_device_scalarIT6_EEPKS4_PKS5_PKT3_PKT4_S9_PT5_21rocsparse_index_base_b: ; @_ZN9rocsparseL41csrmvn_lrb_medium_rows_warp_reduce_kernelILj256ELj64Eli21rocsparse_complex_numIfES1_IdES3_S3_EEvbT1_lPT2_S6_jNS_24const_host_device_scalarIT6_EEPKS4_PKS5_PKT3_PKT4_S9_PT5_21rocsparse_index_base_b
; %bb.0:
	s_clause 0x1
	s_load_b64 s[4:5], s[0:1], 0x78
	s_load_b64 s[2:3], s[0:1], 0x30
	v_mov_b32_e32 v1, 0
	s_add_nc_u64 s[6:7], s[0:1], 48
	s_load_b64 s[8:9], s[0:1], 0x60
	s_wait_kmcnt 0x0
	s_bitcmp1_b32 s5, 0
	s_cselect_b32 s3, s7, s3
	s_cselect_b32 s2, s6, s2
	flat_load_b128 v[6:9], v1, s[2:3]
	s_wait_xcnt 0x0
	s_add_nc_u64 s[2:3], s[0:1], 0x60
	s_delay_alu instid0(SALU_CYCLE_1)
	s_cselect_b32 s3, s3, s9
	s_cselect_b32 s2, s2, s8
	flat_load_b128 v[2:5], v1, s[2:3]
	s_wait_loadcnt_dscnt 0x101
	v_cmp_eq_f64_e32 vcc_lo, 0, v[6:7]
	s_wait_xcnt 0x0
	v_cmp_eq_f64_e64 s2, 0, v[8:9]
	s_and_b32 s5, vcc_lo, s2
	s_mov_b32 s2, -1
	s_and_saveexec_b32 s3, s5
	s_cbranch_execz .LBB215_2
; %bb.1:
	s_wait_loadcnt_dscnt 0x0
	v_cmp_neq_f64_e32 vcc_lo, 1.0, v[2:3]
	v_cmp_neq_f64_e64 s2, 0, v[4:5]
	s_or_b32 s2, vcc_lo, s2
	s_delay_alu instid0(SALU_CYCLE_1)
	s_or_not1_b32 s2, s2, exec_lo
.LBB215_2:
	s_or_b32 exec_lo, exec_lo, s3
	s_and_saveexec_b32 s3, s2
	s_cbranch_execz .LBB215_12
; %bb.3:
	s_bfe_u32 s5, ttmp6, 0x4000c
	s_load_b64 s[2:3], s[0:1], 0x10
	s_add_co_i32 s5, s5, 1
	s_and_b32 s6, ttmp6, 15
	s_mul_i32 s5, ttmp9, s5
	s_getreg_b32 s7, hwreg(HW_REG_IB_STS2, 6, 4)
	v_lshrrev_b32_e32 v1, 6, v0
	s_add_co_i32 s6, s6, s5
	s_cmp_eq_u32 s7, 0
	s_cselect_b32 s5, ttmp9, s6
	s_delay_alu instid0(VALU_DEP_1) | instid1(SALU_CYCLE_1)
	v_lshl_or_b32 v10, s5, 2, v1
	s_mov_b32 s5, 0
	s_delay_alu instid0(VALU_DEP_1) | instskip(SKIP_1) | instid1(VALU_DEP_1)
	v_ashrrev_i32_e32 v11, 31, v10
	s_wait_kmcnt 0x0
	v_cmp_gt_i64_e32 vcc_lo, s[2:3], v[10:11]
	s_and_b32 exec_lo, exec_lo, vcc_lo
	s_cbranch_execz .LBB215_12
; %bb.4:
	s_clause 0x1
	s_load_b128 s[8:11], s[0:1], 0x18
	s_load_b32 s2, s[0:1], 0x28
	v_and_b32_e32 v0, 63, v0
	s_wait_kmcnt 0x0
	s_load_b32 s2, s[10:11], s2 offset:0x0 scale_offset
	s_wait_kmcnt 0x0
	v_add_nc_u32_e32 v1, s2, v10
	s_load_b64 s[2:3], s[0:1], 0x40
	global_load_b32 v10, v1, s[8:9] scale_offset
	s_wait_xcnt 0x0
	v_mov_b32_e32 v1, 0
	s_delay_alu instid0(VALU_DEP_1) | instskip(SKIP_3) | instid1(VALU_DEP_1)
	v_sub_nc_u64_e64 v[18:19], v[0:1], s[4:5]
	s_wait_loadcnt 0x0
	v_ashrrev_i32_e32 v11, 31, v10
	s_wait_kmcnt 0x0
	v_lshl_add_u64 v[12:13], v[10:11], 3, s[2:3]
	global_load_b128 v[12:15], v[12:13], off
	s_wait_loadcnt 0x0
	v_sub_nc_u64_e64 v[16:17], v[14:15], s[4:5]
	v_add_nc_u64_e32 v[18:19], v[12:13], v[18:19]
	v_mov_b64_e32 v[12:13], 0
	v_mov_b64_e32 v[14:15], 0
	s_mov_b32 s5, exec_lo
	s_delay_alu instid0(VALU_DEP_3)
	v_cmpx_lt_i64_e64 v[18:19], v[16:17]
	s_cbranch_execz .LBB215_8
; %bb.5:
	s_clause 0x2
	s_load_b128 s[8:11], s[0:1], 0x48
	s_load_b32 s6, s[0:1], 0x0
	s_load_b64 s[2:3], s[0:1], 0x58
	v_mov_b64_e32 v[12:13], 0
	s_wait_kmcnt 0x0
	v_lshl_add_u64 v[14:15], v[18:19], 3, s[10:11]
	v_lshl_add_u64 v[22:23], v[18:19], 2, s[8:9]
	s_bitcmp1_b32 s6, 0
	s_mov_b32 s6, 0
	s_cselect_b32 s7, -1, 0
	v_add_nc_u64_e32 v[20:21], 4, v[14:15]
	v_mov_b64_e32 v[14:15], 0
.LBB215_6:                              ; =>This Inner Loop Header: Depth=1
	global_load_b32 v1, v[22:23], off
	global_load_b64 v[28:29], v[20:21], off offset:-4
	v_add_nc_u64_e32 v[18:19], 64, v[18:19]
	s_wait_xcnt 0x0
	v_add_nc_u64_e32 v[20:21], 0x200, v[20:21]
	v_add_nc_u64_e32 v[22:23], 0x100, v[22:23]
	s_delay_alu instid0(VALU_DEP_3)
	v_cmp_ge_i64_e32 vcc_lo, v[18:19], v[16:17]
	s_or_b32 s6, vcc_lo, s6
	s_wait_loadcnt 0x1
	v_subrev_nc_u32_e32 v1, s4, v1
	global_load_b128 v[24:27], v1, s[2:3] scale_offset
	s_wait_loadcnt 0x1
	s_wait_xcnt 0x0
	v_cndmask_b32_e64 v1, v29, -v29, s7
	v_cvt_f64_f32_e32 v[28:29], v28
	s_delay_alu instid0(VALU_DEP_2) | instskip(NEXT) | instid1(VALU_DEP_1)
	v_cvt_f64_f32_e32 v[30:31], v1
	v_mul_f64_e64 v[32:33], -v[8:9], v[30:31]
	v_mul_f64_e32 v[30:31], v[6:7], v[30:31]
	s_delay_alu instid0(VALU_DEP_2) | instskip(NEXT) | instid1(VALU_DEP_2)
	v_fmac_f64_e32 v[32:33], v[6:7], v[28:29]
	v_fmac_f64_e32 v[30:31], v[8:9], v[28:29]
	s_wait_loadcnt 0x0
	s_delay_alu instid0(VALU_DEP_2) | instskip(NEXT) | instid1(VALU_DEP_2)
	v_fmac_f64_e32 v[14:15], v[32:33], v[24:25]
	v_fmac_f64_e32 v[12:13], v[30:31], v[24:25]
	s_delay_alu instid0(VALU_DEP_2) | instskip(NEXT) | instid1(VALU_DEP_2)
	v_fma_f64 v[14:15], -v[30:31], v[26:27], v[14:15]
	v_fmac_f64_e32 v[12:13], v[32:33], v[26:27]
	s_and_not1_b32 exec_lo, exec_lo, s6
	s_cbranch_execnz .LBB215_6
; %bb.7:
	s_or_b32 exec_lo, exec_lo, s6
.LBB215_8:
	s_delay_alu instid0(SALU_CYCLE_1) | instskip(SKIP_2) | instid1(VALU_DEP_1)
	s_or_b32 exec_lo, exec_lo, s5
	v_mbcnt_lo_u32_b32 v1, -1, 0
	s_load_b64 s[2:3], s[0:1], 0x70
	v_or_b32_e32 v6, 32, v1
	s_delay_alu instid0(VALU_DEP_1) | instskip(SKIP_1) | instid1(VALU_DEP_1)
	v_cmp_gt_i32_e32 vcc_lo, 32, v6
	v_cndmask_b32_e32 v6, v1, v6, vcc_lo
	v_lshlrev_b32_e32 v9, 2, v6
	ds_bpermute_b32 v6, v9, v14
	ds_bpermute_b32 v7, v9, v15
	;; [unrolled: 1-line block ×4, first 2 shown]
	s_wait_dscnt 0x2
	v_add_f64_e32 v[6:7], v[14:15], v[6:7]
	s_wait_dscnt 0x0
	v_add_f64_e32 v[8:9], v[12:13], v[8:9]
	v_xor_b32_e32 v12, 16, v1
	s_delay_alu instid0(VALU_DEP_1) | instskip(SKIP_1) | instid1(VALU_DEP_1)
	v_cmp_gt_i32_e32 vcc_lo, 32, v12
	v_cndmask_b32_e32 v12, v1, v12, vcc_lo
	v_lshlrev_b32_e32 v15, 2, v12
	ds_bpermute_b32 v12, v15, v6
	ds_bpermute_b32 v13, v15, v7
	;; [unrolled: 1-line block ×4, first 2 shown]
	s_wait_dscnt 0x2
	v_add_f64_e32 v[6:7], v[6:7], v[12:13]
	v_xor_b32_e32 v12, 8, v1
	s_delay_alu instid0(VALU_DEP_1) | instskip(SKIP_2) | instid1(VALU_DEP_1)
	v_cmp_gt_i32_e32 vcc_lo, 32, v12
	v_cndmask_b32_e32 v12, v1, v12, vcc_lo
	s_wait_dscnt 0x0
	v_dual_add_f64 v[8:9], v[8:9], v[14:15] :: v_dual_lshlrev_b32 v15, 2, v12
	ds_bpermute_b32 v12, v15, v6
	ds_bpermute_b32 v13, v15, v7
	ds_bpermute_b32 v14, v15, v8
	ds_bpermute_b32 v15, v15, v9
	s_wait_dscnt 0x2
	v_add_f64_e32 v[6:7], v[6:7], v[12:13]
	v_xor_b32_e32 v12, 4, v1
	s_delay_alu instid0(VALU_DEP_1) | instskip(SKIP_2) | instid1(VALU_DEP_1)
	v_cmp_gt_i32_e32 vcc_lo, 32, v12
	v_cndmask_b32_e32 v12, v1, v12, vcc_lo
	s_wait_dscnt 0x0
	v_dual_add_f64 v[8:9], v[8:9], v[14:15] :: v_dual_lshlrev_b32 v15, 2, v12
	ds_bpermute_b32 v12, v15, v6
	ds_bpermute_b32 v13, v15, v7
	s_wait_dscnt 0x0
	v_add_f64_e32 v[6:7], v[6:7], v[12:13]
	v_xor_b32_e32 v12, 2, v1
	ds_bpermute_b32 v14, v15, v8
	ds_bpermute_b32 v15, v15, v9
	v_cmp_gt_i32_e32 vcc_lo, 32, v12
	v_cndmask_b32_e32 v12, v1, v12, vcc_lo
	s_wait_dscnt 0x0
	s_delay_alu instid0(VALU_DEP_1)
	v_dual_add_f64 v[8:9], v[8:9], v[14:15] :: v_dual_lshlrev_b32 v15, 2, v12
	ds_bpermute_b32 v12, v15, v6
	ds_bpermute_b32 v13, v15, v7
	s_wait_dscnt 0x0
	v_add_f64_e32 v[6:7], v[6:7], v[12:13]
	v_xor_b32_e32 v12, 1, v1
	ds_bpermute_b32 v14, v15, v8
	ds_bpermute_b32 v15, v15, v9
	v_cmp_gt_i32_e32 vcc_lo, 32, v12
	v_cndmask_b32_e32 v1, v1, v12, vcc_lo
	v_cmp_eq_u32_e32 vcc_lo, 63, v0
	s_wait_dscnt 0x0
	s_delay_alu instid0(VALU_DEP_2)
	v_dual_add_f64 v[8:9], v[8:9], v[14:15] :: v_dual_lshlrev_b32 v1, 2, v1
	ds_bpermute_b32 v12, v1, v6
	ds_bpermute_b32 v13, v1, v7
	ds_bpermute_b32 v14, v1, v8
	ds_bpermute_b32 v15, v1, v9
	s_and_b32 exec_lo, exec_lo, vcc_lo
	s_cbranch_execz .LBB215_12
; %bb.9:
	v_cmp_neq_f64_e32 vcc_lo, 0, v[2:3]
	s_wait_xcnt 0x0
	v_cmp_neq_f64_e64 s0, 0, v[4:5]
	s_wait_dscnt 0x2
	v_add_f64_e32 v[6:7], v[6:7], v[12:13]
	s_wait_dscnt 0x0
	v_add_f64_e32 v[8:9], v[8:9], v[14:15]
	s_wait_kmcnt 0x0
	v_lshl_add_u64 v[0:1], v[10:11], 4, s[2:3]
	s_or_b32 s1, vcc_lo, s0
	s_delay_alu instid0(SALU_CYCLE_1)
	s_and_saveexec_b32 s0, s1
	s_cbranch_execz .LBB215_11
; %bb.10:
	global_load_b128 v[10:13], v[0:1], off
	s_wait_loadcnt 0x0
	v_fmac_f64_e32 v[6:7], v[2:3], v[10:11]
	v_fmac_f64_e32 v[8:9], v[4:5], v[10:11]
	s_delay_alu instid0(VALU_DEP_2) | instskip(NEXT) | instid1(VALU_DEP_2)
	v_fma_f64 v[6:7], -v[4:5], v[12:13], v[6:7]
	v_fmac_f64_e32 v[8:9], v[2:3], v[12:13]
.LBB215_11:
	s_or_b32 exec_lo, exec_lo, s0
	global_store_b128 v[0:1], v[6:9], off
.LBB215_12:
	s_endpgm
	.section	.rodata,"a",@progbits
	.p2align	6, 0x0
	.amdhsa_kernel _ZN9rocsparseL41csrmvn_lrb_medium_rows_warp_reduce_kernelILj256ELj64Eli21rocsparse_complex_numIfES1_IdES3_S3_EEvbT1_lPT2_S6_jNS_24const_host_device_scalarIT6_EEPKS4_PKS5_PKT3_PKT4_S9_PT5_21rocsparse_index_base_b
		.amdhsa_group_segment_fixed_size 0
		.amdhsa_private_segment_fixed_size 0
		.amdhsa_kernarg_size 128
		.amdhsa_user_sgpr_count 2
		.amdhsa_user_sgpr_dispatch_ptr 0
		.amdhsa_user_sgpr_queue_ptr 0
		.amdhsa_user_sgpr_kernarg_segment_ptr 1
		.amdhsa_user_sgpr_dispatch_id 0
		.amdhsa_user_sgpr_kernarg_preload_length 0
		.amdhsa_user_sgpr_kernarg_preload_offset 0
		.amdhsa_user_sgpr_private_segment_size 0
		.amdhsa_wavefront_size32 1
		.amdhsa_uses_dynamic_stack 0
		.amdhsa_enable_private_segment 0
		.amdhsa_system_sgpr_workgroup_id_x 1
		.amdhsa_system_sgpr_workgroup_id_y 0
		.amdhsa_system_sgpr_workgroup_id_z 0
		.amdhsa_system_sgpr_workgroup_info 0
		.amdhsa_system_vgpr_workitem_id 0
		.amdhsa_next_free_vgpr 34
		.amdhsa_next_free_sgpr 12
		.amdhsa_named_barrier_count 0
		.amdhsa_reserve_vcc 1
		.amdhsa_float_round_mode_32 0
		.amdhsa_float_round_mode_16_64 0
		.amdhsa_float_denorm_mode_32 3
		.amdhsa_float_denorm_mode_16_64 3
		.amdhsa_fp16_overflow 0
		.amdhsa_memory_ordered 1
		.amdhsa_forward_progress 1
		.amdhsa_inst_pref_size 10
		.amdhsa_round_robin_scheduling 0
		.amdhsa_exception_fp_ieee_invalid_op 0
		.amdhsa_exception_fp_denorm_src 0
		.amdhsa_exception_fp_ieee_div_zero 0
		.amdhsa_exception_fp_ieee_overflow 0
		.amdhsa_exception_fp_ieee_underflow 0
		.amdhsa_exception_fp_ieee_inexact 0
		.amdhsa_exception_int_div_zero 0
	.end_amdhsa_kernel
	.section	.text._ZN9rocsparseL41csrmvn_lrb_medium_rows_warp_reduce_kernelILj256ELj64Eli21rocsparse_complex_numIfES1_IdES3_S3_EEvbT1_lPT2_S6_jNS_24const_host_device_scalarIT6_EEPKS4_PKS5_PKT3_PKT4_S9_PT5_21rocsparse_index_base_b,"axG",@progbits,_ZN9rocsparseL41csrmvn_lrb_medium_rows_warp_reduce_kernelILj256ELj64Eli21rocsparse_complex_numIfES1_IdES3_S3_EEvbT1_lPT2_S6_jNS_24const_host_device_scalarIT6_EEPKS4_PKS5_PKT3_PKT4_S9_PT5_21rocsparse_index_base_b,comdat
.Lfunc_end215:
	.size	_ZN9rocsparseL41csrmvn_lrb_medium_rows_warp_reduce_kernelILj256ELj64Eli21rocsparse_complex_numIfES1_IdES3_S3_EEvbT1_lPT2_S6_jNS_24const_host_device_scalarIT6_EEPKS4_PKS5_PKT3_PKT4_S9_PT5_21rocsparse_index_base_b, .Lfunc_end215-_ZN9rocsparseL41csrmvn_lrb_medium_rows_warp_reduce_kernelILj256ELj64Eli21rocsparse_complex_numIfES1_IdES3_S3_EEvbT1_lPT2_S6_jNS_24const_host_device_scalarIT6_EEPKS4_PKS5_PKT3_PKT4_S9_PT5_21rocsparse_index_base_b
                                        ; -- End function
	.set _ZN9rocsparseL41csrmvn_lrb_medium_rows_warp_reduce_kernelILj256ELj64Eli21rocsparse_complex_numIfES1_IdES3_S3_EEvbT1_lPT2_S6_jNS_24const_host_device_scalarIT6_EEPKS4_PKS5_PKT3_PKT4_S9_PT5_21rocsparse_index_base_b.num_vgpr, 34
	.set _ZN9rocsparseL41csrmvn_lrb_medium_rows_warp_reduce_kernelILj256ELj64Eli21rocsparse_complex_numIfES1_IdES3_S3_EEvbT1_lPT2_S6_jNS_24const_host_device_scalarIT6_EEPKS4_PKS5_PKT3_PKT4_S9_PT5_21rocsparse_index_base_b.num_agpr, 0
	.set _ZN9rocsparseL41csrmvn_lrb_medium_rows_warp_reduce_kernelILj256ELj64Eli21rocsparse_complex_numIfES1_IdES3_S3_EEvbT1_lPT2_S6_jNS_24const_host_device_scalarIT6_EEPKS4_PKS5_PKT3_PKT4_S9_PT5_21rocsparse_index_base_b.numbered_sgpr, 12
	.set _ZN9rocsparseL41csrmvn_lrb_medium_rows_warp_reduce_kernelILj256ELj64Eli21rocsparse_complex_numIfES1_IdES3_S3_EEvbT1_lPT2_S6_jNS_24const_host_device_scalarIT6_EEPKS4_PKS5_PKT3_PKT4_S9_PT5_21rocsparse_index_base_b.num_named_barrier, 0
	.set _ZN9rocsparseL41csrmvn_lrb_medium_rows_warp_reduce_kernelILj256ELj64Eli21rocsparse_complex_numIfES1_IdES3_S3_EEvbT1_lPT2_S6_jNS_24const_host_device_scalarIT6_EEPKS4_PKS5_PKT3_PKT4_S9_PT5_21rocsparse_index_base_b.private_seg_size, 0
	.set _ZN9rocsparseL41csrmvn_lrb_medium_rows_warp_reduce_kernelILj256ELj64Eli21rocsparse_complex_numIfES1_IdES3_S3_EEvbT1_lPT2_S6_jNS_24const_host_device_scalarIT6_EEPKS4_PKS5_PKT3_PKT4_S9_PT5_21rocsparse_index_base_b.uses_vcc, 1
	.set _ZN9rocsparseL41csrmvn_lrb_medium_rows_warp_reduce_kernelILj256ELj64Eli21rocsparse_complex_numIfES1_IdES3_S3_EEvbT1_lPT2_S6_jNS_24const_host_device_scalarIT6_EEPKS4_PKS5_PKT3_PKT4_S9_PT5_21rocsparse_index_base_b.uses_flat_scratch, 0
	.set _ZN9rocsparseL41csrmvn_lrb_medium_rows_warp_reduce_kernelILj256ELj64Eli21rocsparse_complex_numIfES1_IdES3_S3_EEvbT1_lPT2_S6_jNS_24const_host_device_scalarIT6_EEPKS4_PKS5_PKT3_PKT4_S9_PT5_21rocsparse_index_base_b.has_dyn_sized_stack, 0
	.set _ZN9rocsparseL41csrmvn_lrb_medium_rows_warp_reduce_kernelILj256ELj64Eli21rocsparse_complex_numIfES1_IdES3_S3_EEvbT1_lPT2_S6_jNS_24const_host_device_scalarIT6_EEPKS4_PKS5_PKT3_PKT4_S9_PT5_21rocsparse_index_base_b.has_recursion, 0
	.set _ZN9rocsparseL41csrmvn_lrb_medium_rows_warp_reduce_kernelILj256ELj64Eli21rocsparse_complex_numIfES1_IdES3_S3_EEvbT1_lPT2_S6_jNS_24const_host_device_scalarIT6_EEPKS4_PKS5_PKT3_PKT4_S9_PT5_21rocsparse_index_base_b.has_indirect_call, 0
	.section	.AMDGPU.csdata,"",@progbits
; Kernel info:
; codeLenInByte = 1236
; TotalNumSgprs: 14
; NumVgprs: 34
; ScratchSize: 0
; MemoryBound: 0
; FloatMode: 240
; IeeeMode: 1
; LDSByteSize: 0 bytes/workgroup (compile time only)
; SGPRBlocks: 0
; VGPRBlocks: 2
; NumSGPRsForWavesPerEU: 14
; NumVGPRsForWavesPerEU: 34
; NamedBarCnt: 0
; Occupancy: 16
; WaveLimiterHint : 1
; COMPUTE_PGM_RSRC2:SCRATCH_EN: 0
; COMPUTE_PGM_RSRC2:USER_SGPR: 2
; COMPUTE_PGM_RSRC2:TRAP_HANDLER: 0
; COMPUTE_PGM_RSRC2:TGID_X_EN: 1
; COMPUTE_PGM_RSRC2:TGID_Y_EN: 0
; COMPUTE_PGM_RSRC2:TGID_Z_EN: 0
; COMPUTE_PGM_RSRC2:TIDIG_COMP_CNT: 0
	.section	.text._ZN9rocsparseL29csrmvn_lrb_medium_rows_kernelILj256Eli21rocsparse_complex_numIfES1_IdES3_S3_EEvbT0_PT1_S6_jNS_24const_host_device_scalarIT5_EEPKS4_PKS5_PKT2_PKT3_S9_PT4_21rocsparse_index_base_b,"axG",@progbits,_ZN9rocsparseL29csrmvn_lrb_medium_rows_kernelILj256Eli21rocsparse_complex_numIfES1_IdES3_S3_EEvbT0_PT1_S6_jNS_24const_host_device_scalarIT5_EEPKS4_PKS5_PKT2_PKT3_S9_PT4_21rocsparse_index_base_b,comdat
	.globl	_ZN9rocsparseL29csrmvn_lrb_medium_rows_kernelILj256Eli21rocsparse_complex_numIfES1_IdES3_S3_EEvbT0_PT1_S6_jNS_24const_host_device_scalarIT5_EEPKS4_PKS5_PKT2_PKT3_S9_PT4_21rocsparse_index_base_b ; -- Begin function _ZN9rocsparseL29csrmvn_lrb_medium_rows_kernelILj256Eli21rocsparse_complex_numIfES1_IdES3_S3_EEvbT0_PT1_S6_jNS_24const_host_device_scalarIT5_EEPKS4_PKS5_PKT2_PKT3_S9_PT4_21rocsparse_index_base_b
	.p2align	8
	.type	_ZN9rocsparseL29csrmvn_lrb_medium_rows_kernelILj256Eli21rocsparse_complex_numIfES1_IdES3_S3_EEvbT0_PT1_S6_jNS_24const_host_device_scalarIT5_EEPKS4_PKS5_PKT2_PKT3_S9_PT4_21rocsparse_index_base_b,@function
_ZN9rocsparseL29csrmvn_lrb_medium_rows_kernelILj256Eli21rocsparse_complex_numIfES1_IdES3_S3_EEvbT0_PT1_S6_jNS_24const_host_device_scalarIT5_EEPKS4_PKS5_PKT2_PKT3_S9_PT4_21rocsparse_index_base_b: ; @_ZN9rocsparseL29csrmvn_lrb_medium_rows_kernelILj256Eli21rocsparse_complex_numIfES1_IdES3_S3_EEvbT0_PT1_S6_jNS_24const_host_device_scalarIT5_EEPKS4_PKS5_PKT2_PKT3_S9_PT4_21rocsparse_index_base_b
; %bb.0:
	s_clause 0x1
	s_load_b64 s[4:5], s[0:1], 0x70
	s_load_b64 s[2:3], s[0:1], 0x28
	v_mov_b32_e32 v1, 0
	s_add_nc_u64 s[6:7], s[0:1], 40
	s_load_b64 s[8:9], s[0:1], 0x58
	s_wait_kmcnt 0x0
	s_bitcmp1_b32 s5, 0
	s_cselect_b32 s3, s7, s3
	s_cselect_b32 s2, s6, s2
	flat_load_b128 v[6:9], v1, s[2:3]
	s_wait_xcnt 0x0
	s_add_nc_u64 s[2:3], s[0:1], 0x58
	s_delay_alu instid0(SALU_CYCLE_1)
	s_cselect_b32 s3, s3, s9
	s_cselect_b32 s2, s2, s8
	flat_load_b128 v[2:5], v1, s[2:3]
	s_wait_loadcnt_dscnt 0x101
	v_cmp_eq_f64_e32 vcc_lo, 0, v[6:7]
	s_wait_xcnt 0x0
	v_cmp_eq_f64_e64 s2, 0, v[8:9]
	s_and_b32 s5, vcc_lo, s2
	s_mov_b32 s2, -1
	s_and_saveexec_b32 s3, s5
	s_cbranch_execz .LBB216_2
; %bb.1:
	s_wait_loadcnt_dscnt 0x0
	v_cmp_neq_f64_e32 vcc_lo, 1.0, v[2:3]
	v_cmp_neq_f64_e64 s2, 0, v[4:5]
	s_or_b32 s2, vcc_lo, s2
	s_delay_alu instid0(SALU_CYCLE_1)
	s_or_not1_b32 s2, s2, exec_lo
.LBB216_2:
	s_or_b32 exec_lo, exec_lo, s3
	s_and_saveexec_b32 s3, s2
	s_cbranch_execz .LBB216_27
; %bb.3:
	s_clause 0x1
	s_load_b128 s[8:11], s[0:1], 0x10
	s_load_b32 s2, s[0:1], 0x20
	s_bfe_u32 s3, ttmp6, 0x4000c
	s_and_b32 s5, ttmp6, 15
	s_add_co_i32 s3, s3, 1
	s_getreg_b32 s6, hwreg(HW_REG_IB_STS2, 6, 4)
	s_mul_i32 s3, ttmp9, s3
	v_mov_b32_e32 v1, 0
	s_add_co_i32 s5, s5, s3
	s_cmp_eq_u32 s6, 0
	v_mov_b64_e32 v[12:13], 0
	s_cselect_b32 s3, ttmp9, s5
	s_mov_b32 s5, 0
	s_delay_alu instid0(SALU_CYCLE_1) | instskip(SKIP_4) | instid1(SALU_CYCLE_1)
	v_sub_nc_u64_e64 v[10:11], v[0:1], s[4:5]
	s_wait_kmcnt 0x0
	s_load_b32 s2, s[10:11], s2 offset:0x0 scale_offset
	s_wait_kmcnt 0x0
	s_add_co_i32 s2, s2, s3
	s_ashr_i32 s3, s2, 31
	s_delay_alu instid0(SALU_CYCLE_1) | instskip(NEXT) | instid1(SALU_CYCLE_1)
	s_lshl_b64 s[2:3], s[2:3], 2
	s_add_nc_u64 s[6:7], s[8:9], s[2:3]
	s_load_b32 s2, s[6:7], 0x0
	s_load_b64 s[8:9], s[0:1], 0x38
	s_wait_kmcnt 0x0
	s_ashr_i32 s3, s2, 31
	s_delay_alu instid0(SALU_CYCLE_1) | instskip(NEXT) | instid1(SALU_CYCLE_1)
	s_lshl_b64 s[6:7], s[2:3], 3
	s_add_nc_u64 s[6:7], s[8:9], s[6:7]
	s_load_b128 s[8:11], s[6:7], 0x0
	s_wait_kmcnt 0x0
	v_add_nc_u64_e32 v[14:15], s[8:9], v[10:11]
	v_mov_b64_e32 v[10:11], 0
	s_sub_nc_u64 s[6:7], s[10:11], s[4:5]
	s_mov_b32 s10, exec_lo
	s_delay_alu instid0(VALU_DEP_2)
	v_cmpx_gt_i64_e64 s[6:7], v[14:15]
	s_cbranch_execz .LBB216_7
; %bb.4:
	s_clause 0x2
	s_load_b128 s[12:15], s[0:1], 0x40
	s_load_b32 s11, s[0:1], 0x0
	s_load_b64 s[8:9], s[0:1], 0x50
	v_mov_b64_e32 v[12:13], 0
	s_wait_kmcnt 0x0
	v_lshl_add_u64 v[10:11], v[14:15], 3, s[14:15]
	v_lshl_add_u64 v[18:19], v[14:15], 2, s[12:13]
	s_bitcmp1_b32 s11, 0
	s_cselect_b32 s11, -1, 0
	s_delay_alu instid0(VALU_DEP_2)
	v_add_nc_u64_e32 v[16:17], 4, v[10:11]
	v_mov_b64_e32 v[10:11], v[12:13]
.LBB216_5:                              ; =>This Inner Loop Header: Depth=1
	global_load_b32 v1, v[18:19], off
	global_load_b64 v[24:25], v[16:17], off offset:-4
	v_add_nc_u64_e32 v[14:15], 0x100, v[14:15]
	s_wait_xcnt 0x0
	v_add_nc_u64_e32 v[16:17], 0x800, v[16:17]
	v_add_nc_u64_e32 v[18:19], 0x400, v[18:19]
	s_delay_alu instid0(VALU_DEP_3)
	v_cmp_le_i64_e32 vcc_lo, s[6:7], v[14:15]
	s_or_b32 s5, vcc_lo, s5
	s_wait_loadcnt 0x1
	v_subrev_nc_u32_e32 v1, s4, v1
	global_load_b128 v[20:23], v1, s[8:9] scale_offset
	s_wait_loadcnt 0x1
	s_wait_xcnt 0x0
	v_cndmask_b32_e64 v1, v25, -v25, s11
	v_cvt_f64_f32_e32 v[24:25], v24
	s_delay_alu instid0(VALU_DEP_2) | instskip(NEXT) | instid1(VALU_DEP_1)
	v_cvt_f64_f32_e32 v[26:27], v1
	v_mul_f64_e64 v[28:29], -v[8:9], v[26:27]
	v_mul_f64_e32 v[26:27], v[6:7], v[26:27]
	s_delay_alu instid0(VALU_DEP_2) | instskip(NEXT) | instid1(VALU_DEP_2)
	v_fmac_f64_e32 v[28:29], v[6:7], v[24:25]
	v_fmac_f64_e32 v[26:27], v[8:9], v[24:25]
	s_wait_loadcnt 0x0
	s_delay_alu instid0(VALU_DEP_2) | instskip(NEXT) | instid1(VALU_DEP_2)
	v_fmac_f64_e32 v[10:11], v[28:29], v[20:21]
	v_fmac_f64_e32 v[12:13], v[26:27], v[20:21]
	s_delay_alu instid0(VALU_DEP_2) | instskip(NEXT) | instid1(VALU_DEP_2)
	v_fma_f64 v[10:11], -v[26:27], v[22:23], v[10:11]
	v_fmac_f64_e32 v[12:13], v[28:29], v[22:23]
	s_and_not1_b32 exec_lo, exec_lo, s5
	s_cbranch_execnz .LBB216_5
; %bb.6:
	s_or_b32 exec_lo, exec_lo, s5
.LBB216_7:
	s_delay_alu instid0(SALU_CYCLE_1)
	s_or_b32 exec_lo, exec_lo, s10
	s_load_b64 s[4:5], s[0:1], 0x68
	v_lshlrev_b32_e32 v1, 4, v0
	s_wait_xcnt 0x0
	s_mov_b32 s0, exec_lo
	ds_store_b128 v1, v[10:13]
	s_wait_loadcnt_dscnt 0x0
	s_barrier_signal -1
	s_barrier_wait -1
	v_cmpx_gt_u32_e32 0x80, v0
	s_cbranch_execz .LBB216_9
; %bb.8:
	ds_load_b128 v[6:9], v1 offset:2048
	ds_load_b128 v[10:13], v1
	s_wait_dscnt 0x0
	v_add_f64_e32 v[6:7], v[6:7], v[10:11]
	v_add_f64_e32 v[8:9], v[8:9], v[12:13]
	ds_store_b128 v1, v[6:9]
.LBB216_9:
	s_or_b32 exec_lo, exec_lo, s0
	s_delay_alu instid0(SALU_CYCLE_1)
	s_mov_b32 s0, exec_lo
	s_wait_dscnt 0x0
	s_barrier_signal -1
	s_barrier_wait -1
	v_cmpx_gt_u32_e32 64, v0
	s_cbranch_execz .LBB216_11
; %bb.10:
	ds_load_b128 v[6:9], v1 offset:1024
	ds_load_b128 v[10:13], v1
	s_wait_dscnt 0x0
	v_add_f64_e32 v[6:7], v[6:7], v[10:11]
	v_add_f64_e32 v[8:9], v[8:9], v[12:13]
	ds_store_b128 v1, v[6:9]
.LBB216_11:
	s_or_b32 exec_lo, exec_lo, s0
	s_delay_alu instid0(SALU_CYCLE_1)
	s_mov_b32 s0, exec_lo
	s_wait_dscnt 0x0
	;; [unrolled: 16-line block ×6, first 2 shown]
	s_barrier_signal -1
	s_barrier_wait -1
	v_cmpx_gt_u32_e32 2, v0
	s_cbranch_execz .LBB216_21
; %bb.20:
	ds_load_b128 v[6:9], v1
	ds_load_b128 v[10:13], v1 offset:32
	s_wait_dscnt 0x0
	v_add_f64_e32 v[6:7], v[10:11], v[6:7]
	v_add_f64_e32 v[8:9], v[12:13], v[8:9]
	ds_store_b128 v1, v[6:9]
.LBB216_21:
	s_or_b32 exec_lo, exec_lo, s0
	v_cmp_eq_u32_e32 vcc_lo, 0, v0
	s_wait_dscnt 0x0
	s_barrier_signal -1
	s_barrier_wait -1
	s_and_saveexec_b32 s0, vcc_lo
	s_cbranch_execz .LBB216_23
; %bb.22:
	v_mov_b32_e32 v0, 0
	ds_load_b128 v[6:9], v0
	ds_load_b128 v[10:13], v0 offset:16
	s_wait_dscnt 0x0
	v_add_f64_e32 v[6:7], v[10:11], v[6:7]
	v_add_f64_e32 v[8:9], v[12:13], v[8:9]
	ds_store_b128 v0, v[6:9]
.LBB216_23:
	s_or_b32 exec_lo, exec_lo, s0
	s_wait_dscnt 0x0
	s_barrier_signal -1
	s_barrier_wait -1
	s_and_b32 exec_lo, exec_lo, vcc_lo
	s_cbranch_execz .LBB216_27
; %bb.24:
	v_cmp_neq_f64_e32 vcc_lo, 0, v[2:3]
	v_cmp_neq_f64_e64 s0, 0, v[4:5]
	v_mov_b32_e32 v0, 0
	ds_load_b128 v[6:9], v0
	s_or_b32 s1, vcc_lo, s0
	s_delay_alu instid0(SALU_CYCLE_1)
	s_and_saveexec_b32 s0, s1
	s_cbranch_execz .LBB216_26
; %bb.25:
	s_lshl_b64 s[6:7], s[2:3], 4
	s_wait_kmcnt 0x0
	s_add_nc_u64 s[6:7], s[4:5], s[6:7]
	s_load_b128 s[8:11], s[6:7], 0x0
	s_wait_dscnt 0x0
	s_wait_kmcnt 0x0
	v_fmac_f64_e32 v[6:7], s[8:9], v[2:3]
	v_fmac_f64_e32 v[8:9], s[8:9], v[4:5]
	s_delay_alu instid0(VALU_DEP_2) | instskip(NEXT) | instid1(VALU_DEP_2)
	v_fma_f64 v[6:7], -v[4:5], s[10:11], v[6:7]
	v_fmac_f64_e32 v[8:9], s[10:11], v[2:3]
.LBB216_26:
	s_or_b32 exec_lo, exec_lo, s0
	s_lshl_b64 s[0:1], s[2:3], 4
	s_wait_kmcnt 0x0
	s_add_nc_u64 s[0:1], s[4:5], s[0:1]
	s_wait_dscnt 0x0
	global_store_b128 v0, v[6:9], s[0:1]
.LBB216_27:
	s_endpgm
	.section	.rodata,"a",@progbits
	.p2align	6, 0x0
	.amdhsa_kernel _ZN9rocsparseL29csrmvn_lrb_medium_rows_kernelILj256Eli21rocsparse_complex_numIfES1_IdES3_S3_EEvbT0_PT1_S6_jNS_24const_host_device_scalarIT5_EEPKS4_PKS5_PKT2_PKT3_S9_PT4_21rocsparse_index_base_b
		.amdhsa_group_segment_fixed_size 4096
		.amdhsa_private_segment_fixed_size 0
		.amdhsa_kernarg_size 120
		.amdhsa_user_sgpr_count 2
		.amdhsa_user_sgpr_dispatch_ptr 0
		.amdhsa_user_sgpr_queue_ptr 0
		.amdhsa_user_sgpr_kernarg_segment_ptr 1
		.amdhsa_user_sgpr_dispatch_id 0
		.amdhsa_user_sgpr_kernarg_preload_length 0
		.amdhsa_user_sgpr_kernarg_preload_offset 0
		.amdhsa_user_sgpr_private_segment_size 0
		.amdhsa_wavefront_size32 1
		.amdhsa_uses_dynamic_stack 0
		.amdhsa_enable_private_segment 0
		.amdhsa_system_sgpr_workgroup_id_x 1
		.amdhsa_system_sgpr_workgroup_id_y 0
		.amdhsa_system_sgpr_workgroup_id_z 0
		.amdhsa_system_sgpr_workgroup_info 0
		.amdhsa_system_vgpr_workitem_id 0
		.amdhsa_next_free_vgpr 30
		.amdhsa_next_free_sgpr 16
		.amdhsa_named_barrier_count 0
		.amdhsa_reserve_vcc 1
		.amdhsa_float_round_mode_32 0
		.amdhsa_float_round_mode_16_64 0
		.amdhsa_float_denorm_mode_32 3
		.amdhsa_float_denorm_mode_16_64 3
		.amdhsa_fp16_overflow 0
		.amdhsa_memory_ordered 1
		.amdhsa_forward_progress 1
		.amdhsa_inst_pref_size 11
		.amdhsa_round_robin_scheduling 0
		.amdhsa_exception_fp_ieee_invalid_op 0
		.amdhsa_exception_fp_denorm_src 0
		.amdhsa_exception_fp_ieee_div_zero 0
		.amdhsa_exception_fp_ieee_overflow 0
		.amdhsa_exception_fp_ieee_underflow 0
		.amdhsa_exception_fp_ieee_inexact 0
		.amdhsa_exception_int_div_zero 0
	.end_amdhsa_kernel
	.section	.text._ZN9rocsparseL29csrmvn_lrb_medium_rows_kernelILj256Eli21rocsparse_complex_numIfES1_IdES3_S3_EEvbT0_PT1_S6_jNS_24const_host_device_scalarIT5_EEPKS4_PKS5_PKT2_PKT3_S9_PT4_21rocsparse_index_base_b,"axG",@progbits,_ZN9rocsparseL29csrmvn_lrb_medium_rows_kernelILj256Eli21rocsparse_complex_numIfES1_IdES3_S3_EEvbT0_PT1_S6_jNS_24const_host_device_scalarIT5_EEPKS4_PKS5_PKT2_PKT3_S9_PT4_21rocsparse_index_base_b,comdat
.Lfunc_end216:
	.size	_ZN9rocsparseL29csrmvn_lrb_medium_rows_kernelILj256Eli21rocsparse_complex_numIfES1_IdES3_S3_EEvbT0_PT1_S6_jNS_24const_host_device_scalarIT5_EEPKS4_PKS5_PKT2_PKT3_S9_PT4_21rocsparse_index_base_b, .Lfunc_end216-_ZN9rocsparseL29csrmvn_lrb_medium_rows_kernelILj256Eli21rocsparse_complex_numIfES1_IdES3_S3_EEvbT0_PT1_S6_jNS_24const_host_device_scalarIT5_EEPKS4_PKS5_PKT2_PKT3_S9_PT4_21rocsparse_index_base_b
                                        ; -- End function
	.set _ZN9rocsparseL29csrmvn_lrb_medium_rows_kernelILj256Eli21rocsparse_complex_numIfES1_IdES3_S3_EEvbT0_PT1_S6_jNS_24const_host_device_scalarIT5_EEPKS4_PKS5_PKT2_PKT3_S9_PT4_21rocsparse_index_base_b.num_vgpr, 30
	.set _ZN9rocsparseL29csrmvn_lrb_medium_rows_kernelILj256Eli21rocsparse_complex_numIfES1_IdES3_S3_EEvbT0_PT1_S6_jNS_24const_host_device_scalarIT5_EEPKS4_PKS5_PKT2_PKT3_S9_PT4_21rocsparse_index_base_b.num_agpr, 0
	.set _ZN9rocsparseL29csrmvn_lrb_medium_rows_kernelILj256Eli21rocsparse_complex_numIfES1_IdES3_S3_EEvbT0_PT1_S6_jNS_24const_host_device_scalarIT5_EEPKS4_PKS5_PKT2_PKT3_S9_PT4_21rocsparse_index_base_b.numbered_sgpr, 16
	.set _ZN9rocsparseL29csrmvn_lrb_medium_rows_kernelILj256Eli21rocsparse_complex_numIfES1_IdES3_S3_EEvbT0_PT1_S6_jNS_24const_host_device_scalarIT5_EEPKS4_PKS5_PKT2_PKT3_S9_PT4_21rocsparse_index_base_b.num_named_barrier, 0
	.set _ZN9rocsparseL29csrmvn_lrb_medium_rows_kernelILj256Eli21rocsparse_complex_numIfES1_IdES3_S3_EEvbT0_PT1_S6_jNS_24const_host_device_scalarIT5_EEPKS4_PKS5_PKT2_PKT3_S9_PT4_21rocsparse_index_base_b.private_seg_size, 0
	.set _ZN9rocsparseL29csrmvn_lrb_medium_rows_kernelILj256Eli21rocsparse_complex_numIfES1_IdES3_S3_EEvbT0_PT1_S6_jNS_24const_host_device_scalarIT5_EEPKS4_PKS5_PKT2_PKT3_S9_PT4_21rocsparse_index_base_b.uses_vcc, 1
	.set _ZN9rocsparseL29csrmvn_lrb_medium_rows_kernelILj256Eli21rocsparse_complex_numIfES1_IdES3_S3_EEvbT0_PT1_S6_jNS_24const_host_device_scalarIT5_EEPKS4_PKS5_PKT2_PKT3_S9_PT4_21rocsparse_index_base_b.uses_flat_scratch, 0
	.set _ZN9rocsparseL29csrmvn_lrb_medium_rows_kernelILj256Eli21rocsparse_complex_numIfES1_IdES3_S3_EEvbT0_PT1_S6_jNS_24const_host_device_scalarIT5_EEPKS4_PKS5_PKT2_PKT3_S9_PT4_21rocsparse_index_base_b.has_dyn_sized_stack, 0
	.set _ZN9rocsparseL29csrmvn_lrb_medium_rows_kernelILj256Eli21rocsparse_complex_numIfES1_IdES3_S3_EEvbT0_PT1_S6_jNS_24const_host_device_scalarIT5_EEPKS4_PKS5_PKT2_PKT3_S9_PT4_21rocsparse_index_base_b.has_recursion, 0
	.set _ZN9rocsparseL29csrmvn_lrb_medium_rows_kernelILj256Eli21rocsparse_complex_numIfES1_IdES3_S3_EEvbT0_PT1_S6_jNS_24const_host_device_scalarIT5_EEPKS4_PKS5_PKT2_PKT3_S9_PT4_21rocsparse_index_base_b.has_indirect_call, 0
	.section	.AMDGPU.csdata,"",@progbits
; Kernel info:
; codeLenInByte = 1348
; TotalNumSgprs: 18
; NumVgprs: 30
; ScratchSize: 0
; MemoryBound: 0
; FloatMode: 240
; IeeeMode: 1
; LDSByteSize: 4096 bytes/workgroup (compile time only)
; SGPRBlocks: 0
; VGPRBlocks: 1
; NumSGPRsForWavesPerEU: 18
; NumVGPRsForWavesPerEU: 30
; NamedBarCnt: 0
; Occupancy: 16
; WaveLimiterHint : 1
; COMPUTE_PGM_RSRC2:SCRATCH_EN: 0
; COMPUTE_PGM_RSRC2:USER_SGPR: 2
; COMPUTE_PGM_RSRC2:TRAP_HANDLER: 0
; COMPUTE_PGM_RSRC2:TGID_X_EN: 1
; COMPUTE_PGM_RSRC2:TGID_Y_EN: 0
; COMPUTE_PGM_RSRC2:TGID_Z_EN: 0
; COMPUTE_PGM_RSRC2:TIDIG_COMP_CNT: 0
	.section	.text._ZN9rocsparseL27csrmvn_lrb_long_rows_kernelIli21rocsparse_complex_numIfES1_IdES3_S3_EEvbT_PjPT0_S7_jNS_24const_host_device_scalarIT4_EEPKS4_PKS6_PKT1_PKT2_SA_PT3_21rocsparse_index_base_b,"axG",@progbits,_ZN9rocsparseL27csrmvn_lrb_long_rows_kernelIli21rocsparse_complex_numIfES1_IdES3_S3_EEvbT_PjPT0_S7_jNS_24const_host_device_scalarIT4_EEPKS4_PKS6_PKT1_PKT2_SA_PT3_21rocsparse_index_base_b,comdat
	.globl	_ZN9rocsparseL27csrmvn_lrb_long_rows_kernelIli21rocsparse_complex_numIfES1_IdES3_S3_EEvbT_PjPT0_S7_jNS_24const_host_device_scalarIT4_EEPKS4_PKS6_PKT1_PKT2_SA_PT3_21rocsparse_index_base_b ; -- Begin function _ZN9rocsparseL27csrmvn_lrb_long_rows_kernelIli21rocsparse_complex_numIfES1_IdES3_S3_EEvbT_PjPT0_S7_jNS_24const_host_device_scalarIT4_EEPKS4_PKS6_PKT1_PKT2_SA_PT3_21rocsparse_index_base_b
	.p2align	8
	.type	_ZN9rocsparseL27csrmvn_lrb_long_rows_kernelIli21rocsparse_complex_numIfES1_IdES3_S3_EEvbT_PjPT0_S7_jNS_24const_host_device_scalarIT4_EEPKS4_PKS6_PKT1_PKT2_SA_PT3_21rocsparse_index_base_b,@function
_ZN9rocsparseL27csrmvn_lrb_long_rows_kernelIli21rocsparse_complex_numIfES1_IdES3_S3_EEvbT_PjPT0_S7_jNS_24const_host_device_scalarIT4_EEPKS4_PKS6_PKT1_PKT2_SA_PT3_21rocsparse_index_base_b: ; @_ZN9rocsparseL27csrmvn_lrb_long_rows_kernelIli21rocsparse_complex_numIfES1_IdES3_S3_EEvbT_PjPT0_S7_jNS_24const_host_device_scalarIT4_EEPKS4_PKS6_PKT1_PKT2_SA_PT3_21rocsparse_index_base_b
; %bb.0:
	s_clause 0x1
	s_load_b64 s[20:21], s[0:1], 0x78
	s_load_b64 s[2:3], s[0:1], 0x30
	v_mov_b32_e32 v1, 0
	s_add_nc_u64 s[4:5], s[0:1], 48
	s_load_b64 s[6:7], s[0:1], 0x60
	s_wait_kmcnt 0x0
	s_bitcmp1_b32 s21, 0
	s_cselect_b32 s3, s5, s3
	s_cselect_b32 s2, s4, s2
	flat_load_b128 v[2:5], v1, s[2:3]
	s_wait_xcnt 0x0
	s_add_nc_u64 s[2:3], s[0:1], 0x60
	s_delay_alu instid0(SALU_CYCLE_1)
	s_cselect_b32 s3, s3, s7
	s_cselect_b32 s2, s2, s6
	flat_load_b128 v[10:13], v1, s[2:3]
	s_wait_loadcnt_dscnt 0x101
	v_cmp_eq_f64_e32 vcc_lo, 0, v[2:3]
	s_wait_xcnt 0x0
	v_cmp_eq_f64_e64 s2, 0, v[4:5]
	s_and_b32 s4, vcc_lo, s2
	s_mov_b32 s2, -1
	s_and_saveexec_b32 s3, s4
	s_cbranch_execz .LBB217_2
; %bb.1:
	s_wait_loadcnt_dscnt 0x0
	v_cmp_neq_f64_e32 vcc_lo, 1.0, v[10:11]
	v_cmp_neq_f64_e64 s2, 0, v[12:13]
	s_or_b32 s2, vcc_lo, s2
	s_delay_alu instid0(SALU_CYCLE_1)
	s_or_not1_b32 s2, s2, exec_lo
.LBB217_2:
	s_or_b32 exec_lo, exec_lo, s3
	s_and_saveexec_b32 s3, s2
	s_cbranch_execz .LBB217_38
; %bb.3:
	s_load_b96 s[4:6], s[0:1], 0x20
	s_bfe_u32 s8, ttmp6, 0x4000c
	s_and_b32 s7, ttmp6, 15
	s_add_co_i32 s8, s8, 1
	s_getreg_b32 s9, hwreg(HW_REG_IB_STS2, 6, 4)
	s_mul_i32 s8, ttmp9, s8
	v_mov_b64_e32 v[6:7], 0
	s_add_co_i32 s7, s7, s8
	v_mov_b64_e32 v[8:9], 0
	s_mov_b32 s23, 0
	s_wait_kmcnt 0x0
	s_lshl_b32 s2, -1, s6
	s_load_b32 s8, s[4:5], s6 offset:0x0 scale_offset
	s_not_b32 s2, s2
	s_delay_alu instid0(SALU_CYCLE_1) | instskip(NEXT) | instid1(SALU_CYCLE_1)
	s_mul_hi_u32 s2, s2, 0x2aaaaaab
	s_lshr_b32 s2, s2, 7
	s_delay_alu instid0(SALU_CYCLE_1) | instskip(SKIP_2) | instid1(SALU_CYCLE_3)
	s_add_co_i32 s21, s2, 1
	s_not_b32 s2, s2
	s_cvt_f32_u32 s3, s21
	v_rcp_iflag_f32_e32 v1, s3
	v_nop
	s_delay_alu instid0(TRANS32_DEP_1) | instskip(SKIP_1) | instid1(SALU_CYCLE_3)
	v_readfirstlane_b32 s3, v1
	s_mul_f32 s3, s3, 0x4f7ffffe
	s_cvt_u32_f32 s3, s3
	s_delay_alu instid0(SALU_CYCLE_3) | instskip(NEXT) | instid1(SALU_CYCLE_1)
	s_mul_i32 s2, s2, s3
	s_mul_hi_u32 s2, s3, s2
	s_delay_alu instid0(SALU_CYCLE_1)
	s_add_co_i32 s3, s3, s2
	s_cmp_eq_u32 s9, 0
	s_cselect_b32 s12, ttmp9, s7
	s_wait_xcnt 0x0
	s_load_b128 s[4:7], s[0:1], 0x10
	s_mul_hi_u32 s2, s12, s3
	s_delay_alu instid0(SALU_CYCLE_1) | instskip(SKIP_2) | instid1(SALU_CYCLE_1)
	s_mul_i32 s3, s2, s21
	s_add_co_i32 s9, s2, 1
	s_sub_co_i32 s3, s12, s3
	s_sub_co_i32 s10, s3, s21
	s_cmp_ge_u32 s3, s21
	s_cselect_b32 s2, s9, s2
	s_cselect_b32 s3, s10, s3
	s_add_co_i32 s9, s2, 1
	s_cmp_ge_u32 s3, s21
	s_cselect_b32 s22, s9, s2
	s_ashr_i32 s13, s12, 31
	s_wait_kmcnt 0x0
	s_add_co_i32 s2, s22, s8
	s_lshl_b64 s[14:15], s[12:13], 2
	s_ashr_i32 s3, s2, 31
	s_add_nc_u64 s[16:17], s[4:5], s[14:15]
	s_lshl_b64 s[2:3], s[2:3], 2
	s_delay_alu instid0(SALU_CYCLE_1)
	s_add_nc_u64 s[8:9], s[6:7], s[2:3]
	s_load_b32 s2, s[8:9], 0x0
	s_clause 0x1
	s_load_b64 s[10:11], s[0:1], 0x40
	s_load_b64 s[6:7], s[0:1], 0x70
	s_wait_kmcnt 0x0
	s_ashr_i32 s3, s2, 31
	s_delay_alu instid0(SALU_CYCLE_1) | instskip(NEXT) | instid1(SALU_CYCLE_1)
	s_lshl_b64 s[8:9], s[2:3], 3
	s_add_nc_u64 s[18:19], s[10:11], s[8:9]
	s_load_b128 s[8:11], s[18:19], 0x0
	s_load_b32 s24, s[16:17], 0x0
	s_wait_xcnt 0x0
	s_mul_i32 s18, s22, s21
	s_mov_b32 s21, exec_lo
	s_sub_co_i32 s19, s12, s18
	s_delay_alu instid0(SALU_CYCLE_1) | instskip(NEXT) | instid1(VALU_DEP_1)
	v_or_b32_e32 v1, s19, v0
	v_cmpx_eq_u32_e32 0, v1
	s_cbranch_execz .LBB217_7
; %bb.4:
	s_wait_loadcnt_dscnt 0x0
	v_add_f64_e32 v[10:11], -1.0, v[10:11]
	s_lshl_b64 s[12:13], s[2:3], 4
	s_mov_b32 s22, exec_lo
	s_add_nc_u64 s[26:27], s[6:7], s[12:13]
	v_mbcnt_lo_u32_b32 v1, s22, 0
	s_load_b128 s[12:15], s[26:27], 0x0
	global_wb scope:SCOPE_DEV
	s_wait_storecnt 0x0
	global_inv scope:SCOPE_DEV
	s_wait_kmcnt 0x0
	v_mul_f64_e64 v[6:7], s[14:15], -v[12:13]
	v_mul_f64_e32 v[8:9], s[14:15], v[10:11]
	s_mov_b32 s14, exec_lo
	v_cmpx_eq_u32_e32 0, v1
	s_cbranch_execz .LBB217_6
; %bb.5:
	s_bcnt1_i32_b32 s15, s22
	s_delay_alu instid0(SALU_CYCLE_1) | instskip(NEXT) | instid1(SALU_CYCLE_1)
	s_and_b32 s15, s15, 1
	v_dual_mov_b32 v1, s18 :: v_dual_mov_b32 v14, s15
	global_atomic_xor_b32 v1, v14, s[4:5] scale_offset scope:SCOPE_DEV
.LBB217_6:
	s_wait_xcnt 0x0
	s_or_b32 exec_lo, exec_lo, s14
	s_delay_alu instid0(VALU_DEP_3) | instskip(NEXT) | instid1(VALU_DEP_3)
	v_fmac_f64_e32 v[6:7], s[12:13], v[10:11]
	v_fmac_f64_e32 v[8:9], s[12:13], v[12:13]
.LBB217_7:
	s_or_b32 exec_lo, exec_lo, s21
	s_mul_i32 s22, s19, 3
	s_mov_b32 s21, s23
	s_lshl_b64 s[12:13], s[22:23], 8
	s_wait_kmcnt 0x0
	s_sub_nc_u64 s[8:9], s[8:9], s[20:21]
	s_sub_nc_u64 s[10:11], s[10:11], s[20:21]
	s_add_nc_u64 s[8:9], s[8:9], s[12:13]
	v_mov_b32_e32 v1, 0
	s_add_nc_u64 s[12:13], s[8:9], 0x300
	s_wait_loadcnt_dscnt 0x0
	v_min_i64 v[10:11], s[12:13], s[10:11]
	s_mov_b32 s10, exec_lo
	v_add_nc_u64_e32 v[12:13], s[8:9], v[0:1]
	s_delay_alu instid0(VALU_DEP_1)
	v_cmpx_lt_i64_e64 v[12:13], v[10:11]
	s_cbranch_execz .LBB217_11
; %bb.8:
	s_clause 0x2
	s_load_b128 s[12:15], s[0:1], 0x48
	s_load_b32 s11, s[0:1], 0x0
	s_load_b64 s[8:9], s[0:1], 0x58
	s_wait_xcnt 0x0
	s_mov_b32 s0, 0
	s_wait_kmcnt 0x0
	v_lshl_add_u64 v[14:15], v[12:13], 3, s[14:15]
	v_lshl_add_u64 v[16:17], v[12:13], 2, s[12:13]
	s_bitcmp1_b32 s11, 0
	s_cselect_b32 s1, -1, 0
	s_delay_alu instid0(VALU_DEP_2)
	v_add_nc_u64_e32 v[14:15], 4, v[14:15]
.LBB217_9:                              ; =>This Inner Loop Header: Depth=1
	global_load_b32 v1, v[16:17], off
	global_load_b64 v[22:23], v[14:15], off offset:-4
	v_add_nc_u64_e32 v[12:13], 0x100, v[12:13]
	s_wait_xcnt 0x0
	v_add_nc_u64_e32 v[14:15], 0x800, v[14:15]
	v_add_nc_u64_e32 v[16:17], 0x400, v[16:17]
	s_delay_alu instid0(VALU_DEP_3)
	v_cmp_ge_i64_e32 vcc_lo, v[12:13], v[10:11]
	s_or_b32 s0, vcc_lo, s0
	s_wait_loadcnt 0x1
	v_subrev_nc_u32_e32 v1, s20, v1
	global_load_b128 v[18:21], v1, s[8:9] scale_offset
	s_wait_loadcnt 0x1
	s_wait_xcnt 0x0
	v_cndmask_b32_e64 v1, v23, -v23, s1
	v_cvt_f64_f32_e32 v[22:23], v22
	s_delay_alu instid0(VALU_DEP_2) | instskip(NEXT) | instid1(VALU_DEP_1)
	v_cvt_f64_f32_e32 v[24:25], v1
	v_mul_f64_e64 v[26:27], -v[4:5], v[24:25]
	v_mul_f64_e32 v[24:25], v[2:3], v[24:25]
	s_delay_alu instid0(VALU_DEP_2) | instskip(NEXT) | instid1(VALU_DEP_2)
	v_fmac_f64_e32 v[26:27], v[2:3], v[22:23]
	v_fmac_f64_e32 v[24:25], v[4:5], v[22:23]
	s_wait_loadcnt 0x0
	s_delay_alu instid0(VALU_DEP_2) | instskip(NEXT) | instid1(VALU_DEP_2)
	v_fmac_f64_e32 v[6:7], v[26:27], v[18:19]
	v_fmac_f64_e32 v[8:9], v[24:25], v[18:19]
	s_delay_alu instid0(VALU_DEP_2) | instskip(NEXT) | instid1(VALU_DEP_2)
	v_fma_f64 v[6:7], -v[24:25], v[20:21], v[6:7]
	v_fmac_f64_e32 v[8:9], v[26:27], v[20:21]
	s_and_not1_b32 exec_lo, exec_lo, s0
	s_cbranch_execnz .LBB217_9
; %bb.10:
	s_or_b32 exec_lo, exec_lo, s0
.LBB217_11:
	s_delay_alu instid0(SALU_CYCLE_1)
	s_or_b32 exec_lo, exec_lo, s10
	v_lshlrev_b32_e32 v1, 4, v0
	s_mov_b32 s0, exec_lo
	ds_store_b128 v1, v[6:9]
	s_wait_storecnt_dscnt 0x0
	s_barrier_signal -1
	s_barrier_wait -1
	v_cmpx_gt_u32_e32 0x80, v0
	s_cbranch_execz .LBB217_13
; %bb.12:
	ds_load_b128 v[2:5], v1 offset:2048
	ds_load_b128 v[6:9], v1
	s_wait_dscnt 0x0
	v_add_f64_e32 v[2:3], v[2:3], v[6:7]
	v_add_f64_e32 v[4:5], v[4:5], v[8:9]
	ds_store_b128 v1, v[2:5]
.LBB217_13:
	s_or_b32 exec_lo, exec_lo, s0
	s_delay_alu instid0(SALU_CYCLE_1)
	s_mov_b32 s0, exec_lo
	s_wait_dscnt 0x0
	s_barrier_signal -1
	s_barrier_wait -1
	v_cmpx_gt_u32_e32 64, v0
	s_cbranch_execz .LBB217_15
; %bb.14:
	ds_load_b128 v[2:5], v1 offset:1024
	ds_load_b128 v[6:9], v1
	s_wait_dscnt 0x0
	v_add_f64_e32 v[2:3], v[2:3], v[6:7]
	v_add_f64_e32 v[4:5], v[4:5], v[8:9]
	ds_store_b128 v1, v[2:5]
.LBB217_15:
	s_or_b32 exec_lo, exec_lo, s0
	s_delay_alu instid0(SALU_CYCLE_1)
	s_mov_b32 s0, exec_lo
	s_wait_dscnt 0x0
	;; [unrolled: 16-line block ×6, first 2 shown]
	s_barrier_signal -1
	s_barrier_wait -1
	v_cmpx_gt_u32_e32 2, v0
	s_cbranch_execz .LBB217_25
; %bb.24:
	ds_load_b128 v[2:5], v1
	ds_load_b128 v[6:9], v1 offset:32
	s_wait_dscnt 0x0
	v_add_f64_e32 v[2:3], v[6:7], v[2:3]
	v_add_f64_e32 v[4:5], v[8:9], v[4:5]
	ds_store_b128 v1, v[2:5]
.LBB217_25:
	s_or_b32 exec_lo, exec_lo, s0
	v_cmp_eq_u32_e32 vcc_lo, 0, v0
	s_wait_dscnt 0x0
	s_barrier_signal -1
	s_barrier_wait -1
	s_and_saveexec_b32 s0, vcc_lo
	s_cbranch_execz .LBB217_27
; %bb.26:
	v_mov_b32_e32 v8, 0
	ds_load_b128 v[0:3], v8
	ds_load_b128 v[4:7], v8 offset:16
	s_wait_dscnt 0x0
	v_add_f64_e32 v[0:1], v[4:5], v[0:1]
	v_add_f64_e32 v[2:3], v[6:7], v[2:3]
	ds_store_b128 v8, v[0:3]
.LBB217_27:
	s_or_b32 exec_lo, exec_lo, s0
	s_wait_dscnt 0x0
	s_barrier_signal -1
	s_barrier_wait -1
	s_and_b32 exec_lo, exec_lo, vcc_lo
	s_cbranch_execz .LBB217_38
; %bb.28:
	s_cmp_eq_u32 s19, 0
	s_cbranch_scc1 .LBB217_34
; %bb.29:
	s_ashr_i32 s19, s18, 31
	v_mov_b32_e32 v0, 0
	s_lshl_b64 s[0:1], s[18:19], 2
	s_delay_alu instid0(SALU_CYCLE_1)
	s_add_nc_u64 s[0:1], s[4:5], s[0:1]
	s_branch .LBB217_31
.LBB217_30:                             ;   in Loop: Header=BB217_31 Depth=1
	s_wait_xcnt 0x0
	s_or_b32 exec_lo, exec_lo, s4
	s_wait_loadcnt 0x0
	v_readfirstlane_b32 s4, v1
	s_cmp_eq_u32 s4, s24
	s_cbranch_scc0 .LBB217_33
.LBB217_31:                             ; =>This Inner Loop Header: Depth=1
	v_mbcnt_lo_u32_b32 v1, exec_lo, 0
	s_delay_alu instid0(VALU_DEP_1)
	v_cmp_eq_u32_e32 vcc_lo, 0, v1
                                        ; implicit-def: $vgpr1
	s_and_saveexec_b32 s4, vcc_lo
	s_cbranch_execz .LBB217_30
; %bb.32:                               ;   in Loop: Header=BB217_31 Depth=1
	global_load_b32 v1, v0, s[0:1] scope:SCOPE_DEV
	s_branch .LBB217_30
.LBB217_33:
	v_mov_b32_e32 v0, 0
	global_load_u16 v1, v0, s[16:17]
	s_wait_loadcnt 0x0
	v_xor_b32_e32 v1, 1, v1
	global_store_b16 v0, v1, s[16:17]
.LBB217_34:
	v_mov_b32_e32 v4, 0
	s_mov_b32 s4, exec_lo
	s_lshl_b64 s[0:1], s[2:3], 4
	v_mbcnt_lo_u32_b32 v5, s4, 0
	s_add_nc_u64 s[0:1], s[6:7], s[0:1]
	s_wait_xcnt 0x0
	ds_load_b128 v[0:3], v4
	s_mov_b32 s2, exec_lo
	v_cmpx_eq_u32_e32 0, v5
	s_cbranch_execz .LBB217_36
; %bb.35:
	s_bcnt1_i32_b32 s3, s4
	s_delay_alu instid0(SALU_CYCLE_1) | instskip(SKIP_1) | instid1(VALU_DEP_1)
	v_cvt_f64_u32_e32 v[6:7], s3
	s_wait_dscnt 0x0
	v_mul_f64_e32 v[0:1], v[0:1], v[6:7]
	global_atomic_add_f64 v4, v[0:1], s[0:1] scope:SCOPE_DEV
.LBB217_36:
	s_wait_xcnt 0x0
	s_or_b32 exec_lo, exec_lo, s2
	s_delay_alu instid0(SALU_CYCLE_1) | instskip(SKIP_2) | instid1(VALU_DEP_1)
	s_mov_b32 s2, exec_lo
	s_wait_dscnt 0x0
	v_mbcnt_lo_u32_b32 v0, s2, 0
	v_cmp_eq_u32_e32 vcc_lo, 0, v0
	s_and_b32 s3, exec_lo, vcc_lo
	s_delay_alu instid0(SALU_CYCLE_1)
	s_mov_b32 exec_lo, s3
	s_cbranch_execz .LBB217_38
; %bb.37:
	s_bcnt1_i32_b32 s2, s2
	s_delay_alu instid0(SALU_CYCLE_1) | instskip(NEXT) | instid1(VALU_DEP_1)
	v_cvt_f64_u32_e32 v[0:1], s2
	v_dual_mul_f64 v[0:1], v[2:3], v[0:1] :: v_dual_mov_b32 v2, 0
	global_atomic_add_f64 v2, v[0:1], s[0:1] offset:8 scope:SCOPE_DEV
.LBB217_38:
	s_endpgm
	.section	.rodata,"a",@progbits
	.p2align	6, 0x0
	.amdhsa_kernel _ZN9rocsparseL27csrmvn_lrb_long_rows_kernelIli21rocsparse_complex_numIfES1_IdES3_S3_EEvbT_PjPT0_S7_jNS_24const_host_device_scalarIT4_EEPKS4_PKS6_PKT1_PKT2_SA_PT3_21rocsparse_index_base_b
		.amdhsa_group_segment_fixed_size 4096
		.amdhsa_private_segment_fixed_size 0
		.amdhsa_kernarg_size 128
		.amdhsa_user_sgpr_count 2
		.amdhsa_user_sgpr_dispatch_ptr 0
		.amdhsa_user_sgpr_queue_ptr 0
		.amdhsa_user_sgpr_kernarg_segment_ptr 1
		.amdhsa_user_sgpr_dispatch_id 0
		.amdhsa_user_sgpr_kernarg_preload_length 0
		.amdhsa_user_sgpr_kernarg_preload_offset 0
		.amdhsa_user_sgpr_private_segment_size 0
		.amdhsa_wavefront_size32 1
		.amdhsa_uses_dynamic_stack 0
		.amdhsa_enable_private_segment 0
		.amdhsa_system_sgpr_workgroup_id_x 1
		.amdhsa_system_sgpr_workgroup_id_y 0
		.amdhsa_system_sgpr_workgroup_id_z 0
		.amdhsa_system_sgpr_workgroup_info 0
		.amdhsa_system_vgpr_workitem_id 0
		.amdhsa_next_free_vgpr 28
		.amdhsa_next_free_sgpr 28
		.amdhsa_named_barrier_count 0
		.amdhsa_reserve_vcc 1
		.amdhsa_float_round_mode_32 0
		.amdhsa_float_round_mode_16_64 0
		.amdhsa_float_denorm_mode_32 3
		.amdhsa_float_denorm_mode_16_64 3
		.amdhsa_fp16_overflow 0
		.amdhsa_memory_ordered 1
		.amdhsa_forward_progress 1
		.amdhsa_inst_pref_size 15
		.amdhsa_round_robin_scheduling 0
		.amdhsa_exception_fp_ieee_invalid_op 0
		.amdhsa_exception_fp_denorm_src 0
		.amdhsa_exception_fp_ieee_div_zero 0
		.amdhsa_exception_fp_ieee_overflow 0
		.amdhsa_exception_fp_ieee_underflow 0
		.amdhsa_exception_fp_ieee_inexact 0
		.amdhsa_exception_int_div_zero 0
	.end_amdhsa_kernel
	.section	.text._ZN9rocsparseL27csrmvn_lrb_long_rows_kernelIli21rocsparse_complex_numIfES1_IdES3_S3_EEvbT_PjPT0_S7_jNS_24const_host_device_scalarIT4_EEPKS4_PKS6_PKT1_PKT2_SA_PT3_21rocsparse_index_base_b,"axG",@progbits,_ZN9rocsparseL27csrmvn_lrb_long_rows_kernelIli21rocsparse_complex_numIfES1_IdES3_S3_EEvbT_PjPT0_S7_jNS_24const_host_device_scalarIT4_EEPKS4_PKS6_PKT1_PKT2_SA_PT3_21rocsparse_index_base_b,comdat
.Lfunc_end217:
	.size	_ZN9rocsparseL27csrmvn_lrb_long_rows_kernelIli21rocsparse_complex_numIfES1_IdES3_S3_EEvbT_PjPT0_S7_jNS_24const_host_device_scalarIT4_EEPKS4_PKS6_PKT1_PKT2_SA_PT3_21rocsparse_index_base_b, .Lfunc_end217-_ZN9rocsparseL27csrmvn_lrb_long_rows_kernelIli21rocsparse_complex_numIfES1_IdES3_S3_EEvbT_PjPT0_S7_jNS_24const_host_device_scalarIT4_EEPKS4_PKS6_PKT1_PKT2_SA_PT3_21rocsparse_index_base_b
                                        ; -- End function
	.set _ZN9rocsparseL27csrmvn_lrb_long_rows_kernelIli21rocsparse_complex_numIfES1_IdES3_S3_EEvbT_PjPT0_S7_jNS_24const_host_device_scalarIT4_EEPKS4_PKS6_PKT1_PKT2_SA_PT3_21rocsparse_index_base_b.num_vgpr, 28
	.set _ZN9rocsparseL27csrmvn_lrb_long_rows_kernelIli21rocsparse_complex_numIfES1_IdES3_S3_EEvbT_PjPT0_S7_jNS_24const_host_device_scalarIT4_EEPKS4_PKS6_PKT1_PKT2_SA_PT3_21rocsparse_index_base_b.num_agpr, 0
	.set _ZN9rocsparseL27csrmvn_lrb_long_rows_kernelIli21rocsparse_complex_numIfES1_IdES3_S3_EEvbT_PjPT0_S7_jNS_24const_host_device_scalarIT4_EEPKS4_PKS6_PKT1_PKT2_SA_PT3_21rocsparse_index_base_b.numbered_sgpr, 28
	.set _ZN9rocsparseL27csrmvn_lrb_long_rows_kernelIli21rocsparse_complex_numIfES1_IdES3_S3_EEvbT_PjPT0_S7_jNS_24const_host_device_scalarIT4_EEPKS4_PKS6_PKT1_PKT2_SA_PT3_21rocsparse_index_base_b.num_named_barrier, 0
	.set _ZN9rocsparseL27csrmvn_lrb_long_rows_kernelIli21rocsparse_complex_numIfES1_IdES3_S3_EEvbT_PjPT0_S7_jNS_24const_host_device_scalarIT4_EEPKS4_PKS6_PKT1_PKT2_SA_PT3_21rocsparse_index_base_b.private_seg_size, 0
	.set _ZN9rocsparseL27csrmvn_lrb_long_rows_kernelIli21rocsparse_complex_numIfES1_IdES3_S3_EEvbT_PjPT0_S7_jNS_24const_host_device_scalarIT4_EEPKS4_PKS6_PKT1_PKT2_SA_PT3_21rocsparse_index_base_b.uses_vcc, 1
	.set _ZN9rocsparseL27csrmvn_lrb_long_rows_kernelIli21rocsparse_complex_numIfES1_IdES3_S3_EEvbT_PjPT0_S7_jNS_24const_host_device_scalarIT4_EEPKS4_PKS6_PKT1_PKT2_SA_PT3_21rocsparse_index_base_b.uses_flat_scratch, 0
	.set _ZN9rocsparseL27csrmvn_lrb_long_rows_kernelIli21rocsparse_complex_numIfES1_IdES3_S3_EEvbT_PjPT0_S7_jNS_24const_host_device_scalarIT4_EEPKS4_PKS6_PKT1_PKT2_SA_PT3_21rocsparse_index_base_b.has_dyn_sized_stack, 0
	.set _ZN9rocsparseL27csrmvn_lrb_long_rows_kernelIli21rocsparse_complex_numIfES1_IdES3_S3_EEvbT_PjPT0_S7_jNS_24const_host_device_scalarIT4_EEPKS4_PKS6_PKT1_PKT2_SA_PT3_21rocsparse_index_base_b.has_recursion, 0
	.set _ZN9rocsparseL27csrmvn_lrb_long_rows_kernelIli21rocsparse_complex_numIfES1_IdES3_S3_EEvbT_PjPT0_S7_jNS_24const_host_device_scalarIT4_EEPKS4_PKS6_PKT1_PKT2_SA_PT3_21rocsparse_index_base_b.has_indirect_call, 0
	.section	.AMDGPU.csdata,"",@progbits
; Kernel info:
; codeLenInByte = 1884
; TotalNumSgprs: 30
; NumVgprs: 28
; ScratchSize: 0
; MemoryBound: 0
; FloatMode: 240
; IeeeMode: 1
; LDSByteSize: 4096 bytes/workgroup (compile time only)
; SGPRBlocks: 0
; VGPRBlocks: 1
; NumSGPRsForWavesPerEU: 30
; NumVGPRsForWavesPerEU: 28
; NamedBarCnt: 0
; Occupancy: 16
; WaveLimiterHint : 1
; COMPUTE_PGM_RSRC2:SCRATCH_EN: 0
; COMPUTE_PGM_RSRC2:USER_SGPR: 2
; COMPUTE_PGM_RSRC2:TRAP_HANDLER: 0
; COMPUTE_PGM_RSRC2:TGID_X_EN: 1
; COMPUTE_PGM_RSRC2:TGID_Y_EN: 0
; COMPUTE_PGM_RSRC2:TGID_Z_EN: 0
; COMPUTE_PGM_RSRC2:TIDIG_COMP_CNT: 0
	.section	.text._ZN9rocsparseL28csrmvn_lrb_short_rows_kernelIll21rocsparse_complex_numIfES1_IdES3_S3_EEvbT_PT0_S6_jNS_24const_host_device_scalarIT4_EEPKS4_PKS5_PKT1_PKT2_S9_PT3_21rocsparse_index_base_b,"axG",@progbits,_ZN9rocsparseL28csrmvn_lrb_short_rows_kernelIll21rocsparse_complex_numIfES1_IdES3_S3_EEvbT_PT0_S6_jNS_24const_host_device_scalarIT4_EEPKS4_PKS5_PKT1_PKT2_S9_PT3_21rocsparse_index_base_b,comdat
	.globl	_ZN9rocsparseL28csrmvn_lrb_short_rows_kernelIll21rocsparse_complex_numIfES1_IdES3_S3_EEvbT_PT0_S6_jNS_24const_host_device_scalarIT4_EEPKS4_PKS5_PKT1_PKT2_S9_PT3_21rocsparse_index_base_b ; -- Begin function _ZN9rocsparseL28csrmvn_lrb_short_rows_kernelIll21rocsparse_complex_numIfES1_IdES3_S3_EEvbT_PT0_S6_jNS_24const_host_device_scalarIT4_EEPKS4_PKS5_PKT1_PKT2_S9_PT3_21rocsparse_index_base_b
	.p2align	8
	.type	_ZN9rocsparseL28csrmvn_lrb_short_rows_kernelIll21rocsparse_complex_numIfES1_IdES3_S3_EEvbT_PT0_S6_jNS_24const_host_device_scalarIT4_EEPKS4_PKS5_PKT1_PKT2_S9_PT3_21rocsparse_index_base_b,@function
_ZN9rocsparseL28csrmvn_lrb_short_rows_kernelIll21rocsparse_complex_numIfES1_IdES3_S3_EEvbT_PT0_S6_jNS_24const_host_device_scalarIT4_EEPKS4_PKS5_PKT1_PKT2_S9_PT3_21rocsparse_index_base_b: ; @_ZN9rocsparseL28csrmvn_lrb_short_rows_kernelIll21rocsparse_complex_numIfES1_IdES3_S3_EEvbT_PT0_S6_jNS_24const_host_device_scalarIT4_EEPKS4_PKS5_PKT1_PKT2_S9_PT3_21rocsparse_index_base_b
; %bb.0:
	s_clause 0x1
	s_load_b64 s[16:17], s[0:1], 0x70
	s_load_b64 s[2:3], s[0:1], 0x28
	v_mov_b32_e32 v1, 0
	s_add_nc_u64 s[4:5], s[0:1], 40
	s_load_b64 s[6:7], s[0:1], 0x58
	s_wait_kmcnt 0x0
	s_bitcmp1_b32 s17, 0
	s_cselect_b32 s3, s5, s3
	s_cselect_b32 s2, s4, s2
	flat_load_b128 v[6:9], v1, s[2:3]
	s_wait_xcnt 0x0
	s_add_nc_u64 s[2:3], s[0:1], 0x58
	s_delay_alu instid0(SALU_CYCLE_1)
	s_cselect_b32 s3, s3, s7
	s_cselect_b32 s2, s2, s6
	flat_load_b128 v[2:5], v1, s[2:3]
	s_wait_loadcnt_dscnt 0x101
	v_cmp_eq_f64_e32 vcc_lo, 0, v[6:7]
	s_wait_xcnt 0x0
	v_cmp_eq_f64_e64 s2, 0, v[8:9]
	s_and_b32 s4, vcc_lo, s2
	s_mov_b32 s2, -1
	s_and_saveexec_b32 s3, s4
	s_cbranch_execz .LBB218_2
; %bb.1:
	s_wait_loadcnt_dscnt 0x0
	v_cmp_neq_f64_e32 vcc_lo, 1.0, v[2:3]
	v_cmp_neq_f64_e64 s2, 0, v[4:5]
	s_or_b32 s2, vcc_lo, s2
	s_delay_alu instid0(SALU_CYCLE_1)
	s_or_not1_b32 s2, s2, exec_lo
.LBB218_2:
	s_or_b32 exec_lo, exec_lo, s3
	s_and_saveexec_b32 s3, s2
	s_cbranch_execz .LBB218_16
; %bb.3:
	s_clause 0x1
	s_load_b32 s20, s[0:1], 0x20
	s_load_b128 s[12:15], s[0:1], 0x10
	s_mov_b32 s17, 0
	s_getreg_b32 s7, hwreg(HW_REG_IB_STS2, 6, 4)
	s_mov_b32 s3, s17
	s_wait_kmcnt 0x0
	s_add_co_i32 s2, s20, 1
	s_delay_alu instid0(SALU_CYCLE_1) | instskip(NEXT) | instid1(SALU_CYCLE_1)
	s_lshl_b64 s[2:3], s[2:3], 3
	s_add_nc_u64 s[4:5], s[14:15], s[2:3]
	s_clause 0x1
	s_load_b64 s[2:3], s[14:15], s20 offset:0x0 scale_offset
	s_load_b32 s6, s[4:5], 0x0
	s_wait_xcnt 0x0
	s_bfe_u32 s4, ttmp6, 0x4000c
	s_and_b32 s5, ttmp6, 15
	s_add_co_i32 s4, s4, 1
	s_delay_alu instid0(SALU_CYCLE_1) | instskip(NEXT) | instid1(SALU_CYCLE_1)
	s_mul_i32 s4, ttmp9, s4
	s_add_co_i32 s5, s5, s4
	s_wait_kmcnt 0x0
	s_sub_co_i32 s6, s6, s2
	s_cmp_eq_u32 s7, 0
	s_cselect_b32 s4, ttmp9, s5
	s_delay_alu instid0(SALU_CYCLE_1) | instskip(NEXT) | instid1(SALU_CYCLE_1)
	s_lshl_b32 s14, s4, 8
	s_add_co_i32 s4, s14, 0x100
	s_delay_alu instid0(SALU_CYCLE_1)
	s_min_u32 s15, s6, s4
	s_cmp_gt_u32 s20, 23
	s_cbranch_scc1 .LBB218_10
; %bb.4:
	s_clause 0x1
	s_load_b32 s18, s[0:1], 0x0
	s_load_b256 s[4:11], s[0:1], 0x38
	s_lshl_b32 s21, 0x100, s20
	v_bfe_u32 v14, v0, 0, s20
	v_mov_b32_e32 v15, 0
	v_lshl_add_u32 v1, v0, 4, 0
	s_mov_b32 s23, s17
	s_wait_kmcnt 0x0
	s_bitcmp1_b32 s18, 0
	s_cselect_b32 s22, -1, 0
	s_lshl_b64 s[18:19], s[2:3], 3
	s_delay_alu instid0(SALU_CYCLE_1)
	s_add_nc_u64 s[18:19], s[12:13], s[18:19]
	s_branch .LBB218_7
.LBB218_5:                              ;   in Loop: Header=BB218_7 Depth=1
	s_or_b32 exec_lo, exec_lo, s25
	ds_store_2addr_b64 v1, v[12:13], v[16:17] offset1:1
.LBB218_6:                              ;   in Loop: Header=BB218_7 Depth=1
	s_or_b32 exec_lo, exec_lo, s24
	v_add_nc_u32_e32 v1, 0x1000, v1
	s_addk_co_i32 s23, 0x100
	s_delay_alu instid0(SALU_CYCLE_1)
	s_cmp_ge_u32 s23, s21
	s_cbranch_scc1 .LBB218_10
.LBB218_7:                              ; =>This Inner Loop Header: Depth=1
	v_add_nc_u32_e32 v10, s23, v0
	s_mov_b32 s24, exec_lo
	s_delay_alu instid0(VALU_DEP_1) | instskip(NEXT) | instid1(VALU_DEP_1)
	v_lshrrev_b32_e32 v10, s20, v10
	v_add_nc_u32_e32 v10, s14, v10
	s_delay_alu instid0(VALU_DEP_1)
	v_cmpx_gt_u32_e64 s15, v10
	s_cbranch_execz .LBB218_6
; %bb.8:                                ;   in Loop: Header=BB218_7 Depth=1
	global_load_b64 v[10:11], v10, s[18:19] scale_offset
	s_wait_loadcnt 0x0
	s_wait_xcnt 0x0
	v_lshl_add_u64 v[10:11], v[10:11], 3, s[4:5]
	global_load_b128 v[10:13], v[10:11], off
	s_wait_loadcnt 0x0
	v_sub_nc_u64_e32 v[16:17], v[12:13], v[10:11]
	v_mov_b64_e32 v[12:13], 0
	s_delay_alu instid0(VALU_DEP_2)
	v_cmp_gt_i64_e32 vcc_lo, v[16:17], v[14:15]
	v_mov_b64_e32 v[16:17], 0
	s_wait_xcnt 0x0
	s_and_saveexec_b32 s25, vcc_lo
	s_cbranch_execz .LBB218_5
; %bb.9:                                ;   in Loop: Header=BB218_7 Depth=1
	v_sub_nc_u64_e64 v[10:11], v[10:11], s[16:17]
	s_delay_alu instid0(VALU_DEP_1) | instskip(NEXT) | instid1(VALU_DEP_1)
	v_add_nc_u64_e32 v[10:11], v[10:11], v[14:15]
	v_lshlrev_b64_e32 v[10:11], 3, v[10:11]
	s_delay_alu instid0(VALU_DEP_1)
	v_add_nc_u64_e32 v[12:13], s[6:7], v[10:11]
	v_add_nc_u64_e32 v[10:11], s[8:9], v[10:11]
	global_load_b64 v[12:13], v[12:13], off
	global_load_b64 v[10:11], v[10:11], off
	s_wait_loadcnt 0x1
	s_wait_xcnt 0x1
	v_sub_nc_u64_e64 v[12:13], v[12:13], s[16:17]
	s_wait_loadcnt 0x0
	s_wait_xcnt 0x0
	v_cndmask_b32_e64 v11, v11, -v11, s22
	s_delay_alu instid0(VALU_DEP_2) | instskip(SKIP_4) | instid1(VALU_DEP_2)
	v_lshl_add_u64 v[12:13], v[12:13], 4, s[10:11]
	global_load_b128 v[18:21], v[12:13], off
	s_wait_xcnt 0x0
	v_cvt_f64_f32_e32 v[12:13], v11
	v_cvt_f64_f32_e32 v[10:11], v10
	v_mul_f64_e32 v[22:23], v[6:7], v[12:13]
	v_mul_f64_e64 v[24:25], -v[8:9], v[12:13]
	s_delay_alu instid0(VALU_DEP_2) | instskip(NEXT) | instid1(VALU_DEP_2)
	v_fmac_f64_e32 v[22:23], v[8:9], v[10:11]
	v_fmac_f64_e32 v[24:25], v[6:7], v[10:11]
	s_wait_loadcnt 0x0
	s_delay_alu instid0(VALU_DEP_2) | instskip(NEXT) | instid1(VALU_DEP_2)
	v_mul_f64_e64 v[12:13], v[20:21], -v[22:23]
	v_mul_f64_e32 v[16:17], v[20:21], v[24:25]
	s_delay_alu instid0(VALU_DEP_2) | instskip(NEXT) | instid1(VALU_DEP_2)
	v_fmac_f64_e32 v[12:13], v[24:25], v[18:19]
	v_fmac_f64_e32 v[16:17], v[22:23], v[18:19]
	s_branch .LBB218_5
.LBB218_10:
	s_sub_co_i32 s4, s15, s14
	s_wait_loadcnt_dscnt 0x0
	v_cmp_gt_u32_e32 vcc_lo, s4, v0
	s_barrier_signal -1
	s_barrier_wait -1
	s_and_b32 exec_lo, exec_lo, vcc_lo
	s_cbranch_execz .LBB218_16
; %bb.11:
	s_lshl_b64 s[2:3], s[2:3], 3
	s_mov_b32 s15, 0
	s_add_nc_u64 s[2:3], s[12:13], s[2:3]
	s_lshl_b64 s[4:5], s[14:15], 3
	v_mov_b64_e32 v[8:9], 0
	s_add_nc_u64 s[2:3], s[2:3], s[4:5]
	global_load_b64 v[10:11], v0, s[2:3] scale_offset
	s_wait_xcnt 0x0
	s_load_b64 s[2:3], s[0:1], 0x68
	v_lshlrev_b32_e32 v0, s20, v0
	s_wait_xcnt 0x0
	s_mov_b32 s0, 1
	v_mov_b64_e32 v[6:7], v[8:9]
	s_delay_alu instid0(VALU_DEP_2)
	v_lshl_add_u32 v0, v0, 4, 0
.LBB218_12:                             ; =>This Inner Loop Header: Depth=1
	ds_load_2addr_b64 v[12:15], v0 offset1:1
	s_lshr_b32 s1, s0, s20
	s_add_co_i32 s0, s0, 1
	s_cmp_lg_u32 s1, 0
	s_wait_dscnt 0x0
	v_dual_add_f64 v[8:9], v[8:9], v[14:15] :: v_dual_add_nc_u32 v0, 16, v0
	v_add_f64_e32 v[6:7], v[6:7], v[12:13]
	s_cbranch_scc0 .LBB218_12
; %bb.13:
	v_cmp_neq_f64_e32 vcc_lo, 0, v[2:3]
	v_cmp_neq_f64_e64 s0, 0, v[4:5]
	s_wait_loadcnt 0x0
	s_wait_kmcnt 0x0
	v_lshl_add_u64 v[0:1], v[10:11], 4, s[2:3]
	s_or_b32 s1, vcc_lo, s0
	s_delay_alu instid0(SALU_CYCLE_1)
	s_and_saveexec_b32 s0, s1
	s_cbranch_execz .LBB218_15
; %bb.14:
	global_load_b128 v[10:13], v[0:1], off
	s_wait_loadcnt 0x0
	v_fmac_f64_e32 v[6:7], v[2:3], v[10:11]
	v_fmac_f64_e32 v[8:9], v[4:5], v[10:11]
	s_delay_alu instid0(VALU_DEP_2) | instskip(NEXT) | instid1(VALU_DEP_2)
	v_fma_f64 v[6:7], -v[4:5], v[12:13], v[6:7]
	v_fmac_f64_e32 v[8:9], v[2:3], v[12:13]
.LBB218_15:
	s_or_b32 exec_lo, exec_lo, s0
	global_store_b128 v[0:1], v[6:9], off
.LBB218_16:
	s_endpgm
	.section	.rodata,"a",@progbits
	.p2align	6, 0x0
	.amdhsa_kernel _ZN9rocsparseL28csrmvn_lrb_short_rows_kernelIll21rocsparse_complex_numIfES1_IdES3_S3_EEvbT_PT0_S6_jNS_24const_host_device_scalarIT4_EEPKS4_PKS5_PKT1_PKT2_S9_PT3_21rocsparse_index_base_b
		.amdhsa_group_segment_fixed_size 0
		.amdhsa_private_segment_fixed_size 0
		.amdhsa_kernarg_size 120
		.amdhsa_user_sgpr_count 2
		.amdhsa_user_sgpr_dispatch_ptr 0
		.amdhsa_user_sgpr_queue_ptr 0
		.amdhsa_user_sgpr_kernarg_segment_ptr 1
		.amdhsa_user_sgpr_dispatch_id 0
		.amdhsa_user_sgpr_kernarg_preload_length 0
		.amdhsa_user_sgpr_kernarg_preload_offset 0
		.amdhsa_user_sgpr_private_segment_size 0
		.amdhsa_wavefront_size32 1
		.amdhsa_uses_dynamic_stack 0
		.amdhsa_enable_private_segment 0
		.amdhsa_system_sgpr_workgroup_id_x 1
		.amdhsa_system_sgpr_workgroup_id_y 0
		.amdhsa_system_sgpr_workgroup_id_z 0
		.amdhsa_system_sgpr_workgroup_info 0
		.amdhsa_system_vgpr_workitem_id 0
		.amdhsa_next_free_vgpr 26
		.amdhsa_next_free_sgpr 26
		.amdhsa_named_barrier_count 0
		.amdhsa_reserve_vcc 1
		.amdhsa_float_round_mode_32 0
		.amdhsa_float_round_mode_16_64 0
		.amdhsa_float_denorm_mode_32 3
		.amdhsa_float_denorm_mode_16_64 3
		.amdhsa_fp16_overflow 0
		.amdhsa_memory_ordered 1
		.amdhsa_forward_progress 1
		.amdhsa_inst_pref_size 8
		.amdhsa_round_robin_scheduling 0
		.amdhsa_exception_fp_ieee_invalid_op 0
		.amdhsa_exception_fp_denorm_src 0
		.amdhsa_exception_fp_ieee_div_zero 0
		.amdhsa_exception_fp_ieee_overflow 0
		.amdhsa_exception_fp_ieee_underflow 0
		.amdhsa_exception_fp_ieee_inexact 0
		.amdhsa_exception_int_div_zero 0
	.end_amdhsa_kernel
	.section	.text._ZN9rocsparseL28csrmvn_lrb_short_rows_kernelIll21rocsparse_complex_numIfES1_IdES3_S3_EEvbT_PT0_S6_jNS_24const_host_device_scalarIT4_EEPKS4_PKS5_PKT1_PKT2_S9_PT3_21rocsparse_index_base_b,"axG",@progbits,_ZN9rocsparseL28csrmvn_lrb_short_rows_kernelIll21rocsparse_complex_numIfES1_IdES3_S3_EEvbT_PT0_S6_jNS_24const_host_device_scalarIT4_EEPKS4_PKS5_PKT1_PKT2_S9_PT3_21rocsparse_index_base_b,comdat
.Lfunc_end218:
	.size	_ZN9rocsparseL28csrmvn_lrb_short_rows_kernelIll21rocsparse_complex_numIfES1_IdES3_S3_EEvbT_PT0_S6_jNS_24const_host_device_scalarIT4_EEPKS4_PKS5_PKT1_PKT2_S9_PT3_21rocsparse_index_base_b, .Lfunc_end218-_ZN9rocsparseL28csrmvn_lrb_short_rows_kernelIll21rocsparse_complex_numIfES1_IdES3_S3_EEvbT_PT0_S6_jNS_24const_host_device_scalarIT4_EEPKS4_PKS5_PKT1_PKT2_S9_PT3_21rocsparse_index_base_b
                                        ; -- End function
	.set _ZN9rocsparseL28csrmvn_lrb_short_rows_kernelIll21rocsparse_complex_numIfES1_IdES3_S3_EEvbT_PT0_S6_jNS_24const_host_device_scalarIT4_EEPKS4_PKS5_PKT1_PKT2_S9_PT3_21rocsparse_index_base_b.num_vgpr, 26
	.set _ZN9rocsparseL28csrmvn_lrb_short_rows_kernelIll21rocsparse_complex_numIfES1_IdES3_S3_EEvbT_PT0_S6_jNS_24const_host_device_scalarIT4_EEPKS4_PKS5_PKT1_PKT2_S9_PT3_21rocsparse_index_base_b.num_agpr, 0
	.set _ZN9rocsparseL28csrmvn_lrb_short_rows_kernelIll21rocsparse_complex_numIfES1_IdES3_S3_EEvbT_PT0_S6_jNS_24const_host_device_scalarIT4_EEPKS4_PKS5_PKT1_PKT2_S9_PT3_21rocsparse_index_base_b.numbered_sgpr, 26
	.set _ZN9rocsparseL28csrmvn_lrb_short_rows_kernelIll21rocsparse_complex_numIfES1_IdES3_S3_EEvbT_PT0_S6_jNS_24const_host_device_scalarIT4_EEPKS4_PKS5_PKT1_PKT2_S9_PT3_21rocsparse_index_base_b.num_named_barrier, 0
	.set _ZN9rocsparseL28csrmvn_lrb_short_rows_kernelIll21rocsparse_complex_numIfES1_IdES3_S3_EEvbT_PT0_S6_jNS_24const_host_device_scalarIT4_EEPKS4_PKS5_PKT1_PKT2_S9_PT3_21rocsparse_index_base_b.private_seg_size, 0
	.set _ZN9rocsparseL28csrmvn_lrb_short_rows_kernelIll21rocsparse_complex_numIfES1_IdES3_S3_EEvbT_PT0_S6_jNS_24const_host_device_scalarIT4_EEPKS4_PKS5_PKT1_PKT2_S9_PT3_21rocsparse_index_base_b.uses_vcc, 1
	.set _ZN9rocsparseL28csrmvn_lrb_short_rows_kernelIll21rocsparse_complex_numIfES1_IdES3_S3_EEvbT_PT0_S6_jNS_24const_host_device_scalarIT4_EEPKS4_PKS5_PKT1_PKT2_S9_PT3_21rocsparse_index_base_b.uses_flat_scratch, 0
	.set _ZN9rocsparseL28csrmvn_lrb_short_rows_kernelIll21rocsparse_complex_numIfES1_IdES3_S3_EEvbT_PT0_S6_jNS_24const_host_device_scalarIT4_EEPKS4_PKS5_PKT1_PKT2_S9_PT3_21rocsparse_index_base_b.has_dyn_sized_stack, 0
	.set _ZN9rocsparseL28csrmvn_lrb_short_rows_kernelIll21rocsparse_complex_numIfES1_IdES3_S3_EEvbT_PT0_S6_jNS_24const_host_device_scalarIT4_EEPKS4_PKS5_PKT1_PKT2_S9_PT3_21rocsparse_index_base_b.has_recursion, 0
	.set _ZN9rocsparseL28csrmvn_lrb_short_rows_kernelIll21rocsparse_complex_numIfES1_IdES3_S3_EEvbT_PT0_S6_jNS_24const_host_device_scalarIT4_EEPKS4_PKS5_PKT1_PKT2_S9_PT3_21rocsparse_index_base_b.has_indirect_call, 0
	.section	.AMDGPU.csdata,"",@progbits
; Kernel info:
; codeLenInByte = 996
; TotalNumSgprs: 28
; NumVgprs: 26
; ScratchSize: 0
; MemoryBound: 0
; FloatMode: 240
; IeeeMode: 1
; LDSByteSize: 0 bytes/workgroup (compile time only)
; SGPRBlocks: 0
; VGPRBlocks: 1
; NumSGPRsForWavesPerEU: 28
; NumVGPRsForWavesPerEU: 26
; NamedBarCnt: 0
; Occupancy: 16
; WaveLimiterHint : 1
; COMPUTE_PGM_RSRC2:SCRATCH_EN: 0
; COMPUTE_PGM_RSRC2:USER_SGPR: 2
; COMPUTE_PGM_RSRC2:TRAP_HANDLER: 0
; COMPUTE_PGM_RSRC2:TGID_X_EN: 1
; COMPUTE_PGM_RSRC2:TGID_Y_EN: 0
; COMPUTE_PGM_RSRC2:TGID_Z_EN: 0
; COMPUTE_PGM_RSRC2:TIDIG_COMP_CNT: 0
	.section	.text._ZN9rocsparseL30csrmvn_lrb_short_rows_2_kernelIll21rocsparse_complex_numIfES1_IdES3_S3_EEvbT_PT0_S6_jNS_24const_host_device_scalarIT4_EEPKS4_PKS5_PKT1_PKT2_S9_PT3_21rocsparse_index_base_b,"axG",@progbits,_ZN9rocsparseL30csrmvn_lrb_short_rows_2_kernelIll21rocsparse_complex_numIfES1_IdES3_S3_EEvbT_PT0_S6_jNS_24const_host_device_scalarIT4_EEPKS4_PKS5_PKT1_PKT2_S9_PT3_21rocsparse_index_base_b,comdat
	.globl	_ZN9rocsparseL30csrmvn_lrb_short_rows_2_kernelIll21rocsparse_complex_numIfES1_IdES3_S3_EEvbT_PT0_S6_jNS_24const_host_device_scalarIT4_EEPKS4_PKS5_PKT1_PKT2_S9_PT3_21rocsparse_index_base_b ; -- Begin function _ZN9rocsparseL30csrmvn_lrb_short_rows_2_kernelIll21rocsparse_complex_numIfES1_IdES3_S3_EEvbT_PT0_S6_jNS_24const_host_device_scalarIT4_EEPKS4_PKS5_PKT1_PKT2_S9_PT3_21rocsparse_index_base_b
	.p2align	8
	.type	_ZN9rocsparseL30csrmvn_lrb_short_rows_2_kernelIll21rocsparse_complex_numIfES1_IdES3_S3_EEvbT_PT0_S6_jNS_24const_host_device_scalarIT4_EEPKS4_PKS5_PKT1_PKT2_S9_PT3_21rocsparse_index_base_b,@function
_ZN9rocsparseL30csrmvn_lrb_short_rows_2_kernelIll21rocsparse_complex_numIfES1_IdES3_S3_EEvbT_PT0_S6_jNS_24const_host_device_scalarIT4_EEPKS4_PKS5_PKT1_PKT2_S9_PT3_21rocsparse_index_base_b: ; @_ZN9rocsparseL30csrmvn_lrb_short_rows_2_kernelIll21rocsparse_complex_numIfES1_IdES3_S3_EEvbT_PT0_S6_jNS_24const_host_device_scalarIT4_EEPKS4_PKS5_PKT1_PKT2_S9_PT3_21rocsparse_index_base_b
; %bb.0:
	s_clause 0x1
	s_load_b64 s[16:17], s[0:1], 0x70
	s_load_b64 s[2:3], s[0:1], 0x28
	v_mov_b32_e32 v1, 0
	s_add_nc_u64 s[4:5], s[0:1], 40
	s_load_b64 s[6:7], s[0:1], 0x58
	s_wait_kmcnt 0x0
	s_bitcmp1_b32 s17, 0
	s_cselect_b32 s3, s5, s3
	s_cselect_b32 s2, s4, s2
	flat_load_b128 v[6:9], v1, s[2:3]
	s_wait_xcnt 0x0
	s_add_nc_u64 s[2:3], s[0:1], 0x58
	s_delay_alu instid0(SALU_CYCLE_1)
	s_cselect_b32 s3, s3, s7
	s_cselect_b32 s2, s2, s6
	flat_load_b128 v[2:5], v1, s[2:3]
	s_wait_loadcnt_dscnt 0x101
	v_cmp_eq_f64_e32 vcc_lo, 0, v[6:7]
	s_wait_xcnt 0x0
	v_cmp_eq_f64_e64 s2, 0, v[8:9]
	s_and_b32 s4, vcc_lo, s2
	s_mov_b32 s2, -1
	s_and_saveexec_b32 s3, s4
	s_cbranch_execz .LBB219_2
; %bb.1:
	s_wait_loadcnt_dscnt 0x0
	v_cmp_neq_f64_e32 vcc_lo, 1.0, v[2:3]
	v_cmp_neq_f64_e64 s2, 0, v[4:5]
	s_or_b32 s2, vcc_lo, s2
	s_delay_alu instid0(SALU_CYCLE_1)
	s_or_not1_b32 s2, s2, exec_lo
.LBB219_2:
	s_or_b32 exec_lo, exec_lo, s3
	s_and_saveexec_b32 s3, s2
	s_cbranch_execz .LBB219_28
; %bb.3:
	s_clause 0x2
	s_load_b32 s18, s[0:1], 0x20
	s_load_b32 s2, s[0:1], 0x0
	s_load_b128 s[12:15], s[0:1], 0x10
	s_mov_b32 s21, 0
	s_wait_kmcnt 0x0
	v_dual_mov_b32 v19, 0 :: v_dual_lshrrev_b32 v1, s18, v0
	s_bitcmp1_b32 s2, 0
	v_bfe_u32 v18, v0, 0, s18
	s_cselect_b32 s3, -1, 0
	s_add_co_i32 s20, s18, 1
	s_and_b32 s17, ttmp6, 15
	s_lshl_b64 s[4:5], s[20:21], 3
	s_lshr_b32 s19, 0x400, s18
	s_add_nc_u64 s[22:23], s[14:15], s[4:5]
	s_clause 0x1
	s_load_b64 s[24:25], s[14:15], s18 offset:0x0 scale_offset
	s_load_b32 s2, s[22:23], 0x0
	s_load_b256 s[4:11], s[0:1], 0x38
	s_wait_xcnt 0x0
	s_bfe_u32 s14, ttmp6, 0x4000c
	s_getreg_b32 s15, hwreg(HW_REG_IB_STS2, 6, 4)
	s_add_co_i32 s14, s14, 1
	s_delay_alu instid0(SALU_CYCLE_1) | instskip(NEXT) | instid1(SALU_CYCLE_1)
	s_mul_i32 s14, ttmp9, s14
	s_add_co_i32 s17, s17, s14
	s_wait_kmcnt 0x0
	s_sub_co_i32 s14, s2, s24
	s_cmp_eq_u32 s15, 0
	s_cselect_b32 s2, ttmp9, s17
	s_mov_b32 s17, s21
	s_mul_i32 s2, s19, s2
	s_delay_alu instid0(SALU_CYCLE_1) | instskip(SKIP_3) | instid1(SALU_CYCLE_1)
	s_add_co_i32 s15, s2, s19
	v_add_nc_u32_e32 v1, s2, v1
	s_min_u32 s20, s14, s15
	s_lshl_b64 s[14:15], s[24:25], 3
	s_add_nc_u64 s[14:15], s[12:13], s[14:15]
	s_mov_b32 s12, exec_lo
	v_cmpx_gt_u32_e64 s20, v1
	s_cbranch_execz .LBB219_7
; %bb.4:
	global_load_b64 v[10:11], v1, s[14:15] scale_offset
	s_wait_loadcnt 0x0
	v_lshl_add_u64 v[10:11], v[10:11], 3, s[4:5]
	global_load_b128 v[14:17], v[10:11], off
	s_wait_xcnt 0x0
	v_mov_b64_e32 v[10:11], 0
	s_wait_loadcnt 0x0
	v_sub_nc_u64_e32 v[12:13], v[16:17], v[14:15]
	s_delay_alu instid0(VALU_DEP_1)
	v_cmp_gt_i64_e32 vcc_lo, v[12:13], v[18:19]
	v_mov_b64_e32 v[12:13], 0
	s_and_saveexec_b32 s13, vcc_lo
	s_cbranch_execz .LBB219_6
; %bb.5:
	v_sub_nc_u64_e64 v[10:11], v[14:15], s[16:17]
	s_delay_alu instid0(VALU_DEP_1) | instskip(NEXT) | instid1(VALU_DEP_1)
	v_add_nc_u64_e32 v[10:11], v[10:11], v[18:19]
	v_lshlrev_b64_e32 v[10:11], 3, v[10:11]
	s_delay_alu instid0(VALU_DEP_1)
	v_add_nc_u64_e32 v[12:13], s[6:7], v[10:11]
	v_add_nc_u64_e32 v[10:11], s[8:9], v[10:11]
	global_load_b64 v[12:13], v[12:13], off
	global_load_b64 v[10:11], v[10:11], off
	s_wait_loadcnt 0x1
	s_wait_xcnt 0x1
	v_sub_nc_u64_e64 v[12:13], v[12:13], s[16:17]
	s_wait_loadcnt 0x0
	v_cndmask_b32_e64 v1, v11, -v11, s3
	v_cvt_f64_f32_e32 v[10:11], v10
	s_delay_alu instid0(VALU_DEP_3) | instskip(SKIP_3) | instid1(VALU_DEP_1)
	v_lshl_add_u64 v[12:13], v[12:13], 4, s[10:11]
	global_load_b128 v[14:17], v[12:13], off
	s_wait_xcnt 0x0
	v_cvt_f64_f32_e32 v[12:13], v1
	v_mul_f64_e32 v[20:21], v[6:7], v[12:13]
	v_mul_f64_e64 v[22:23], -v[8:9], v[12:13]
	s_delay_alu instid0(VALU_DEP_2) | instskip(NEXT) | instid1(VALU_DEP_2)
	v_fmac_f64_e32 v[20:21], v[8:9], v[10:11]
	v_fmac_f64_e32 v[22:23], v[6:7], v[10:11]
	s_wait_loadcnt 0x0
	s_delay_alu instid0(VALU_DEP_2) | instskip(NEXT) | instid1(VALU_DEP_2)
	v_mul_f64_e64 v[10:11], v[16:17], -v[20:21]
	v_mul_f64_e32 v[12:13], v[16:17], v[22:23]
	s_delay_alu instid0(VALU_DEP_2) | instskip(NEXT) | instid1(VALU_DEP_2)
	v_fmac_f64_e32 v[10:11], v[22:23], v[14:15]
	v_fmac_f64_e32 v[12:13], v[20:21], v[14:15]
.LBB219_6:
	s_or_b32 exec_lo, exec_lo, s13
	v_lshlrev_b32_e32 v1, 4, v0
	ds_store_b128 v1, v[10:13]
.LBB219_7:
	s_or_b32 exec_lo, exec_lo, s12
	s_load_b64 s[12:13], s[0:1], 0x68
	v_or_b32_e32 v1, 0x100, v0
	s_wait_xcnt 0x0
	s_mov_b32 s0, exec_lo
	s_delay_alu instid0(VALU_DEP_1) | instskip(NEXT) | instid1(VALU_DEP_1)
	v_lshrrev_b32_e32 v1, s18, v1
	v_add_nc_u32_e32 v1, s2, v1
	s_delay_alu instid0(VALU_DEP_1)
	v_cmpx_gt_u32_e64 s20, v1
	s_cbranch_execz .LBB219_11
; %bb.8:
	global_load_b64 v[10:11], v1, s[14:15] scale_offset
	s_wait_loadcnt 0x0
	v_lshl_add_u64 v[10:11], v[10:11], 3, s[4:5]
	global_load_b128 v[14:17], v[10:11], off
	s_wait_xcnt 0x0
	v_mov_b64_e32 v[10:11], 0
	s_wait_loadcnt 0x0
	v_sub_nc_u64_e32 v[12:13], v[16:17], v[14:15]
	s_delay_alu instid0(VALU_DEP_1)
	v_cmp_gt_i64_e32 vcc_lo, v[12:13], v[18:19]
	v_mov_b64_e32 v[12:13], 0
	s_and_saveexec_b32 s1, vcc_lo
	s_cbranch_execz .LBB219_10
; %bb.9:
	v_sub_nc_u64_e64 v[10:11], v[14:15], s[16:17]
	s_delay_alu instid0(VALU_DEP_1) | instskip(NEXT) | instid1(VALU_DEP_1)
	v_add_nc_u64_e32 v[10:11], v[10:11], v[18:19]
	v_lshlrev_b64_e32 v[10:11], 3, v[10:11]
	s_delay_alu instid0(VALU_DEP_1)
	v_add_nc_u64_e32 v[12:13], s[6:7], v[10:11]
	v_add_nc_u64_e32 v[10:11], s[8:9], v[10:11]
	global_load_b64 v[12:13], v[12:13], off
	global_load_b64 v[10:11], v[10:11], off
	s_wait_loadcnt 0x1
	s_wait_xcnt 0x1
	v_sub_nc_u64_e64 v[12:13], v[12:13], s[16:17]
	s_wait_loadcnt 0x0
	v_cndmask_b32_e64 v1, v11, -v11, s3
	v_cvt_f64_f32_e32 v[10:11], v10
	s_delay_alu instid0(VALU_DEP_3) | instskip(SKIP_3) | instid1(VALU_DEP_1)
	v_lshl_add_u64 v[12:13], v[12:13], 4, s[10:11]
	global_load_b128 v[14:17], v[12:13], off
	s_wait_xcnt 0x0
	v_cvt_f64_f32_e32 v[12:13], v1
	v_mul_f64_e32 v[20:21], v[6:7], v[12:13]
	v_mul_f64_e64 v[22:23], -v[8:9], v[12:13]
	s_delay_alu instid0(VALU_DEP_2) | instskip(NEXT) | instid1(VALU_DEP_2)
	v_fmac_f64_e32 v[20:21], v[8:9], v[10:11]
	v_fmac_f64_e32 v[22:23], v[6:7], v[10:11]
	s_wait_loadcnt 0x0
	s_delay_alu instid0(VALU_DEP_2) | instskip(NEXT) | instid1(VALU_DEP_2)
	v_mul_f64_e64 v[10:11], v[16:17], -v[20:21]
	v_mul_f64_e32 v[12:13], v[16:17], v[22:23]
	s_delay_alu instid0(VALU_DEP_2) | instskip(NEXT) | instid1(VALU_DEP_2)
	v_fmac_f64_e32 v[10:11], v[22:23], v[14:15]
	v_fmac_f64_e32 v[12:13], v[20:21], v[14:15]
.LBB219_10:
	s_or_b32 exec_lo, exec_lo, s1
	v_lshlrev_b32_e32 v1, 4, v0
	ds_store_b128 v1, v[10:13] offset:4096
.LBB219_11:
	s_or_b32 exec_lo, exec_lo, s0
	v_or_b32_e32 v1, 0x200, v0
	s_mov_b32 s0, exec_lo
	s_delay_alu instid0(VALU_DEP_1) | instskip(NEXT) | instid1(VALU_DEP_1)
	v_lshrrev_b32_e32 v1, s18, v1
	v_add_nc_u32_e32 v1, s2, v1
	s_delay_alu instid0(VALU_DEP_1)
	v_cmpx_gt_u32_e64 s20, v1
	s_cbranch_execz .LBB219_15
; %bb.12:
	global_load_b64 v[10:11], v1, s[14:15] scale_offset
	s_wait_loadcnt 0x0
	v_lshl_add_u64 v[10:11], v[10:11], 3, s[4:5]
	global_load_b128 v[14:17], v[10:11], off
	s_wait_xcnt 0x0
	v_mov_b64_e32 v[10:11], 0
	s_wait_loadcnt 0x0
	v_sub_nc_u64_e32 v[12:13], v[16:17], v[14:15]
	s_delay_alu instid0(VALU_DEP_1)
	v_cmp_gt_i64_e32 vcc_lo, v[12:13], v[18:19]
	v_mov_b64_e32 v[12:13], 0
	s_and_saveexec_b32 s1, vcc_lo
	s_cbranch_execz .LBB219_14
; %bb.13:
	v_sub_nc_u64_e64 v[10:11], v[14:15], s[16:17]
	s_delay_alu instid0(VALU_DEP_1) | instskip(NEXT) | instid1(VALU_DEP_1)
	v_add_nc_u64_e32 v[10:11], v[10:11], v[18:19]
	v_lshlrev_b64_e32 v[10:11], 3, v[10:11]
	s_delay_alu instid0(VALU_DEP_1)
	v_add_nc_u64_e32 v[12:13], s[6:7], v[10:11]
	v_add_nc_u64_e32 v[10:11], s[8:9], v[10:11]
	global_load_b64 v[12:13], v[12:13], off
	global_load_b64 v[10:11], v[10:11], off
	s_wait_loadcnt 0x1
	s_wait_xcnt 0x1
	v_sub_nc_u64_e64 v[12:13], v[12:13], s[16:17]
	s_wait_loadcnt 0x0
	v_cndmask_b32_e64 v1, v11, -v11, s3
	v_cvt_f64_f32_e32 v[10:11], v10
	s_delay_alu instid0(VALU_DEP_3) | instskip(SKIP_3) | instid1(VALU_DEP_1)
	v_lshl_add_u64 v[12:13], v[12:13], 4, s[10:11]
	global_load_b128 v[14:17], v[12:13], off
	s_wait_xcnt 0x0
	v_cvt_f64_f32_e32 v[12:13], v1
	v_mul_f64_e32 v[20:21], v[6:7], v[12:13]
	v_mul_f64_e64 v[22:23], -v[8:9], v[12:13]
	s_delay_alu instid0(VALU_DEP_2) | instskip(NEXT) | instid1(VALU_DEP_2)
	v_fmac_f64_e32 v[20:21], v[8:9], v[10:11]
	v_fmac_f64_e32 v[22:23], v[6:7], v[10:11]
	s_wait_loadcnt 0x0
	s_delay_alu instid0(VALU_DEP_2) | instskip(NEXT) | instid1(VALU_DEP_2)
	v_mul_f64_e64 v[10:11], v[16:17], -v[20:21]
	v_mul_f64_e32 v[12:13], v[16:17], v[22:23]
	s_delay_alu instid0(VALU_DEP_2) | instskip(NEXT) | instid1(VALU_DEP_2)
	v_fmac_f64_e32 v[10:11], v[22:23], v[14:15]
	v_fmac_f64_e32 v[12:13], v[20:21], v[14:15]
.LBB219_14:
	s_or_b32 exec_lo, exec_lo, s1
	v_lshlrev_b32_e32 v1, 4, v0
	ds_store_b128 v1, v[10:13] offset:8192
.LBB219_15:
	s_or_b32 exec_lo, exec_lo, s0
	v_or_b32_e32 v1, 0x300, v0
	s_mov_b32 s0, exec_lo
	s_delay_alu instid0(VALU_DEP_1) | instskip(NEXT) | instid1(VALU_DEP_1)
	v_lshrrev_b32_e32 v1, s18, v1
	v_add_nc_u32_e32 v1, s2, v1
	s_delay_alu instid0(VALU_DEP_1)
	v_cmpx_gt_u32_e64 s20, v1
	s_cbranch_execz .LBB219_19
; %bb.16:
	global_load_b64 v[10:11], v1, s[14:15] scale_offset
	s_wait_loadcnt 0x0
	v_lshl_add_u64 v[10:11], v[10:11], 3, s[4:5]
	global_load_b128 v[14:17], v[10:11], off
	s_wait_xcnt 0x0
	v_mov_b64_e32 v[10:11], 0
	s_wait_loadcnt 0x0
	v_sub_nc_u64_e32 v[12:13], v[16:17], v[14:15]
	s_delay_alu instid0(VALU_DEP_1)
	v_cmp_gt_i64_e32 vcc_lo, v[12:13], v[18:19]
	v_mov_b64_e32 v[12:13], 0
	s_and_saveexec_b32 s1, vcc_lo
	s_cbranch_execz .LBB219_18
; %bb.17:
	v_sub_nc_u64_e64 v[10:11], v[14:15], s[16:17]
	s_delay_alu instid0(VALU_DEP_1) | instskip(NEXT) | instid1(VALU_DEP_1)
	v_add_nc_u64_e32 v[10:11], v[10:11], v[18:19]
	v_lshlrev_b64_e32 v[10:11], 3, v[10:11]
	s_delay_alu instid0(VALU_DEP_1)
	v_add_nc_u64_e32 v[12:13], s[6:7], v[10:11]
	v_add_nc_u64_e32 v[10:11], s[8:9], v[10:11]
	global_load_b64 v[12:13], v[12:13], off
	global_load_b64 v[10:11], v[10:11], off
	s_wait_loadcnt 0x1
	s_wait_xcnt 0x1
	v_sub_nc_u64_e64 v[12:13], v[12:13], s[16:17]
	s_wait_loadcnt 0x0
	v_cndmask_b32_e64 v1, v11, -v11, s3
	v_cvt_f64_f32_e32 v[10:11], v10
	s_delay_alu instid0(VALU_DEP_3) | instskip(SKIP_3) | instid1(VALU_DEP_1)
	v_lshl_add_u64 v[12:13], v[12:13], 4, s[10:11]
	global_load_b128 v[14:17], v[12:13], off
	s_wait_xcnt 0x0
	v_cvt_f64_f32_e32 v[12:13], v1
	v_mul_f64_e32 v[18:19], v[6:7], v[12:13]
	v_mul_f64_e64 v[20:21], -v[8:9], v[12:13]
	s_delay_alu instid0(VALU_DEP_2) | instskip(NEXT) | instid1(VALU_DEP_2)
	v_fmac_f64_e32 v[18:19], v[8:9], v[10:11]
	v_fmac_f64_e32 v[20:21], v[6:7], v[10:11]
	s_wait_loadcnt 0x0
	s_delay_alu instid0(VALU_DEP_2) | instskip(NEXT) | instid1(VALU_DEP_2)
	v_mul_f64_e64 v[10:11], v[16:17], -v[18:19]
	v_mul_f64_e32 v[12:13], v[16:17], v[20:21]
	s_delay_alu instid0(VALU_DEP_2) | instskip(NEXT) | instid1(VALU_DEP_2)
	v_fmac_f64_e32 v[10:11], v[20:21], v[14:15]
	v_fmac_f64_e32 v[12:13], v[18:19], v[14:15]
.LBB219_18:
	s_or_b32 exec_lo, exec_lo, s1
	v_lshlrev_b32_e32 v1, 4, v0
	ds_store_b128 v1, v[10:13] offset:12288
.LBB219_19:
	s_or_b32 exec_lo, exec_lo, s0
	s_cmp_lt_u32 s18, 11
	s_wait_loadcnt_dscnt 0x0
	s_barrier_signal -1
	s_barrier_wait -1
	s_cbranch_scc0 .LBB219_28
; %bb.20:
	v_cmp_neq_f64_e32 vcc_lo, 0, v[2:3]
	v_cmp_neq_f64_e64 s0, 0, v[4:5]
	s_mov_b32 s3, 0
	s_sub_co_i32 s1, s20, s2
	s_lshl_b64 s[4:5], s[2:3], 3
	s_delay_alu instid0(SALU_CYCLE_1)
	s_add_nc_u64 s[4:5], s[14:15], s[4:5]
	s_or_b32 s0, vcc_lo, s0
	s_branch .LBB219_23
.LBB219_21:                             ;   in Loop: Header=BB219_23 Depth=1
	s_wait_xcnt 0x0
	s_or_b32 exec_lo, exec_lo, s6
	global_store_b128 v[10:11], v[6:9], off
.LBB219_22:                             ;   in Loop: Header=BB219_23 Depth=1
	s_wait_xcnt 0x0
	s_or_b32 exec_lo, exec_lo, s2
	s_addk_co_i32 s3, 0x100
	s_delay_alu instid0(SALU_CYCLE_1)
	s_cmp_lt_u32 s3, s19
	s_cbranch_scc0 .LBB219_28
.LBB219_23:                             ; =>This Loop Header: Depth=1
                                        ;     Child Loop BB219_25 Depth 2
	v_add_nc_u32_e32 v1, s3, v0
	s_mov_b32 s2, exec_lo
	s_delay_alu instid0(VALU_DEP_1)
	v_cmpx_gt_u32_e64 s1, v1
	s_cbranch_execz .LBB219_22
; %bb.24:                               ;   in Loop: Header=BB219_23 Depth=1
	global_load_b64 v[10:11], v1, s[4:5] scale_offset
	v_mov_b64_e32 v[8:9], 0
	s_wait_xcnt 0x0
	v_lshlrev_b32_e32 v1, s18, v1
	s_mov_b32 s6, 1
	s_delay_alu instid0(VALU_DEP_1) | instskip(NEXT) | instid1(VALU_DEP_3)
	v_lshlrev_b32_e32 v1, 4, v1
	v_mov_b64_e32 v[6:7], v[8:9]
.LBB219_25:                             ;   Parent Loop BB219_23 Depth=1
                                        ; =>  This Inner Loop Header: Depth=2
	ds_load_b128 v[12:15], v1
	s_lshr_b32 s7, s6, s18
	s_add_co_i32 s6, s6, 1
	s_cmp_lg_u32 s7, 0
	s_wait_dscnt 0x0
	v_dual_add_f64 v[8:9], v[8:9], v[14:15] :: v_dual_add_nc_u32 v1, 16, v1
	v_add_f64_e32 v[6:7], v[6:7], v[12:13]
	s_cbranch_scc0 .LBB219_25
; %bb.26:                               ;   in Loop: Header=BB219_23 Depth=1
	s_wait_loadcnt 0x0
	s_wait_kmcnt 0x0
	v_lshl_add_u64 v[10:11], v[10:11], 4, s[12:13]
	s_and_saveexec_b32 s6, s0
	s_cbranch_execz .LBB219_21
; %bb.27:                               ;   in Loop: Header=BB219_23 Depth=1
	global_load_b128 v[12:15], v[10:11], off
	s_wait_loadcnt 0x0
	v_fmac_f64_e32 v[6:7], v[2:3], v[12:13]
	v_fmac_f64_e32 v[8:9], v[4:5], v[12:13]
	s_delay_alu instid0(VALU_DEP_2) | instskip(NEXT) | instid1(VALU_DEP_2)
	v_fma_f64 v[6:7], -v[4:5], v[14:15], v[6:7]
	v_fmac_f64_e32 v[8:9], v[2:3], v[14:15]
	s_branch .LBB219_21
.LBB219_28:
	s_endpgm
	.section	.rodata,"a",@progbits
	.p2align	6, 0x0
	.amdhsa_kernel _ZN9rocsparseL30csrmvn_lrb_short_rows_2_kernelIll21rocsparse_complex_numIfES1_IdES3_S3_EEvbT_PT0_S6_jNS_24const_host_device_scalarIT4_EEPKS4_PKS5_PKT1_PKT2_S9_PT3_21rocsparse_index_base_b
		.amdhsa_group_segment_fixed_size 16384
		.amdhsa_private_segment_fixed_size 0
		.amdhsa_kernarg_size 120
		.amdhsa_user_sgpr_count 2
		.amdhsa_user_sgpr_dispatch_ptr 0
		.amdhsa_user_sgpr_queue_ptr 0
		.amdhsa_user_sgpr_kernarg_segment_ptr 1
		.amdhsa_user_sgpr_dispatch_id 0
		.amdhsa_user_sgpr_kernarg_preload_length 0
		.amdhsa_user_sgpr_kernarg_preload_offset 0
		.amdhsa_user_sgpr_private_segment_size 0
		.amdhsa_wavefront_size32 1
		.amdhsa_uses_dynamic_stack 0
		.amdhsa_enable_private_segment 0
		.amdhsa_system_sgpr_workgroup_id_x 1
		.amdhsa_system_sgpr_workgroup_id_y 0
		.amdhsa_system_sgpr_workgroup_id_z 0
		.amdhsa_system_sgpr_workgroup_info 0
		.amdhsa_system_vgpr_workitem_id 0
		.amdhsa_next_free_vgpr 24
		.amdhsa_next_free_sgpr 26
		.amdhsa_named_barrier_count 0
		.amdhsa_reserve_vcc 1
		.amdhsa_float_round_mode_32 0
		.amdhsa_float_round_mode_16_64 0
		.amdhsa_float_denorm_mode_32 3
		.amdhsa_float_denorm_mode_16_64 3
		.amdhsa_fp16_overflow 0
		.amdhsa_memory_ordered 1
		.amdhsa_forward_progress 1
		.amdhsa_inst_pref_size 15
		.amdhsa_round_robin_scheduling 0
		.amdhsa_exception_fp_ieee_invalid_op 0
		.amdhsa_exception_fp_denorm_src 0
		.amdhsa_exception_fp_ieee_div_zero 0
		.amdhsa_exception_fp_ieee_overflow 0
		.amdhsa_exception_fp_ieee_underflow 0
		.amdhsa_exception_fp_ieee_inexact 0
		.amdhsa_exception_int_div_zero 0
	.end_amdhsa_kernel
	.section	.text._ZN9rocsparseL30csrmvn_lrb_short_rows_2_kernelIll21rocsparse_complex_numIfES1_IdES3_S3_EEvbT_PT0_S6_jNS_24const_host_device_scalarIT4_EEPKS4_PKS5_PKT1_PKT2_S9_PT3_21rocsparse_index_base_b,"axG",@progbits,_ZN9rocsparseL30csrmvn_lrb_short_rows_2_kernelIll21rocsparse_complex_numIfES1_IdES3_S3_EEvbT_PT0_S6_jNS_24const_host_device_scalarIT4_EEPKS4_PKS5_PKT1_PKT2_S9_PT3_21rocsparse_index_base_b,comdat
.Lfunc_end219:
	.size	_ZN9rocsparseL30csrmvn_lrb_short_rows_2_kernelIll21rocsparse_complex_numIfES1_IdES3_S3_EEvbT_PT0_S6_jNS_24const_host_device_scalarIT4_EEPKS4_PKS5_PKT1_PKT2_S9_PT3_21rocsparse_index_base_b, .Lfunc_end219-_ZN9rocsparseL30csrmvn_lrb_short_rows_2_kernelIll21rocsparse_complex_numIfES1_IdES3_S3_EEvbT_PT0_S6_jNS_24const_host_device_scalarIT4_EEPKS4_PKS5_PKT1_PKT2_S9_PT3_21rocsparse_index_base_b
                                        ; -- End function
	.set _ZN9rocsparseL30csrmvn_lrb_short_rows_2_kernelIll21rocsparse_complex_numIfES1_IdES3_S3_EEvbT_PT0_S6_jNS_24const_host_device_scalarIT4_EEPKS4_PKS5_PKT1_PKT2_S9_PT3_21rocsparse_index_base_b.num_vgpr, 24
	.set _ZN9rocsparseL30csrmvn_lrb_short_rows_2_kernelIll21rocsparse_complex_numIfES1_IdES3_S3_EEvbT_PT0_S6_jNS_24const_host_device_scalarIT4_EEPKS4_PKS5_PKT1_PKT2_S9_PT3_21rocsparse_index_base_b.num_agpr, 0
	.set _ZN9rocsparseL30csrmvn_lrb_short_rows_2_kernelIll21rocsparse_complex_numIfES1_IdES3_S3_EEvbT_PT0_S6_jNS_24const_host_device_scalarIT4_EEPKS4_PKS5_PKT1_PKT2_S9_PT3_21rocsparse_index_base_b.numbered_sgpr, 26
	.set _ZN9rocsparseL30csrmvn_lrb_short_rows_2_kernelIll21rocsparse_complex_numIfES1_IdES3_S3_EEvbT_PT0_S6_jNS_24const_host_device_scalarIT4_EEPKS4_PKS5_PKT1_PKT2_S9_PT3_21rocsparse_index_base_b.num_named_barrier, 0
	.set _ZN9rocsparseL30csrmvn_lrb_short_rows_2_kernelIll21rocsparse_complex_numIfES1_IdES3_S3_EEvbT_PT0_S6_jNS_24const_host_device_scalarIT4_EEPKS4_PKS5_PKT1_PKT2_S9_PT3_21rocsparse_index_base_b.private_seg_size, 0
	.set _ZN9rocsparseL30csrmvn_lrb_short_rows_2_kernelIll21rocsparse_complex_numIfES1_IdES3_S3_EEvbT_PT0_S6_jNS_24const_host_device_scalarIT4_EEPKS4_PKS5_PKT1_PKT2_S9_PT3_21rocsparse_index_base_b.uses_vcc, 1
	.set _ZN9rocsparseL30csrmvn_lrb_short_rows_2_kernelIll21rocsparse_complex_numIfES1_IdES3_S3_EEvbT_PT0_S6_jNS_24const_host_device_scalarIT4_EEPKS4_PKS5_PKT1_PKT2_S9_PT3_21rocsparse_index_base_b.uses_flat_scratch, 0
	.set _ZN9rocsparseL30csrmvn_lrb_short_rows_2_kernelIll21rocsparse_complex_numIfES1_IdES3_S3_EEvbT_PT0_S6_jNS_24const_host_device_scalarIT4_EEPKS4_PKS5_PKT1_PKT2_S9_PT3_21rocsparse_index_base_b.has_dyn_sized_stack, 0
	.set _ZN9rocsparseL30csrmvn_lrb_short_rows_2_kernelIll21rocsparse_complex_numIfES1_IdES3_S3_EEvbT_PT0_S6_jNS_24const_host_device_scalarIT4_EEPKS4_PKS5_PKT1_PKT2_S9_PT3_21rocsparse_index_base_b.has_recursion, 0
	.set _ZN9rocsparseL30csrmvn_lrb_short_rows_2_kernelIll21rocsparse_complex_numIfES1_IdES3_S3_EEvbT_PT0_S6_jNS_24const_host_device_scalarIT4_EEPKS4_PKS5_PKT1_PKT2_S9_PT3_21rocsparse_index_base_b.has_indirect_call, 0
	.section	.AMDGPU.csdata,"",@progbits
; Kernel info:
; codeLenInByte = 1876
; TotalNumSgprs: 28
; NumVgprs: 24
; ScratchSize: 0
; MemoryBound: 0
; FloatMode: 240
; IeeeMode: 1
; LDSByteSize: 16384 bytes/workgroup (compile time only)
; SGPRBlocks: 0
; VGPRBlocks: 1
; NumSGPRsForWavesPerEU: 28
; NumVGPRsForWavesPerEU: 24
; NamedBarCnt: 0
; Occupancy: 16
; WaveLimiterHint : 1
; COMPUTE_PGM_RSRC2:SCRATCH_EN: 0
; COMPUTE_PGM_RSRC2:USER_SGPR: 2
; COMPUTE_PGM_RSRC2:TRAP_HANDLER: 0
; COMPUTE_PGM_RSRC2:TGID_X_EN: 1
; COMPUTE_PGM_RSRC2:TGID_Y_EN: 0
; COMPUTE_PGM_RSRC2:TGID_Z_EN: 0
; COMPUTE_PGM_RSRC2:TIDIG_COMP_CNT: 0
	.section	.text._ZN9rocsparseL41csrmvn_lrb_medium_rows_warp_reduce_kernelILj256ELj32Ell21rocsparse_complex_numIfES1_IdES3_S3_EEvbT1_lPT2_S6_jNS_24const_host_device_scalarIT6_EEPKS4_PKS5_PKT3_PKT4_S9_PT5_21rocsparse_index_base_b,"axG",@progbits,_ZN9rocsparseL41csrmvn_lrb_medium_rows_warp_reduce_kernelILj256ELj32Ell21rocsparse_complex_numIfES1_IdES3_S3_EEvbT1_lPT2_S6_jNS_24const_host_device_scalarIT6_EEPKS4_PKS5_PKT3_PKT4_S9_PT5_21rocsparse_index_base_b,comdat
	.globl	_ZN9rocsparseL41csrmvn_lrb_medium_rows_warp_reduce_kernelILj256ELj32Ell21rocsparse_complex_numIfES1_IdES3_S3_EEvbT1_lPT2_S6_jNS_24const_host_device_scalarIT6_EEPKS4_PKS5_PKT3_PKT4_S9_PT5_21rocsparse_index_base_b ; -- Begin function _ZN9rocsparseL41csrmvn_lrb_medium_rows_warp_reduce_kernelILj256ELj32Ell21rocsparse_complex_numIfES1_IdES3_S3_EEvbT1_lPT2_S6_jNS_24const_host_device_scalarIT6_EEPKS4_PKS5_PKT3_PKT4_S9_PT5_21rocsparse_index_base_b
	.p2align	8
	.type	_ZN9rocsparseL41csrmvn_lrb_medium_rows_warp_reduce_kernelILj256ELj32Ell21rocsparse_complex_numIfES1_IdES3_S3_EEvbT1_lPT2_S6_jNS_24const_host_device_scalarIT6_EEPKS4_PKS5_PKT3_PKT4_S9_PT5_21rocsparse_index_base_b,@function
_ZN9rocsparseL41csrmvn_lrb_medium_rows_warp_reduce_kernelILj256ELj32Ell21rocsparse_complex_numIfES1_IdES3_S3_EEvbT1_lPT2_S6_jNS_24const_host_device_scalarIT6_EEPKS4_PKS5_PKT3_PKT4_S9_PT5_21rocsparse_index_base_b: ; @_ZN9rocsparseL41csrmvn_lrb_medium_rows_warp_reduce_kernelILj256ELj32Ell21rocsparse_complex_numIfES1_IdES3_S3_EEvbT1_lPT2_S6_jNS_24const_host_device_scalarIT6_EEPKS4_PKS5_PKT3_PKT4_S9_PT5_21rocsparse_index_base_b
; %bb.0:
	s_clause 0x1
	s_load_b64 s[4:5], s[0:1], 0x78
	s_load_b64 s[2:3], s[0:1], 0x30
	v_mov_b32_e32 v1, 0
	s_add_nc_u64 s[6:7], s[0:1], 48
	s_load_b64 s[8:9], s[0:1], 0x60
	s_wait_kmcnt 0x0
	s_bitcmp1_b32 s5, 0
	s_cselect_b32 s3, s7, s3
	s_cselect_b32 s2, s6, s2
	flat_load_b128 v[6:9], v1, s[2:3]
	s_wait_xcnt 0x0
	s_add_nc_u64 s[2:3], s[0:1], 0x60
	s_delay_alu instid0(SALU_CYCLE_1)
	s_cselect_b32 s3, s3, s9
	s_cselect_b32 s2, s2, s8
	flat_load_b128 v[2:5], v1, s[2:3]
	s_wait_loadcnt_dscnt 0x101
	v_cmp_eq_f64_e32 vcc_lo, 0, v[6:7]
	s_wait_xcnt 0x0
	v_cmp_eq_f64_e64 s2, 0, v[8:9]
	s_and_b32 s5, vcc_lo, s2
	s_mov_b32 s2, -1
	s_and_saveexec_b32 s3, s5
	s_cbranch_execz .LBB220_2
; %bb.1:
	s_wait_loadcnt_dscnt 0x0
	v_cmp_neq_f64_e32 vcc_lo, 1.0, v[2:3]
	v_cmp_neq_f64_e64 s2, 0, v[4:5]
	s_or_b32 s2, vcc_lo, s2
	s_delay_alu instid0(SALU_CYCLE_1)
	s_or_not1_b32 s2, s2, exec_lo
.LBB220_2:
	s_or_b32 exec_lo, exec_lo, s3
	s_and_saveexec_b32 s3, s2
	s_cbranch_execz .LBB220_12
; %bb.3:
	s_bfe_u32 s5, ttmp6, 0x4000c
	s_load_b64 s[2:3], s[0:1], 0x10
	s_add_co_i32 s5, s5, 1
	s_and_b32 s6, ttmp6, 15
	s_mul_i32 s5, ttmp9, s5
	s_getreg_b32 s7, hwreg(HW_REG_IB_STS2, 6, 4)
	v_lshrrev_b32_e32 v1, 5, v0
	s_add_co_i32 s6, s6, s5
	s_cmp_eq_u32 s7, 0
	s_cselect_b32 s5, ttmp9, s6
	s_delay_alu instid0(VALU_DEP_1) | instid1(SALU_CYCLE_1)
	v_lshl_or_b32 v10, s5, 3, v1
	s_mov_b32 s5, 0
	s_delay_alu instid0(VALU_DEP_1) | instskip(SKIP_1) | instid1(VALU_DEP_1)
	v_ashrrev_i32_e32 v11, 31, v10
	s_wait_kmcnt 0x0
	v_cmp_gt_i64_e32 vcc_lo, s[2:3], v[10:11]
	s_and_b32 exec_lo, exec_lo, vcc_lo
	s_cbranch_execz .LBB220_12
; %bb.4:
	s_clause 0x1
	s_load_b128 s[8:11], s[0:1], 0x18
	s_load_b32 s2, s[0:1], 0x28
	v_dual_mov_b32 v1, 0 :: v_dual_bitop2_b32 v0, 31, v0 bitop3:0x40
	s_mov_b32 s6, exec_lo
	s_delay_alu instid0(VALU_DEP_1) | instskip(SKIP_4) | instid1(SALU_CYCLE_1)
	v_sub_nc_u64_e64 v[18:19], v[0:1], s[4:5]
	s_wait_kmcnt 0x0
	s_load_b64 s[2:3], s[10:11], s2 offset:0x0 scale_offset
	s_wait_kmcnt 0x0
	s_lshl_b64 s[2:3], s[2:3], 3
	s_add_nc_u64 s[2:3], s[8:9], s[2:3]
	s_delay_alu instid0(SALU_CYCLE_1)
	v_lshl_add_u64 v[10:11], v[10:11], 3, s[2:3]
	s_load_b64 s[2:3], s[0:1], 0x40
	global_load_b64 v[10:11], v[10:11], off
	s_wait_loadcnt 0x0
	s_wait_kmcnt 0x0
	v_lshl_add_u64 v[12:13], v[10:11], 3, s[2:3]
	global_load_b128 v[12:15], v[12:13], off
	s_wait_loadcnt 0x0
	v_sub_nc_u64_e64 v[16:17], v[14:15], s[4:5]
	v_add_nc_u64_e32 v[18:19], v[12:13], v[18:19]
	v_mov_b64_e32 v[12:13], 0
	v_mov_b64_e32 v[14:15], 0
	s_delay_alu instid0(VALU_DEP_3)
	v_cmpx_lt_i64_e64 v[18:19], v[16:17]
	s_cbranch_execz .LBB220_8
; %bb.5:
	s_clause 0x1
	s_load_b128 s[8:11], s[0:1], 0x48
	s_load_b32 s7, s[0:1], 0x0
	v_lshlrev_b64_e32 v[14:15], 3, v[18:19]
	s_load_b64 s[2:3], s[0:1], 0x58
	v_mov_b64_e32 v[12:13], 0
	s_wait_kmcnt 0x0
	s_delay_alu instid0(VALU_DEP_2)
	v_add_nc_u64_e32 v[22:23], s[10:11], v[14:15]
	v_add_nc_u64_e32 v[20:21], s[8:9], v[14:15]
	v_mov_b64_e32 v[14:15], 0
	s_bitcmp1_b32 s7, 0
	s_mov_b32 s7, 0
	s_cselect_b32 s8, -1, 0
	s_delay_alu instid0(VALU_DEP_3)
	v_add_nc_u64_e32 v[22:23], 4, v[22:23]
.LBB220_6:                              ; =>This Inner Loop Header: Depth=1
	global_load_b64 v[24:25], v[20:21], off
	global_load_b64 v[28:29], v[22:23], off offset:-4
	v_add_nc_u64_e32 v[18:19], 32, v[18:19]
	s_wait_xcnt 0x0
	v_add_nc_u64_e32 v[22:23], 0x100, v[22:23]
	v_add_nc_u64_e32 v[20:21], 0x100, v[20:21]
	s_delay_alu instid0(VALU_DEP_3)
	v_cmp_ge_i64_e32 vcc_lo, v[18:19], v[16:17]
	s_or_b32 s7, vcc_lo, s7
	s_wait_loadcnt 0x1
	v_sub_nc_u64_e64 v[24:25], v[24:25], s[4:5]
	s_wait_loadcnt 0x0
	v_cndmask_b32_e64 v1, v29, -v29, s8
	v_cvt_f64_f32_e32 v[28:29], v28
	s_delay_alu instid0(VALU_DEP_2) | instskip(NEXT) | instid1(VALU_DEP_4)
	v_cvt_f64_f32_e32 v[30:31], v1
	v_lshl_add_u64 v[24:25], v[24:25], 4, s[2:3]
	global_load_b128 v[24:27], v[24:25], off
	v_mul_f64_e64 v[32:33], -v[8:9], v[30:31]
	v_mul_f64_e32 v[30:31], v[6:7], v[30:31]
	s_delay_alu instid0(VALU_DEP_2) | instskip(NEXT) | instid1(VALU_DEP_2)
	v_fmac_f64_e32 v[32:33], v[6:7], v[28:29]
	v_fmac_f64_e32 v[30:31], v[8:9], v[28:29]
	s_wait_loadcnt 0x0
	s_delay_alu instid0(VALU_DEP_2) | instskip(NEXT) | instid1(VALU_DEP_2)
	v_fmac_f64_e32 v[14:15], v[32:33], v[24:25]
	v_fmac_f64_e32 v[12:13], v[30:31], v[24:25]
	s_delay_alu instid0(VALU_DEP_2) | instskip(NEXT) | instid1(VALU_DEP_2)
	v_fma_f64 v[14:15], -v[30:31], v[26:27], v[14:15]
	v_fmac_f64_e32 v[12:13], v[32:33], v[26:27]
	s_and_not1_b32 exec_lo, exec_lo, s7
	s_cbranch_execnz .LBB220_6
; %bb.7:
	s_or_b32 exec_lo, exec_lo, s7
.LBB220_8:
	s_delay_alu instid0(SALU_CYCLE_1) | instskip(SKIP_2) | instid1(VALU_DEP_1)
	s_or_b32 exec_lo, exec_lo, s6
	v_mbcnt_lo_u32_b32 v1, -1, 0
	s_load_b64 s[2:3], s[0:1], 0x70
	v_xor_b32_e32 v6, 16, v1
	s_delay_alu instid0(VALU_DEP_1) | instskip(SKIP_1) | instid1(VALU_DEP_1)
	v_cmp_gt_i32_e32 vcc_lo, 32, v6
	v_cndmask_b32_e32 v6, v1, v6, vcc_lo
	v_lshlrev_b32_e32 v9, 2, v6
	ds_bpermute_b32 v6, v9, v14
	ds_bpermute_b32 v7, v9, v15
	;; [unrolled: 1-line block ×4, first 2 shown]
	s_wait_dscnt 0x2
	v_add_f64_e32 v[6:7], v[14:15], v[6:7]
	s_wait_dscnt 0x0
	v_add_f64_e32 v[8:9], v[12:13], v[8:9]
	v_xor_b32_e32 v12, 8, v1
	s_delay_alu instid0(VALU_DEP_1) | instskip(SKIP_1) | instid1(VALU_DEP_1)
	v_cmp_gt_i32_e32 vcc_lo, 32, v12
	v_cndmask_b32_e32 v12, v1, v12, vcc_lo
	v_lshlrev_b32_e32 v15, 2, v12
	ds_bpermute_b32 v12, v15, v6
	ds_bpermute_b32 v13, v15, v7
	;; [unrolled: 1-line block ×4, first 2 shown]
	s_wait_dscnt 0x2
	v_add_f64_e32 v[6:7], v[6:7], v[12:13]
	v_xor_b32_e32 v12, 4, v1
	s_delay_alu instid0(VALU_DEP_1) | instskip(SKIP_2) | instid1(VALU_DEP_1)
	v_cmp_gt_i32_e32 vcc_lo, 32, v12
	v_cndmask_b32_e32 v12, v1, v12, vcc_lo
	s_wait_dscnt 0x0
	v_dual_add_f64 v[8:9], v[8:9], v[14:15] :: v_dual_lshlrev_b32 v15, 2, v12
	ds_bpermute_b32 v12, v15, v6
	ds_bpermute_b32 v13, v15, v7
	;; [unrolled: 1-line block ×4, first 2 shown]
	s_wait_dscnt 0x2
	v_add_f64_e32 v[6:7], v[6:7], v[12:13]
	v_xor_b32_e32 v12, 2, v1
	s_delay_alu instid0(VALU_DEP_1) | instskip(SKIP_2) | instid1(VALU_DEP_1)
	v_cmp_gt_i32_e32 vcc_lo, 32, v12
	v_cndmask_b32_e32 v12, v1, v12, vcc_lo
	s_wait_dscnt 0x0
	v_dual_add_f64 v[8:9], v[8:9], v[14:15] :: v_dual_lshlrev_b32 v15, 2, v12
	ds_bpermute_b32 v12, v15, v6
	ds_bpermute_b32 v13, v15, v7
	s_wait_dscnt 0x0
	v_add_f64_e32 v[6:7], v[6:7], v[12:13]
	v_xor_b32_e32 v12, 1, v1
	ds_bpermute_b32 v14, v15, v8
	ds_bpermute_b32 v15, v15, v9
	v_cmp_gt_i32_e32 vcc_lo, 32, v12
	v_cndmask_b32_e32 v1, v1, v12, vcc_lo
	v_cmp_eq_u32_e32 vcc_lo, 31, v0
	s_wait_dscnt 0x0
	s_delay_alu instid0(VALU_DEP_2)
	v_dual_add_f64 v[8:9], v[8:9], v[14:15] :: v_dual_lshlrev_b32 v1, 2, v1
	ds_bpermute_b32 v12, v1, v6
	ds_bpermute_b32 v13, v1, v7
	;; [unrolled: 1-line block ×4, first 2 shown]
	s_and_b32 exec_lo, exec_lo, vcc_lo
	s_cbranch_execz .LBB220_12
; %bb.9:
	v_cmp_neq_f64_e32 vcc_lo, 0, v[2:3]
	s_wait_xcnt 0x0
	v_cmp_neq_f64_e64 s0, 0, v[4:5]
	s_wait_dscnt 0x2
	v_add_f64_e32 v[6:7], v[6:7], v[12:13]
	s_wait_dscnt 0x0
	v_add_f64_e32 v[8:9], v[8:9], v[14:15]
	s_wait_kmcnt 0x0
	v_lshl_add_u64 v[0:1], v[10:11], 4, s[2:3]
	s_or_b32 s1, vcc_lo, s0
	s_delay_alu instid0(SALU_CYCLE_1)
	s_and_saveexec_b32 s0, s1
	s_cbranch_execz .LBB220_11
; %bb.10:
	global_load_b128 v[10:13], v[0:1], off
	s_wait_loadcnt 0x0
	v_fmac_f64_e32 v[6:7], v[2:3], v[10:11]
	v_fmac_f64_e32 v[8:9], v[4:5], v[10:11]
	s_delay_alu instid0(VALU_DEP_2) | instskip(NEXT) | instid1(VALU_DEP_2)
	v_fma_f64 v[6:7], -v[4:5], v[12:13], v[6:7]
	v_fmac_f64_e32 v[8:9], v[2:3], v[12:13]
.LBB220_11:
	s_or_b32 exec_lo, exec_lo, s0
	global_store_b128 v[0:1], v[6:9], off
.LBB220_12:
	s_endpgm
	.section	.rodata,"a",@progbits
	.p2align	6, 0x0
	.amdhsa_kernel _ZN9rocsparseL41csrmvn_lrb_medium_rows_warp_reduce_kernelILj256ELj32Ell21rocsparse_complex_numIfES1_IdES3_S3_EEvbT1_lPT2_S6_jNS_24const_host_device_scalarIT6_EEPKS4_PKS5_PKT3_PKT4_S9_PT5_21rocsparse_index_base_b
		.amdhsa_group_segment_fixed_size 0
		.amdhsa_private_segment_fixed_size 0
		.amdhsa_kernarg_size 128
		.amdhsa_user_sgpr_count 2
		.amdhsa_user_sgpr_dispatch_ptr 0
		.amdhsa_user_sgpr_queue_ptr 0
		.amdhsa_user_sgpr_kernarg_segment_ptr 1
		.amdhsa_user_sgpr_dispatch_id 0
		.amdhsa_user_sgpr_kernarg_preload_length 0
		.amdhsa_user_sgpr_kernarg_preload_offset 0
		.amdhsa_user_sgpr_private_segment_size 0
		.amdhsa_wavefront_size32 1
		.amdhsa_uses_dynamic_stack 0
		.amdhsa_enable_private_segment 0
		.amdhsa_system_sgpr_workgroup_id_x 1
		.amdhsa_system_sgpr_workgroup_id_y 0
		.amdhsa_system_sgpr_workgroup_id_z 0
		.amdhsa_system_sgpr_workgroup_info 0
		.amdhsa_system_vgpr_workitem_id 0
		.amdhsa_next_free_vgpr 34
		.amdhsa_next_free_sgpr 12
		.amdhsa_named_barrier_count 0
		.amdhsa_reserve_vcc 1
		.amdhsa_float_round_mode_32 0
		.amdhsa_float_round_mode_16_64 0
		.amdhsa_float_denorm_mode_32 3
		.amdhsa_float_denorm_mode_16_64 3
		.amdhsa_fp16_overflow 0
		.amdhsa_memory_ordered 1
		.amdhsa_forward_progress 1
		.amdhsa_inst_pref_size 10
		.amdhsa_round_robin_scheduling 0
		.amdhsa_exception_fp_ieee_invalid_op 0
		.amdhsa_exception_fp_denorm_src 0
		.amdhsa_exception_fp_ieee_div_zero 0
		.amdhsa_exception_fp_ieee_overflow 0
		.amdhsa_exception_fp_ieee_underflow 0
		.amdhsa_exception_fp_ieee_inexact 0
		.amdhsa_exception_int_div_zero 0
	.end_amdhsa_kernel
	.section	.text._ZN9rocsparseL41csrmvn_lrb_medium_rows_warp_reduce_kernelILj256ELj32Ell21rocsparse_complex_numIfES1_IdES3_S3_EEvbT1_lPT2_S6_jNS_24const_host_device_scalarIT6_EEPKS4_PKS5_PKT3_PKT4_S9_PT5_21rocsparse_index_base_b,"axG",@progbits,_ZN9rocsparseL41csrmvn_lrb_medium_rows_warp_reduce_kernelILj256ELj32Ell21rocsparse_complex_numIfES1_IdES3_S3_EEvbT1_lPT2_S6_jNS_24const_host_device_scalarIT6_EEPKS4_PKS5_PKT3_PKT4_S9_PT5_21rocsparse_index_base_b,comdat
.Lfunc_end220:
	.size	_ZN9rocsparseL41csrmvn_lrb_medium_rows_warp_reduce_kernelILj256ELj32Ell21rocsparse_complex_numIfES1_IdES3_S3_EEvbT1_lPT2_S6_jNS_24const_host_device_scalarIT6_EEPKS4_PKS5_PKT3_PKT4_S9_PT5_21rocsparse_index_base_b, .Lfunc_end220-_ZN9rocsparseL41csrmvn_lrb_medium_rows_warp_reduce_kernelILj256ELj32Ell21rocsparse_complex_numIfES1_IdES3_S3_EEvbT1_lPT2_S6_jNS_24const_host_device_scalarIT6_EEPKS4_PKS5_PKT3_PKT4_S9_PT5_21rocsparse_index_base_b
                                        ; -- End function
	.set _ZN9rocsparseL41csrmvn_lrb_medium_rows_warp_reduce_kernelILj256ELj32Ell21rocsparse_complex_numIfES1_IdES3_S3_EEvbT1_lPT2_S6_jNS_24const_host_device_scalarIT6_EEPKS4_PKS5_PKT3_PKT4_S9_PT5_21rocsparse_index_base_b.num_vgpr, 34
	.set _ZN9rocsparseL41csrmvn_lrb_medium_rows_warp_reduce_kernelILj256ELj32Ell21rocsparse_complex_numIfES1_IdES3_S3_EEvbT1_lPT2_S6_jNS_24const_host_device_scalarIT6_EEPKS4_PKS5_PKT3_PKT4_S9_PT5_21rocsparse_index_base_b.num_agpr, 0
	.set _ZN9rocsparseL41csrmvn_lrb_medium_rows_warp_reduce_kernelILj256ELj32Ell21rocsparse_complex_numIfES1_IdES3_S3_EEvbT1_lPT2_S6_jNS_24const_host_device_scalarIT6_EEPKS4_PKS5_PKT3_PKT4_S9_PT5_21rocsparse_index_base_b.numbered_sgpr, 12
	.set _ZN9rocsparseL41csrmvn_lrb_medium_rows_warp_reduce_kernelILj256ELj32Ell21rocsparse_complex_numIfES1_IdES3_S3_EEvbT1_lPT2_S6_jNS_24const_host_device_scalarIT6_EEPKS4_PKS5_PKT3_PKT4_S9_PT5_21rocsparse_index_base_b.num_named_barrier, 0
	.set _ZN9rocsparseL41csrmvn_lrb_medium_rows_warp_reduce_kernelILj256ELj32Ell21rocsparse_complex_numIfES1_IdES3_S3_EEvbT1_lPT2_S6_jNS_24const_host_device_scalarIT6_EEPKS4_PKS5_PKT3_PKT4_S9_PT5_21rocsparse_index_base_b.private_seg_size, 0
	.set _ZN9rocsparseL41csrmvn_lrb_medium_rows_warp_reduce_kernelILj256ELj32Ell21rocsparse_complex_numIfES1_IdES3_S3_EEvbT1_lPT2_S6_jNS_24const_host_device_scalarIT6_EEPKS4_PKS5_PKT3_PKT4_S9_PT5_21rocsparse_index_base_b.uses_vcc, 1
	.set _ZN9rocsparseL41csrmvn_lrb_medium_rows_warp_reduce_kernelILj256ELj32Ell21rocsparse_complex_numIfES1_IdES3_S3_EEvbT1_lPT2_S6_jNS_24const_host_device_scalarIT6_EEPKS4_PKS5_PKT3_PKT4_S9_PT5_21rocsparse_index_base_b.uses_flat_scratch, 0
	.set _ZN9rocsparseL41csrmvn_lrb_medium_rows_warp_reduce_kernelILj256ELj32Ell21rocsparse_complex_numIfES1_IdES3_S3_EEvbT1_lPT2_S6_jNS_24const_host_device_scalarIT6_EEPKS4_PKS5_PKT3_PKT4_S9_PT5_21rocsparse_index_base_b.has_dyn_sized_stack, 0
	.set _ZN9rocsparseL41csrmvn_lrb_medium_rows_warp_reduce_kernelILj256ELj32Ell21rocsparse_complex_numIfES1_IdES3_S3_EEvbT1_lPT2_S6_jNS_24const_host_device_scalarIT6_EEPKS4_PKS5_PKT3_PKT4_S9_PT5_21rocsparse_index_base_b.has_recursion, 0
	.set _ZN9rocsparseL41csrmvn_lrb_medium_rows_warp_reduce_kernelILj256ELj32Ell21rocsparse_complex_numIfES1_IdES3_S3_EEvbT1_lPT2_S6_jNS_24const_host_device_scalarIT6_EEPKS4_PKS5_PKT3_PKT4_S9_PT5_21rocsparse_index_base_b.has_indirect_call, 0
	.section	.AMDGPU.csdata,"",@progbits
; Kernel info:
; codeLenInByte = 1188
; TotalNumSgprs: 14
; NumVgprs: 34
; ScratchSize: 0
; MemoryBound: 0
; FloatMode: 240
; IeeeMode: 1
; LDSByteSize: 0 bytes/workgroup (compile time only)
; SGPRBlocks: 0
; VGPRBlocks: 2
; NumSGPRsForWavesPerEU: 14
; NumVGPRsForWavesPerEU: 34
; NamedBarCnt: 0
; Occupancy: 16
; WaveLimiterHint : 1
; COMPUTE_PGM_RSRC2:SCRATCH_EN: 0
; COMPUTE_PGM_RSRC2:USER_SGPR: 2
; COMPUTE_PGM_RSRC2:TRAP_HANDLER: 0
; COMPUTE_PGM_RSRC2:TGID_X_EN: 1
; COMPUTE_PGM_RSRC2:TGID_Y_EN: 0
; COMPUTE_PGM_RSRC2:TGID_Z_EN: 0
; COMPUTE_PGM_RSRC2:TIDIG_COMP_CNT: 0
	.section	.text._ZN9rocsparseL41csrmvn_lrb_medium_rows_warp_reduce_kernelILj256ELj64Ell21rocsparse_complex_numIfES1_IdES3_S3_EEvbT1_lPT2_S6_jNS_24const_host_device_scalarIT6_EEPKS4_PKS5_PKT3_PKT4_S9_PT5_21rocsparse_index_base_b,"axG",@progbits,_ZN9rocsparseL41csrmvn_lrb_medium_rows_warp_reduce_kernelILj256ELj64Ell21rocsparse_complex_numIfES1_IdES3_S3_EEvbT1_lPT2_S6_jNS_24const_host_device_scalarIT6_EEPKS4_PKS5_PKT3_PKT4_S9_PT5_21rocsparse_index_base_b,comdat
	.globl	_ZN9rocsparseL41csrmvn_lrb_medium_rows_warp_reduce_kernelILj256ELj64Ell21rocsparse_complex_numIfES1_IdES3_S3_EEvbT1_lPT2_S6_jNS_24const_host_device_scalarIT6_EEPKS4_PKS5_PKT3_PKT4_S9_PT5_21rocsparse_index_base_b ; -- Begin function _ZN9rocsparseL41csrmvn_lrb_medium_rows_warp_reduce_kernelILj256ELj64Ell21rocsparse_complex_numIfES1_IdES3_S3_EEvbT1_lPT2_S6_jNS_24const_host_device_scalarIT6_EEPKS4_PKS5_PKT3_PKT4_S9_PT5_21rocsparse_index_base_b
	.p2align	8
	.type	_ZN9rocsparseL41csrmvn_lrb_medium_rows_warp_reduce_kernelILj256ELj64Ell21rocsparse_complex_numIfES1_IdES3_S3_EEvbT1_lPT2_S6_jNS_24const_host_device_scalarIT6_EEPKS4_PKS5_PKT3_PKT4_S9_PT5_21rocsparse_index_base_b,@function
_ZN9rocsparseL41csrmvn_lrb_medium_rows_warp_reduce_kernelILj256ELj64Ell21rocsparse_complex_numIfES1_IdES3_S3_EEvbT1_lPT2_S6_jNS_24const_host_device_scalarIT6_EEPKS4_PKS5_PKT3_PKT4_S9_PT5_21rocsparse_index_base_b: ; @_ZN9rocsparseL41csrmvn_lrb_medium_rows_warp_reduce_kernelILj256ELj64Ell21rocsparse_complex_numIfES1_IdES3_S3_EEvbT1_lPT2_S6_jNS_24const_host_device_scalarIT6_EEPKS4_PKS5_PKT3_PKT4_S9_PT5_21rocsparse_index_base_b
; %bb.0:
	s_clause 0x1
	s_load_b64 s[4:5], s[0:1], 0x78
	s_load_b64 s[2:3], s[0:1], 0x30
	v_mov_b32_e32 v1, 0
	s_add_nc_u64 s[6:7], s[0:1], 48
	s_load_b64 s[8:9], s[0:1], 0x60
	s_wait_kmcnt 0x0
	s_bitcmp1_b32 s5, 0
	s_cselect_b32 s3, s7, s3
	s_cselect_b32 s2, s6, s2
	flat_load_b128 v[6:9], v1, s[2:3]
	s_wait_xcnt 0x0
	s_add_nc_u64 s[2:3], s[0:1], 0x60
	s_delay_alu instid0(SALU_CYCLE_1)
	s_cselect_b32 s3, s3, s9
	s_cselect_b32 s2, s2, s8
	flat_load_b128 v[2:5], v1, s[2:3]
	s_wait_loadcnt_dscnt 0x101
	v_cmp_eq_f64_e32 vcc_lo, 0, v[6:7]
	s_wait_xcnt 0x0
	v_cmp_eq_f64_e64 s2, 0, v[8:9]
	s_and_b32 s5, vcc_lo, s2
	s_mov_b32 s2, -1
	s_and_saveexec_b32 s3, s5
	s_cbranch_execz .LBB221_2
; %bb.1:
	s_wait_loadcnt_dscnt 0x0
	v_cmp_neq_f64_e32 vcc_lo, 1.0, v[2:3]
	v_cmp_neq_f64_e64 s2, 0, v[4:5]
	s_or_b32 s2, vcc_lo, s2
	s_delay_alu instid0(SALU_CYCLE_1)
	s_or_not1_b32 s2, s2, exec_lo
.LBB221_2:
	s_or_b32 exec_lo, exec_lo, s3
	s_and_saveexec_b32 s3, s2
	s_cbranch_execz .LBB221_12
; %bb.3:
	s_bfe_u32 s5, ttmp6, 0x4000c
	s_load_b64 s[2:3], s[0:1], 0x10
	s_add_co_i32 s5, s5, 1
	s_and_b32 s6, ttmp6, 15
	s_mul_i32 s5, ttmp9, s5
	s_getreg_b32 s7, hwreg(HW_REG_IB_STS2, 6, 4)
	v_lshrrev_b32_e32 v1, 6, v0
	s_add_co_i32 s6, s6, s5
	s_cmp_eq_u32 s7, 0
	s_cselect_b32 s5, ttmp9, s6
	s_delay_alu instid0(VALU_DEP_1) | instid1(SALU_CYCLE_1)
	v_lshl_or_b32 v10, s5, 2, v1
	s_mov_b32 s5, 0
	s_delay_alu instid0(VALU_DEP_1) | instskip(SKIP_1) | instid1(VALU_DEP_1)
	v_ashrrev_i32_e32 v11, 31, v10
	s_wait_kmcnt 0x0
	v_cmp_gt_i64_e32 vcc_lo, s[2:3], v[10:11]
	s_and_b32 exec_lo, exec_lo, vcc_lo
	s_cbranch_execz .LBB221_12
; %bb.4:
	s_clause 0x1
	s_load_b128 s[8:11], s[0:1], 0x18
	s_load_b32 s2, s[0:1], 0x28
	v_dual_mov_b32 v1, 0 :: v_dual_bitop2_b32 v0, 63, v0 bitop3:0x40
	s_mov_b32 s6, exec_lo
	s_delay_alu instid0(VALU_DEP_1) | instskip(SKIP_4) | instid1(SALU_CYCLE_1)
	v_sub_nc_u64_e64 v[18:19], v[0:1], s[4:5]
	s_wait_kmcnt 0x0
	s_load_b64 s[2:3], s[10:11], s2 offset:0x0 scale_offset
	s_wait_kmcnt 0x0
	s_lshl_b64 s[2:3], s[2:3], 3
	s_add_nc_u64 s[2:3], s[8:9], s[2:3]
	s_delay_alu instid0(SALU_CYCLE_1)
	v_lshl_add_u64 v[10:11], v[10:11], 3, s[2:3]
	s_load_b64 s[2:3], s[0:1], 0x40
	global_load_b64 v[10:11], v[10:11], off
	s_wait_loadcnt 0x0
	s_wait_kmcnt 0x0
	v_lshl_add_u64 v[12:13], v[10:11], 3, s[2:3]
	global_load_b128 v[12:15], v[12:13], off
	s_wait_loadcnt 0x0
	v_sub_nc_u64_e64 v[16:17], v[14:15], s[4:5]
	v_add_nc_u64_e32 v[18:19], v[12:13], v[18:19]
	v_mov_b64_e32 v[12:13], 0
	v_mov_b64_e32 v[14:15], 0
	s_delay_alu instid0(VALU_DEP_3)
	v_cmpx_lt_i64_e64 v[18:19], v[16:17]
	s_cbranch_execz .LBB221_8
; %bb.5:
	s_clause 0x1
	s_load_b128 s[8:11], s[0:1], 0x48
	s_load_b32 s7, s[0:1], 0x0
	v_lshlrev_b64_e32 v[14:15], 3, v[18:19]
	s_load_b64 s[2:3], s[0:1], 0x58
	v_mov_b64_e32 v[12:13], 0
	s_wait_kmcnt 0x0
	s_delay_alu instid0(VALU_DEP_2)
	v_add_nc_u64_e32 v[22:23], s[10:11], v[14:15]
	v_add_nc_u64_e32 v[20:21], s[8:9], v[14:15]
	v_mov_b64_e32 v[14:15], 0
	s_bitcmp1_b32 s7, 0
	s_mov_b32 s7, 0
	s_cselect_b32 s8, -1, 0
	s_delay_alu instid0(VALU_DEP_3)
	v_add_nc_u64_e32 v[22:23], 4, v[22:23]
.LBB221_6:                              ; =>This Inner Loop Header: Depth=1
	global_load_b64 v[24:25], v[20:21], off
	global_load_b64 v[28:29], v[22:23], off offset:-4
	v_add_nc_u64_e32 v[18:19], 64, v[18:19]
	s_wait_xcnt 0x0
	v_add_nc_u64_e32 v[22:23], 0x200, v[22:23]
	v_add_nc_u64_e32 v[20:21], 0x200, v[20:21]
	s_delay_alu instid0(VALU_DEP_3)
	v_cmp_ge_i64_e32 vcc_lo, v[18:19], v[16:17]
	s_or_b32 s7, vcc_lo, s7
	s_wait_loadcnt 0x1
	v_sub_nc_u64_e64 v[24:25], v[24:25], s[4:5]
	s_wait_loadcnt 0x0
	v_cndmask_b32_e64 v1, v29, -v29, s8
	v_cvt_f64_f32_e32 v[28:29], v28
	s_delay_alu instid0(VALU_DEP_2) | instskip(NEXT) | instid1(VALU_DEP_4)
	v_cvt_f64_f32_e32 v[30:31], v1
	v_lshl_add_u64 v[24:25], v[24:25], 4, s[2:3]
	global_load_b128 v[24:27], v[24:25], off
	v_mul_f64_e64 v[32:33], -v[8:9], v[30:31]
	v_mul_f64_e32 v[30:31], v[6:7], v[30:31]
	s_delay_alu instid0(VALU_DEP_2) | instskip(NEXT) | instid1(VALU_DEP_2)
	v_fmac_f64_e32 v[32:33], v[6:7], v[28:29]
	v_fmac_f64_e32 v[30:31], v[8:9], v[28:29]
	s_wait_loadcnt 0x0
	s_delay_alu instid0(VALU_DEP_2) | instskip(NEXT) | instid1(VALU_DEP_2)
	v_fmac_f64_e32 v[14:15], v[32:33], v[24:25]
	v_fmac_f64_e32 v[12:13], v[30:31], v[24:25]
	s_delay_alu instid0(VALU_DEP_2) | instskip(NEXT) | instid1(VALU_DEP_2)
	v_fma_f64 v[14:15], -v[30:31], v[26:27], v[14:15]
	v_fmac_f64_e32 v[12:13], v[32:33], v[26:27]
	s_and_not1_b32 exec_lo, exec_lo, s7
	s_cbranch_execnz .LBB221_6
; %bb.7:
	s_or_b32 exec_lo, exec_lo, s7
.LBB221_8:
	s_delay_alu instid0(SALU_CYCLE_1) | instskip(SKIP_2) | instid1(VALU_DEP_1)
	s_or_b32 exec_lo, exec_lo, s6
	v_mbcnt_lo_u32_b32 v1, -1, 0
	s_load_b64 s[2:3], s[0:1], 0x70
	v_or_b32_e32 v6, 32, v1
	s_delay_alu instid0(VALU_DEP_1) | instskip(SKIP_1) | instid1(VALU_DEP_1)
	v_cmp_gt_i32_e32 vcc_lo, 32, v6
	v_cndmask_b32_e32 v6, v1, v6, vcc_lo
	v_lshlrev_b32_e32 v9, 2, v6
	ds_bpermute_b32 v6, v9, v14
	ds_bpermute_b32 v7, v9, v15
	;; [unrolled: 1-line block ×4, first 2 shown]
	s_wait_dscnt 0x2
	v_add_f64_e32 v[6:7], v[14:15], v[6:7]
	s_wait_dscnt 0x0
	v_add_f64_e32 v[8:9], v[12:13], v[8:9]
	v_xor_b32_e32 v12, 16, v1
	s_delay_alu instid0(VALU_DEP_1) | instskip(SKIP_1) | instid1(VALU_DEP_1)
	v_cmp_gt_i32_e32 vcc_lo, 32, v12
	v_cndmask_b32_e32 v12, v1, v12, vcc_lo
	v_lshlrev_b32_e32 v15, 2, v12
	ds_bpermute_b32 v12, v15, v6
	ds_bpermute_b32 v13, v15, v7
	;; [unrolled: 1-line block ×4, first 2 shown]
	s_wait_dscnt 0x2
	v_add_f64_e32 v[6:7], v[6:7], v[12:13]
	v_xor_b32_e32 v12, 8, v1
	s_delay_alu instid0(VALU_DEP_1) | instskip(SKIP_2) | instid1(VALU_DEP_1)
	v_cmp_gt_i32_e32 vcc_lo, 32, v12
	v_cndmask_b32_e32 v12, v1, v12, vcc_lo
	s_wait_dscnt 0x0
	v_dual_add_f64 v[8:9], v[8:9], v[14:15] :: v_dual_lshlrev_b32 v15, 2, v12
	ds_bpermute_b32 v12, v15, v6
	ds_bpermute_b32 v13, v15, v7
	;; [unrolled: 1-line block ×4, first 2 shown]
	s_wait_dscnt 0x2
	v_add_f64_e32 v[6:7], v[6:7], v[12:13]
	v_xor_b32_e32 v12, 4, v1
	s_delay_alu instid0(VALU_DEP_1) | instskip(SKIP_2) | instid1(VALU_DEP_1)
	v_cmp_gt_i32_e32 vcc_lo, 32, v12
	v_cndmask_b32_e32 v12, v1, v12, vcc_lo
	s_wait_dscnt 0x0
	v_dual_add_f64 v[8:9], v[8:9], v[14:15] :: v_dual_lshlrev_b32 v15, 2, v12
	ds_bpermute_b32 v12, v15, v6
	ds_bpermute_b32 v13, v15, v7
	s_wait_dscnt 0x0
	v_add_f64_e32 v[6:7], v[6:7], v[12:13]
	v_xor_b32_e32 v12, 2, v1
	ds_bpermute_b32 v14, v15, v8
	ds_bpermute_b32 v15, v15, v9
	v_cmp_gt_i32_e32 vcc_lo, 32, v12
	v_cndmask_b32_e32 v12, v1, v12, vcc_lo
	s_wait_dscnt 0x0
	s_delay_alu instid0(VALU_DEP_1)
	v_dual_add_f64 v[8:9], v[8:9], v[14:15] :: v_dual_lshlrev_b32 v15, 2, v12
	ds_bpermute_b32 v12, v15, v6
	ds_bpermute_b32 v13, v15, v7
	s_wait_dscnt 0x0
	v_add_f64_e32 v[6:7], v[6:7], v[12:13]
	v_xor_b32_e32 v12, 1, v1
	ds_bpermute_b32 v14, v15, v8
	ds_bpermute_b32 v15, v15, v9
	v_cmp_gt_i32_e32 vcc_lo, 32, v12
	v_cndmask_b32_e32 v1, v1, v12, vcc_lo
	v_cmp_eq_u32_e32 vcc_lo, 63, v0
	s_wait_dscnt 0x0
	s_delay_alu instid0(VALU_DEP_2)
	v_dual_add_f64 v[8:9], v[8:9], v[14:15] :: v_dual_lshlrev_b32 v1, 2, v1
	ds_bpermute_b32 v12, v1, v6
	ds_bpermute_b32 v13, v1, v7
	;; [unrolled: 1-line block ×4, first 2 shown]
	s_and_b32 exec_lo, exec_lo, vcc_lo
	s_cbranch_execz .LBB221_12
; %bb.9:
	v_cmp_neq_f64_e32 vcc_lo, 0, v[2:3]
	s_wait_xcnt 0x0
	v_cmp_neq_f64_e64 s0, 0, v[4:5]
	s_wait_dscnt 0x2
	v_add_f64_e32 v[6:7], v[6:7], v[12:13]
	s_wait_dscnt 0x0
	v_add_f64_e32 v[8:9], v[8:9], v[14:15]
	s_wait_kmcnt 0x0
	v_lshl_add_u64 v[0:1], v[10:11], 4, s[2:3]
	s_or_b32 s1, vcc_lo, s0
	s_delay_alu instid0(SALU_CYCLE_1)
	s_and_saveexec_b32 s0, s1
	s_cbranch_execz .LBB221_11
; %bb.10:
	global_load_b128 v[10:13], v[0:1], off
	s_wait_loadcnt 0x0
	v_fmac_f64_e32 v[6:7], v[2:3], v[10:11]
	v_fmac_f64_e32 v[8:9], v[4:5], v[10:11]
	s_delay_alu instid0(VALU_DEP_2) | instskip(NEXT) | instid1(VALU_DEP_2)
	v_fma_f64 v[6:7], -v[4:5], v[12:13], v[6:7]
	v_fmac_f64_e32 v[8:9], v[2:3], v[12:13]
.LBB221_11:
	s_or_b32 exec_lo, exec_lo, s0
	global_store_b128 v[0:1], v[6:9], off
.LBB221_12:
	s_endpgm
	.section	.rodata,"a",@progbits
	.p2align	6, 0x0
	.amdhsa_kernel _ZN9rocsparseL41csrmvn_lrb_medium_rows_warp_reduce_kernelILj256ELj64Ell21rocsparse_complex_numIfES1_IdES3_S3_EEvbT1_lPT2_S6_jNS_24const_host_device_scalarIT6_EEPKS4_PKS5_PKT3_PKT4_S9_PT5_21rocsparse_index_base_b
		.amdhsa_group_segment_fixed_size 0
		.amdhsa_private_segment_fixed_size 0
		.amdhsa_kernarg_size 128
		.amdhsa_user_sgpr_count 2
		.amdhsa_user_sgpr_dispatch_ptr 0
		.amdhsa_user_sgpr_queue_ptr 0
		.amdhsa_user_sgpr_kernarg_segment_ptr 1
		.amdhsa_user_sgpr_dispatch_id 0
		.amdhsa_user_sgpr_kernarg_preload_length 0
		.amdhsa_user_sgpr_kernarg_preload_offset 0
		.amdhsa_user_sgpr_private_segment_size 0
		.amdhsa_wavefront_size32 1
		.amdhsa_uses_dynamic_stack 0
		.amdhsa_enable_private_segment 0
		.amdhsa_system_sgpr_workgroup_id_x 1
		.amdhsa_system_sgpr_workgroup_id_y 0
		.amdhsa_system_sgpr_workgroup_id_z 0
		.amdhsa_system_sgpr_workgroup_info 0
		.amdhsa_system_vgpr_workitem_id 0
		.amdhsa_next_free_vgpr 34
		.amdhsa_next_free_sgpr 12
		.amdhsa_named_barrier_count 0
		.amdhsa_reserve_vcc 1
		.amdhsa_float_round_mode_32 0
		.amdhsa_float_round_mode_16_64 0
		.amdhsa_float_denorm_mode_32 3
		.amdhsa_float_denorm_mode_16_64 3
		.amdhsa_fp16_overflow 0
		.amdhsa_memory_ordered 1
		.amdhsa_forward_progress 1
		.amdhsa_inst_pref_size 10
		.amdhsa_round_robin_scheduling 0
		.amdhsa_exception_fp_ieee_invalid_op 0
		.amdhsa_exception_fp_denorm_src 0
		.amdhsa_exception_fp_ieee_div_zero 0
		.amdhsa_exception_fp_ieee_overflow 0
		.amdhsa_exception_fp_ieee_underflow 0
		.amdhsa_exception_fp_ieee_inexact 0
		.amdhsa_exception_int_div_zero 0
	.end_amdhsa_kernel
	.section	.text._ZN9rocsparseL41csrmvn_lrb_medium_rows_warp_reduce_kernelILj256ELj64Ell21rocsparse_complex_numIfES1_IdES3_S3_EEvbT1_lPT2_S6_jNS_24const_host_device_scalarIT6_EEPKS4_PKS5_PKT3_PKT4_S9_PT5_21rocsparse_index_base_b,"axG",@progbits,_ZN9rocsparseL41csrmvn_lrb_medium_rows_warp_reduce_kernelILj256ELj64Ell21rocsparse_complex_numIfES1_IdES3_S3_EEvbT1_lPT2_S6_jNS_24const_host_device_scalarIT6_EEPKS4_PKS5_PKT3_PKT4_S9_PT5_21rocsparse_index_base_b,comdat
.Lfunc_end221:
	.size	_ZN9rocsparseL41csrmvn_lrb_medium_rows_warp_reduce_kernelILj256ELj64Ell21rocsparse_complex_numIfES1_IdES3_S3_EEvbT1_lPT2_S6_jNS_24const_host_device_scalarIT6_EEPKS4_PKS5_PKT3_PKT4_S9_PT5_21rocsparse_index_base_b, .Lfunc_end221-_ZN9rocsparseL41csrmvn_lrb_medium_rows_warp_reduce_kernelILj256ELj64Ell21rocsparse_complex_numIfES1_IdES3_S3_EEvbT1_lPT2_S6_jNS_24const_host_device_scalarIT6_EEPKS4_PKS5_PKT3_PKT4_S9_PT5_21rocsparse_index_base_b
                                        ; -- End function
	.set _ZN9rocsparseL41csrmvn_lrb_medium_rows_warp_reduce_kernelILj256ELj64Ell21rocsparse_complex_numIfES1_IdES3_S3_EEvbT1_lPT2_S6_jNS_24const_host_device_scalarIT6_EEPKS4_PKS5_PKT3_PKT4_S9_PT5_21rocsparse_index_base_b.num_vgpr, 34
	.set _ZN9rocsparseL41csrmvn_lrb_medium_rows_warp_reduce_kernelILj256ELj64Ell21rocsparse_complex_numIfES1_IdES3_S3_EEvbT1_lPT2_S6_jNS_24const_host_device_scalarIT6_EEPKS4_PKS5_PKT3_PKT4_S9_PT5_21rocsparse_index_base_b.num_agpr, 0
	.set _ZN9rocsparseL41csrmvn_lrb_medium_rows_warp_reduce_kernelILj256ELj64Ell21rocsparse_complex_numIfES1_IdES3_S3_EEvbT1_lPT2_S6_jNS_24const_host_device_scalarIT6_EEPKS4_PKS5_PKT3_PKT4_S9_PT5_21rocsparse_index_base_b.numbered_sgpr, 12
	.set _ZN9rocsparseL41csrmvn_lrb_medium_rows_warp_reduce_kernelILj256ELj64Ell21rocsparse_complex_numIfES1_IdES3_S3_EEvbT1_lPT2_S6_jNS_24const_host_device_scalarIT6_EEPKS4_PKS5_PKT3_PKT4_S9_PT5_21rocsparse_index_base_b.num_named_barrier, 0
	.set _ZN9rocsparseL41csrmvn_lrb_medium_rows_warp_reduce_kernelILj256ELj64Ell21rocsparse_complex_numIfES1_IdES3_S3_EEvbT1_lPT2_S6_jNS_24const_host_device_scalarIT6_EEPKS4_PKS5_PKT3_PKT4_S9_PT5_21rocsparse_index_base_b.private_seg_size, 0
	.set _ZN9rocsparseL41csrmvn_lrb_medium_rows_warp_reduce_kernelILj256ELj64Ell21rocsparse_complex_numIfES1_IdES3_S3_EEvbT1_lPT2_S6_jNS_24const_host_device_scalarIT6_EEPKS4_PKS5_PKT3_PKT4_S9_PT5_21rocsparse_index_base_b.uses_vcc, 1
	.set _ZN9rocsparseL41csrmvn_lrb_medium_rows_warp_reduce_kernelILj256ELj64Ell21rocsparse_complex_numIfES1_IdES3_S3_EEvbT1_lPT2_S6_jNS_24const_host_device_scalarIT6_EEPKS4_PKS5_PKT3_PKT4_S9_PT5_21rocsparse_index_base_b.uses_flat_scratch, 0
	.set _ZN9rocsparseL41csrmvn_lrb_medium_rows_warp_reduce_kernelILj256ELj64Ell21rocsparse_complex_numIfES1_IdES3_S3_EEvbT1_lPT2_S6_jNS_24const_host_device_scalarIT6_EEPKS4_PKS5_PKT3_PKT4_S9_PT5_21rocsparse_index_base_b.has_dyn_sized_stack, 0
	.set _ZN9rocsparseL41csrmvn_lrb_medium_rows_warp_reduce_kernelILj256ELj64Ell21rocsparse_complex_numIfES1_IdES3_S3_EEvbT1_lPT2_S6_jNS_24const_host_device_scalarIT6_EEPKS4_PKS5_PKT3_PKT4_S9_PT5_21rocsparse_index_base_b.has_recursion, 0
	.set _ZN9rocsparseL41csrmvn_lrb_medium_rows_warp_reduce_kernelILj256ELj64Ell21rocsparse_complex_numIfES1_IdES3_S3_EEvbT1_lPT2_S6_jNS_24const_host_device_scalarIT6_EEPKS4_PKS5_PKT3_PKT4_S9_PT5_21rocsparse_index_base_b.has_indirect_call, 0
	.section	.AMDGPU.csdata,"",@progbits
; Kernel info:
; codeLenInByte = 1260
; TotalNumSgprs: 14
; NumVgprs: 34
; ScratchSize: 0
; MemoryBound: 0
; FloatMode: 240
; IeeeMode: 1
; LDSByteSize: 0 bytes/workgroup (compile time only)
; SGPRBlocks: 0
; VGPRBlocks: 2
; NumSGPRsForWavesPerEU: 14
; NumVGPRsForWavesPerEU: 34
; NamedBarCnt: 0
; Occupancy: 16
; WaveLimiterHint : 1
; COMPUTE_PGM_RSRC2:SCRATCH_EN: 0
; COMPUTE_PGM_RSRC2:USER_SGPR: 2
; COMPUTE_PGM_RSRC2:TRAP_HANDLER: 0
; COMPUTE_PGM_RSRC2:TGID_X_EN: 1
; COMPUTE_PGM_RSRC2:TGID_Y_EN: 0
; COMPUTE_PGM_RSRC2:TGID_Z_EN: 0
; COMPUTE_PGM_RSRC2:TIDIG_COMP_CNT: 0
	.section	.text._ZN9rocsparseL29csrmvn_lrb_medium_rows_kernelILj256Ell21rocsparse_complex_numIfES1_IdES3_S3_EEvbT0_PT1_S6_jNS_24const_host_device_scalarIT5_EEPKS4_PKS5_PKT2_PKT3_S9_PT4_21rocsparse_index_base_b,"axG",@progbits,_ZN9rocsparseL29csrmvn_lrb_medium_rows_kernelILj256Ell21rocsparse_complex_numIfES1_IdES3_S3_EEvbT0_PT1_S6_jNS_24const_host_device_scalarIT5_EEPKS4_PKS5_PKT2_PKT3_S9_PT4_21rocsparse_index_base_b,comdat
	.globl	_ZN9rocsparseL29csrmvn_lrb_medium_rows_kernelILj256Ell21rocsparse_complex_numIfES1_IdES3_S3_EEvbT0_PT1_S6_jNS_24const_host_device_scalarIT5_EEPKS4_PKS5_PKT2_PKT3_S9_PT4_21rocsparse_index_base_b ; -- Begin function _ZN9rocsparseL29csrmvn_lrb_medium_rows_kernelILj256Ell21rocsparse_complex_numIfES1_IdES3_S3_EEvbT0_PT1_S6_jNS_24const_host_device_scalarIT5_EEPKS4_PKS5_PKT2_PKT3_S9_PT4_21rocsparse_index_base_b
	.p2align	8
	.type	_ZN9rocsparseL29csrmvn_lrb_medium_rows_kernelILj256Ell21rocsparse_complex_numIfES1_IdES3_S3_EEvbT0_PT1_S6_jNS_24const_host_device_scalarIT5_EEPKS4_PKS5_PKT2_PKT3_S9_PT4_21rocsparse_index_base_b,@function
_ZN9rocsparseL29csrmvn_lrb_medium_rows_kernelILj256Ell21rocsparse_complex_numIfES1_IdES3_S3_EEvbT0_PT1_S6_jNS_24const_host_device_scalarIT5_EEPKS4_PKS5_PKT2_PKT3_S9_PT4_21rocsparse_index_base_b: ; @_ZN9rocsparseL29csrmvn_lrb_medium_rows_kernelILj256Ell21rocsparse_complex_numIfES1_IdES3_S3_EEvbT0_PT1_S6_jNS_24const_host_device_scalarIT5_EEPKS4_PKS5_PKT2_PKT3_S9_PT4_21rocsparse_index_base_b
; %bb.0:
	s_clause 0x1
	s_load_b64 s[4:5], s[0:1], 0x70
	s_load_b64 s[2:3], s[0:1], 0x28
	v_mov_b32_e32 v1, 0
	s_add_nc_u64 s[6:7], s[0:1], 40
	s_load_b64 s[8:9], s[0:1], 0x58
	s_wait_kmcnt 0x0
	s_bitcmp1_b32 s5, 0
	s_cselect_b32 s3, s7, s3
	s_cselect_b32 s2, s6, s2
	flat_load_b128 v[6:9], v1, s[2:3]
	s_wait_xcnt 0x0
	s_add_nc_u64 s[2:3], s[0:1], 0x58
	s_delay_alu instid0(SALU_CYCLE_1)
	s_cselect_b32 s3, s3, s9
	s_cselect_b32 s2, s2, s8
	flat_load_b128 v[2:5], v1, s[2:3]
	s_wait_loadcnt_dscnt 0x101
	v_cmp_eq_f64_e32 vcc_lo, 0, v[6:7]
	s_wait_xcnt 0x0
	v_cmp_eq_f64_e64 s2, 0, v[8:9]
	s_and_b32 s5, vcc_lo, s2
	s_mov_b32 s2, -1
	s_and_saveexec_b32 s3, s5
	s_cbranch_execz .LBB222_2
; %bb.1:
	s_wait_loadcnt_dscnt 0x0
	v_cmp_neq_f64_e32 vcc_lo, 1.0, v[2:3]
	v_cmp_neq_f64_e64 s2, 0, v[4:5]
	s_or_b32 s2, vcc_lo, s2
	s_delay_alu instid0(SALU_CYCLE_1)
	s_or_not1_b32 s2, s2, exec_lo
.LBB222_2:
	s_or_b32 exec_lo, exec_lo, s3
	s_and_saveexec_b32 s3, s2
	s_cbranch_execz .LBB222_27
; %bb.3:
	s_clause 0x1
	s_load_b128 s[8:11], s[0:1], 0x10
	s_load_b32 s2, s[0:1], 0x20
	s_bfe_u32 s5, ttmp6, 0x4000c
	s_and_b32 s6, ttmp6, 15
	s_add_co_i32 s5, s5, 1
	s_getreg_b32 s7, hwreg(HW_REG_IB_STS2, 6, 4)
	s_mul_i32 s5, ttmp9, s5
	v_mov_b32_e32 v1, 0
	s_add_co_i32 s6, s6, s5
	s_cmp_eq_u32 s7, 0
	s_mov_b32 s5, 0
	s_cselect_b32 s6, ttmp9, s6
	v_sub_nc_u64_e64 v[10:11], v[0:1], s[4:5]
	s_ashr_i32 s7, s6, 31
	v_mov_b64_e32 v[12:13], 0
	s_lshl_b64 s[6:7], s[6:7], 3
	s_wait_kmcnt 0x0
	s_load_b64 s[2:3], s[10:11], s2 offset:0x0 scale_offset
	s_wait_kmcnt 0x0
	s_lshl_b64 s[2:3], s[2:3], 3
	s_delay_alu instid0(SALU_CYCLE_1) | instskip(NEXT) | instid1(SALU_CYCLE_1)
	s_add_nc_u64 s[2:3], s[8:9], s[2:3]
	s_add_nc_u64 s[6:7], s[2:3], s[6:7]
	s_load_b64 s[2:3], s[6:7], 0x0
	s_load_b64 s[8:9], s[0:1], 0x38
	s_wait_kmcnt 0x0
	s_lshl_b64 s[6:7], s[2:3], 3
	s_delay_alu instid0(SALU_CYCLE_1)
	s_add_nc_u64 s[6:7], s[8:9], s[6:7]
	s_load_b128 s[8:11], s[6:7], 0x0
	s_wait_kmcnt 0x0
	v_add_nc_u64_e32 v[14:15], s[8:9], v[10:11]
	v_mov_b64_e32 v[10:11], 0
	s_sub_nc_u64 s[6:7], s[10:11], s[4:5]
	s_mov_b32 s10, exec_lo
	s_delay_alu instid0(VALU_DEP_2)
	v_cmpx_gt_i64_e64 s[6:7], v[14:15]
	s_cbranch_execz .LBB222_7
; %bb.4:
	s_clause 0x1
	s_load_b128 s[12:15], s[0:1], 0x40
	s_load_b32 s11, s[0:1], 0x0
	v_lshlrev_b64_e32 v[10:11], 3, v[14:15]
	s_load_b64 s[8:9], s[0:1], 0x50
	v_mov_b64_e32 v[12:13], 0
	s_wait_kmcnt 0x0
	s_delay_alu instid0(VALU_DEP_2) | instskip(SKIP_1) | instid1(VALU_DEP_3)
	v_add_nc_u64_e32 v[16:17], s[14:15], v[10:11]
	v_add_nc_u64_e32 v[18:19], s[12:13], v[10:11]
	v_mov_b64_e32 v[10:11], v[12:13]
	s_bitcmp1_b32 s11, 0
	s_mov_b32 s11, s5
	s_cselect_b32 s12, -1, 0
	s_delay_alu instid0(VALU_DEP_3)
	v_add_nc_u64_e32 v[16:17], 4, v[16:17]
.LBB222_5:                              ; =>This Inner Loop Header: Depth=1
	global_load_b64 v[20:21], v[18:19], off
	global_load_b64 v[24:25], v[16:17], off offset:-4
	v_add_nc_u64_e32 v[14:15], 0x100, v[14:15]
	s_wait_xcnt 0x0
	v_add_nc_u64_e32 v[16:17], 0x800, v[16:17]
	v_add_nc_u64_e32 v[18:19], 0x800, v[18:19]
	s_delay_alu instid0(VALU_DEP_3)
	v_cmp_le_i64_e32 vcc_lo, s[6:7], v[14:15]
	s_or_b32 s11, vcc_lo, s11
	s_wait_loadcnt 0x1
	v_sub_nc_u64_e64 v[20:21], v[20:21], s[4:5]
	s_wait_loadcnt 0x0
	v_cndmask_b32_e64 v1, v25, -v25, s12
	v_cvt_f64_f32_e32 v[24:25], v24
	s_delay_alu instid0(VALU_DEP_2) | instskip(NEXT) | instid1(VALU_DEP_4)
	v_cvt_f64_f32_e32 v[26:27], v1
	v_lshl_add_u64 v[20:21], v[20:21], 4, s[8:9]
	global_load_b128 v[20:23], v[20:21], off
	v_mul_f64_e64 v[28:29], -v[8:9], v[26:27]
	v_mul_f64_e32 v[26:27], v[6:7], v[26:27]
	s_delay_alu instid0(VALU_DEP_2) | instskip(NEXT) | instid1(VALU_DEP_2)
	v_fmac_f64_e32 v[28:29], v[6:7], v[24:25]
	v_fmac_f64_e32 v[26:27], v[8:9], v[24:25]
	s_wait_loadcnt 0x0
	s_delay_alu instid0(VALU_DEP_2) | instskip(NEXT) | instid1(VALU_DEP_2)
	v_fmac_f64_e32 v[10:11], v[28:29], v[20:21]
	v_fmac_f64_e32 v[12:13], v[26:27], v[20:21]
	s_delay_alu instid0(VALU_DEP_2) | instskip(NEXT) | instid1(VALU_DEP_2)
	v_fma_f64 v[10:11], -v[26:27], v[22:23], v[10:11]
	v_fmac_f64_e32 v[12:13], v[28:29], v[22:23]
	s_and_not1_b32 exec_lo, exec_lo, s11
	s_cbranch_execnz .LBB222_5
; %bb.6:
	s_or_b32 exec_lo, exec_lo, s11
.LBB222_7:
	s_delay_alu instid0(SALU_CYCLE_1)
	s_or_b32 exec_lo, exec_lo, s10
	s_load_b64 s[4:5], s[0:1], 0x68
	v_lshlrev_b32_e32 v1, 4, v0
	s_wait_xcnt 0x0
	s_mov_b32 s0, exec_lo
	ds_store_b128 v1, v[10:13]
	s_wait_loadcnt_dscnt 0x0
	s_barrier_signal -1
	s_barrier_wait -1
	v_cmpx_gt_u32_e32 0x80, v0
	s_cbranch_execz .LBB222_9
; %bb.8:
	ds_load_b128 v[6:9], v1 offset:2048
	ds_load_b128 v[10:13], v1
	s_wait_dscnt 0x0
	v_add_f64_e32 v[6:7], v[6:7], v[10:11]
	v_add_f64_e32 v[8:9], v[8:9], v[12:13]
	ds_store_b128 v1, v[6:9]
.LBB222_9:
	s_or_b32 exec_lo, exec_lo, s0
	s_delay_alu instid0(SALU_CYCLE_1)
	s_mov_b32 s0, exec_lo
	s_wait_dscnt 0x0
	s_barrier_signal -1
	s_barrier_wait -1
	v_cmpx_gt_u32_e32 64, v0
	s_cbranch_execz .LBB222_11
; %bb.10:
	ds_load_b128 v[6:9], v1 offset:1024
	ds_load_b128 v[10:13], v1
	s_wait_dscnt 0x0
	v_add_f64_e32 v[6:7], v[6:7], v[10:11]
	v_add_f64_e32 v[8:9], v[8:9], v[12:13]
	ds_store_b128 v1, v[6:9]
.LBB222_11:
	s_or_b32 exec_lo, exec_lo, s0
	s_delay_alu instid0(SALU_CYCLE_1)
	s_mov_b32 s0, exec_lo
	s_wait_dscnt 0x0
	;; [unrolled: 16-line block ×6, first 2 shown]
	s_barrier_signal -1
	s_barrier_wait -1
	v_cmpx_gt_u32_e32 2, v0
	s_cbranch_execz .LBB222_21
; %bb.20:
	ds_load_b128 v[6:9], v1
	ds_load_b128 v[10:13], v1 offset:32
	s_wait_dscnt 0x0
	v_add_f64_e32 v[6:7], v[10:11], v[6:7]
	v_add_f64_e32 v[8:9], v[12:13], v[8:9]
	ds_store_b128 v1, v[6:9]
.LBB222_21:
	s_or_b32 exec_lo, exec_lo, s0
	v_cmp_eq_u32_e32 vcc_lo, 0, v0
	s_wait_dscnt 0x0
	s_barrier_signal -1
	s_barrier_wait -1
	s_and_saveexec_b32 s0, vcc_lo
	s_cbranch_execz .LBB222_23
; %bb.22:
	v_mov_b32_e32 v0, 0
	ds_load_b128 v[6:9], v0
	ds_load_b128 v[10:13], v0 offset:16
	s_wait_dscnt 0x0
	v_add_f64_e32 v[6:7], v[10:11], v[6:7]
	v_add_f64_e32 v[8:9], v[12:13], v[8:9]
	ds_store_b128 v0, v[6:9]
.LBB222_23:
	s_or_b32 exec_lo, exec_lo, s0
	s_wait_dscnt 0x0
	s_barrier_signal -1
	s_barrier_wait -1
	s_and_b32 exec_lo, exec_lo, vcc_lo
	s_cbranch_execz .LBB222_27
; %bb.24:
	v_cmp_neq_f64_e32 vcc_lo, 0, v[2:3]
	v_cmp_neq_f64_e64 s0, 0, v[4:5]
	v_mov_b32_e32 v0, 0
	ds_load_b128 v[6:9], v0
	s_or_b32 s1, vcc_lo, s0
	s_delay_alu instid0(SALU_CYCLE_1)
	s_and_saveexec_b32 s0, s1
	s_cbranch_execz .LBB222_26
; %bb.25:
	s_lshl_b64 s[6:7], s[2:3], 4
	s_wait_kmcnt 0x0
	s_add_nc_u64 s[6:7], s[4:5], s[6:7]
	s_load_b128 s[8:11], s[6:7], 0x0
	s_wait_dscnt 0x0
	s_wait_kmcnt 0x0
	v_fmac_f64_e32 v[6:7], s[8:9], v[2:3]
	v_fmac_f64_e32 v[8:9], s[8:9], v[4:5]
	s_delay_alu instid0(VALU_DEP_2) | instskip(NEXT) | instid1(VALU_DEP_2)
	v_fma_f64 v[6:7], -v[4:5], s[10:11], v[6:7]
	v_fmac_f64_e32 v[8:9], s[10:11], v[2:3]
.LBB222_26:
	s_or_b32 exec_lo, exec_lo, s0
	s_lshl_b64 s[0:1], s[2:3], 4
	s_wait_kmcnt 0x0
	s_add_nc_u64 s[0:1], s[4:5], s[0:1]
	s_wait_dscnt 0x0
	global_store_b128 v0, v[6:9], s[0:1]
.LBB222_27:
	s_endpgm
	.section	.rodata,"a",@progbits
	.p2align	6, 0x0
	.amdhsa_kernel _ZN9rocsparseL29csrmvn_lrb_medium_rows_kernelILj256Ell21rocsparse_complex_numIfES1_IdES3_S3_EEvbT0_PT1_S6_jNS_24const_host_device_scalarIT5_EEPKS4_PKS5_PKT2_PKT3_S9_PT4_21rocsparse_index_base_b
		.amdhsa_group_segment_fixed_size 4096
		.amdhsa_private_segment_fixed_size 0
		.amdhsa_kernarg_size 120
		.amdhsa_user_sgpr_count 2
		.amdhsa_user_sgpr_dispatch_ptr 0
		.amdhsa_user_sgpr_queue_ptr 0
		.amdhsa_user_sgpr_kernarg_segment_ptr 1
		.amdhsa_user_sgpr_dispatch_id 0
		.amdhsa_user_sgpr_kernarg_preload_length 0
		.amdhsa_user_sgpr_kernarg_preload_offset 0
		.amdhsa_user_sgpr_private_segment_size 0
		.amdhsa_wavefront_size32 1
		.amdhsa_uses_dynamic_stack 0
		.amdhsa_enable_private_segment 0
		.amdhsa_system_sgpr_workgroup_id_x 1
		.amdhsa_system_sgpr_workgroup_id_y 0
		.amdhsa_system_sgpr_workgroup_id_z 0
		.amdhsa_system_sgpr_workgroup_info 0
		.amdhsa_system_vgpr_workitem_id 0
		.amdhsa_next_free_vgpr 30
		.amdhsa_next_free_sgpr 16
		.amdhsa_named_barrier_count 0
		.amdhsa_reserve_vcc 1
		.amdhsa_float_round_mode_32 0
		.amdhsa_float_round_mode_16_64 0
		.amdhsa_float_denorm_mode_32 3
		.amdhsa_float_denorm_mode_16_64 3
		.amdhsa_fp16_overflow 0
		.amdhsa_memory_ordered 1
		.amdhsa_forward_progress 1
		.amdhsa_inst_pref_size 11
		.amdhsa_round_robin_scheduling 0
		.amdhsa_exception_fp_ieee_invalid_op 0
		.amdhsa_exception_fp_denorm_src 0
		.amdhsa_exception_fp_ieee_div_zero 0
		.amdhsa_exception_fp_ieee_overflow 0
		.amdhsa_exception_fp_ieee_underflow 0
		.amdhsa_exception_fp_ieee_inexact 0
		.amdhsa_exception_int_div_zero 0
	.end_amdhsa_kernel
	.section	.text._ZN9rocsparseL29csrmvn_lrb_medium_rows_kernelILj256Ell21rocsparse_complex_numIfES1_IdES3_S3_EEvbT0_PT1_S6_jNS_24const_host_device_scalarIT5_EEPKS4_PKS5_PKT2_PKT3_S9_PT4_21rocsparse_index_base_b,"axG",@progbits,_ZN9rocsparseL29csrmvn_lrb_medium_rows_kernelILj256Ell21rocsparse_complex_numIfES1_IdES3_S3_EEvbT0_PT1_S6_jNS_24const_host_device_scalarIT5_EEPKS4_PKS5_PKT2_PKT3_S9_PT4_21rocsparse_index_base_b,comdat
.Lfunc_end222:
	.size	_ZN9rocsparseL29csrmvn_lrb_medium_rows_kernelILj256Ell21rocsparse_complex_numIfES1_IdES3_S3_EEvbT0_PT1_S6_jNS_24const_host_device_scalarIT5_EEPKS4_PKS5_PKT2_PKT3_S9_PT4_21rocsparse_index_base_b, .Lfunc_end222-_ZN9rocsparseL29csrmvn_lrb_medium_rows_kernelILj256Ell21rocsparse_complex_numIfES1_IdES3_S3_EEvbT0_PT1_S6_jNS_24const_host_device_scalarIT5_EEPKS4_PKS5_PKT2_PKT3_S9_PT4_21rocsparse_index_base_b
                                        ; -- End function
	.set _ZN9rocsparseL29csrmvn_lrb_medium_rows_kernelILj256Ell21rocsparse_complex_numIfES1_IdES3_S3_EEvbT0_PT1_S6_jNS_24const_host_device_scalarIT5_EEPKS4_PKS5_PKT2_PKT3_S9_PT4_21rocsparse_index_base_b.num_vgpr, 30
	.set _ZN9rocsparseL29csrmvn_lrb_medium_rows_kernelILj256Ell21rocsparse_complex_numIfES1_IdES3_S3_EEvbT0_PT1_S6_jNS_24const_host_device_scalarIT5_EEPKS4_PKS5_PKT2_PKT3_S9_PT4_21rocsparse_index_base_b.num_agpr, 0
	.set _ZN9rocsparseL29csrmvn_lrb_medium_rows_kernelILj256Ell21rocsparse_complex_numIfES1_IdES3_S3_EEvbT0_PT1_S6_jNS_24const_host_device_scalarIT5_EEPKS4_PKS5_PKT2_PKT3_S9_PT4_21rocsparse_index_base_b.numbered_sgpr, 16
	.set _ZN9rocsparseL29csrmvn_lrb_medium_rows_kernelILj256Ell21rocsparse_complex_numIfES1_IdES3_S3_EEvbT0_PT1_S6_jNS_24const_host_device_scalarIT5_EEPKS4_PKS5_PKT2_PKT3_S9_PT4_21rocsparse_index_base_b.num_named_barrier, 0
	.set _ZN9rocsparseL29csrmvn_lrb_medium_rows_kernelILj256Ell21rocsparse_complex_numIfES1_IdES3_S3_EEvbT0_PT1_S6_jNS_24const_host_device_scalarIT5_EEPKS4_PKS5_PKT2_PKT3_S9_PT4_21rocsparse_index_base_b.private_seg_size, 0
	.set _ZN9rocsparseL29csrmvn_lrb_medium_rows_kernelILj256Ell21rocsparse_complex_numIfES1_IdES3_S3_EEvbT0_PT1_S6_jNS_24const_host_device_scalarIT5_EEPKS4_PKS5_PKT2_PKT3_S9_PT4_21rocsparse_index_base_b.uses_vcc, 1
	.set _ZN9rocsparseL29csrmvn_lrb_medium_rows_kernelILj256Ell21rocsparse_complex_numIfES1_IdES3_S3_EEvbT0_PT1_S6_jNS_24const_host_device_scalarIT5_EEPKS4_PKS5_PKT2_PKT3_S9_PT4_21rocsparse_index_base_b.uses_flat_scratch, 0
	.set _ZN9rocsparseL29csrmvn_lrb_medium_rows_kernelILj256Ell21rocsparse_complex_numIfES1_IdES3_S3_EEvbT0_PT1_S6_jNS_24const_host_device_scalarIT5_EEPKS4_PKS5_PKT2_PKT3_S9_PT4_21rocsparse_index_base_b.has_dyn_sized_stack, 0
	.set _ZN9rocsparseL29csrmvn_lrb_medium_rows_kernelILj256Ell21rocsparse_complex_numIfES1_IdES3_S3_EEvbT0_PT1_S6_jNS_24const_host_device_scalarIT5_EEPKS4_PKS5_PKT2_PKT3_S9_PT4_21rocsparse_index_base_b.has_recursion, 0
	.set _ZN9rocsparseL29csrmvn_lrb_medium_rows_kernelILj256Ell21rocsparse_complex_numIfES1_IdES3_S3_EEvbT0_PT1_S6_jNS_24const_host_device_scalarIT5_EEPKS4_PKS5_PKT2_PKT3_S9_PT4_21rocsparse_index_base_b.has_indirect_call, 0
	.section	.AMDGPU.csdata,"",@progbits
; Kernel info:
; codeLenInByte = 1356
; TotalNumSgprs: 18
; NumVgprs: 30
; ScratchSize: 0
; MemoryBound: 0
; FloatMode: 240
; IeeeMode: 1
; LDSByteSize: 4096 bytes/workgroup (compile time only)
; SGPRBlocks: 0
; VGPRBlocks: 1
; NumSGPRsForWavesPerEU: 18
; NumVGPRsForWavesPerEU: 30
; NamedBarCnt: 0
; Occupancy: 16
; WaveLimiterHint : 1
; COMPUTE_PGM_RSRC2:SCRATCH_EN: 0
; COMPUTE_PGM_RSRC2:USER_SGPR: 2
; COMPUTE_PGM_RSRC2:TRAP_HANDLER: 0
; COMPUTE_PGM_RSRC2:TGID_X_EN: 1
; COMPUTE_PGM_RSRC2:TGID_Y_EN: 0
; COMPUTE_PGM_RSRC2:TGID_Z_EN: 0
; COMPUTE_PGM_RSRC2:TIDIG_COMP_CNT: 0
	.section	.text._ZN9rocsparseL27csrmvn_lrb_long_rows_kernelIll21rocsparse_complex_numIfES1_IdES3_S3_EEvbT_PjPT0_S7_jNS_24const_host_device_scalarIT4_EEPKS4_PKS6_PKT1_PKT2_SA_PT3_21rocsparse_index_base_b,"axG",@progbits,_ZN9rocsparseL27csrmvn_lrb_long_rows_kernelIll21rocsparse_complex_numIfES1_IdES3_S3_EEvbT_PjPT0_S7_jNS_24const_host_device_scalarIT4_EEPKS4_PKS6_PKT1_PKT2_SA_PT3_21rocsparse_index_base_b,comdat
	.globl	_ZN9rocsparseL27csrmvn_lrb_long_rows_kernelIll21rocsparse_complex_numIfES1_IdES3_S3_EEvbT_PjPT0_S7_jNS_24const_host_device_scalarIT4_EEPKS4_PKS6_PKT1_PKT2_SA_PT3_21rocsparse_index_base_b ; -- Begin function _ZN9rocsparseL27csrmvn_lrb_long_rows_kernelIll21rocsparse_complex_numIfES1_IdES3_S3_EEvbT_PjPT0_S7_jNS_24const_host_device_scalarIT4_EEPKS4_PKS6_PKT1_PKT2_SA_PT3_21rocsparse_index_base_b
	.p2align	8
	.type	_ZN9rocsparseL27csrmvn_lrb_long_rows_kernelIll21rocsparse_complex_numIfES1_IdES3_S3_EEvbT_PjPT0_S7_jNS_24const_host_device_scalarIT4_EEPKS4_PKS6_PKT1_PKT2_SA_PT3_21rocsparse_index_base_b,@function
_ZN9rocsparseL27csrmvn_lrb_long_rows_kernelIll21rocsparse_complex_numIfES1_IdES3_S3_EEvbT_PjPT0_S7_jNS_24const_host_device_scalarIT4_EEPKS4_PKS6_PKT1_PKT2_SA_PT3_21rocsparse_index_base_b: ; @_ZN9rocsparseL27csrmvn_lrb_long_rows_kernelIll21rocsparse_complex_numIfES1_IdES3_S3_EEvbT_PjPT0_S7_jNS_24const_host_device_scalarIT4_EEPKS4_PKS6_PKT1_PKT2_SA_PT3_21rocsparse_index_base_b
; %bb.0:
	s_clause 0x1
	s_load_b64 s[22:23], s[0:1], 0x78
	s_load_b64 s[2:3], s[0:1], 0x30
	v_mov_b32_e32 v1, 0
	s_add_nc_u64 s[4:5], s[0:1], 48
	s_load_b64 s[6:7], s[0:1], 0x60
	s_wait_kmcnt 0x0
	s_bitcmp1_b32 s23, 0
	s_cselect_b32 s3, s5, s3
	s_cselect_b32 s2, s4, s2
	flat_load_b128 v[2:5], v1, s[2:3]
	s_wait_xcnt 0x0
	s_add_nc_u64 s[2:3], s[0:1], 0x60
	s_delay_alu instid0(SALU_CYCLE_1)
	s_cselect_b32 s3, s3, s7
	s_cselect_b32 s2, s2, s6
	flat_load_b128 v[10:13], v1, s[2:3]
	s_wait_loadcnt_dscnt 0x101
	v_cmp_eq_f64_e32 vcc_lo, 0, v[2:3]
	s_wait_xcnt 0x0
	v_cmp_eq_f64_e64 s2, 0, v[4:5]
	s_and_b32 s4, vcc_lo, s2
	s_mov_b32 s2, -1
	s_and_saveexec_b32 s3, s4
	s_cbranch_execz .LBB223_2
; %bb.1:
	s_wait_loadcnt_dscnt 0x0
	v_cmp_neq_f64_e32 vcc_lo, 1.0, v[10:11]
	v_cmp_neq_f64_e64 s2, 0, v[12:13]
	s_or_b32 s2, vcc_lo, s2
	s_delay_alu instid0(SALU_CYCLE_1)
	s_or_not1_b32 s2, s2, exec_lo
.LBB223_2:
	s_or_b32 exec_lo, exec_lo, s3
	s_and_saveexec_b32 s3, s2
	s_cbranch_execz .LBB223_38
; %bb.3:
	s_clause 0x1
	s_load_b96 s[8:10], s[0:1], 0x20
	s_load_b128 s[4:7], s[0:1], 0x10
	s_bfe_u32 s12, ttmp6, 0x4000c
	s_and_b32 s11, ttmp6, 15
	s_add_co_i32 s12, s12, 1
	s_getreg_b32 s13, hwreg(HW_REG_IB_STS2, 6, 4)
	v_mov_b64_e32 v[6:7], 0
	v_mov_b64_e32 v[8:9], 0
	s_mov_b32 s23, 0
	s_mov_b32 s25, exec_lo
	s_wait_kmcnt 0x0
	s_lshl_b32 s2, -1, s10
	s_delay_alu instid0(SALU_CYCLE_1) | instskip(NEXT) | instid1(SALU_CYCLE_1)
	s_not_b32 s2, s2
	s_mul_hi_u32 s2, s2, 0x2aaaaaab
	s_delay_alu instid0(SALU_CYCLE_1) | instskip(NEXT) | instid1(SALU_CYCLE_1)
	s_lshr_b32 s2, s2, 7
	s_add_co_i32 s20, s2, 1
	s_not_b32 s2, s2
	s_cvt_f32_u32 s3, s20
	s_delay_alu instid0(SALU_CYCLE_3) | instskip(SKIP_1) | instid1(TRANS32_DEP_1)
	v_rcp_iflag_f32_e32 v1, s3
	v_nop
	v_readfirstlane_b32 s3, v1
	s_mul_f32 s3, s3, 0x4f7ffffe
	s_delay_alu instid0(SALU_CYCLE_3) | instskip(SKIP_1) | instid1(SALU_CYCLE_1)
	s_cvt_u32_f32 s14, s3
	s_mul_i32 s3, ttmp9, s12
	s_add_co_i32 s11, s11, s3
	s_delay_alu instid0(SALU_CYCLE_1) | instskip(NEXT) | instid1(SALU_CYCLE_1)
	s_mul_i32 s2, s2, s14
	s_mul_hi_u32 s12, s14, s2
	s_load_b64 s[2:3], s[8:9], s10 offset:0x0 scale_offset
	s_add_co_i32 s14, s14, s12
	s_cmp_eq_u32 s13, 0
	s_cselect_b32 s12, ttmp9, s11
	s_wait_xcnt 0x0
	s_mul_hi_u32 s8, s12, s14
	s_delay_alu instid0(SALU_CYCLE_1) | instskip(SKIP_2) | instid1(SALU_CYCLE_1)
	s_mul_i32 s9, s8, s20
	s_add_co_i32 s10, s8, 1
	s_sub_co_i32 s9, s12, s9
	s_sub_co_i32 s11, s9, s20
	s_cmp_ge_u32 s9, s20
	s_cselect_b32 s8, s10, s8
	s_cselect_b32 s9, s11, s9
	s_add_co_i32 s10, s8, 1
	s_cmp_ge_u32 s9, s20
	s_cselect_b32 s21, s10, s8
	s_wait_kmcnt 0x0
	s_lshl_b64 s[2:3], s[2:3], 3
	s_ashr_i32 s13, s12, 31
	s_add_nc_u64 s[8:9], s[6:7], s[2:3]
	s_load_b64 s[2:3], s[8:9], s21 offset:0x0 scale_offset
	s_clause 0x1
	s_load_b64 s[10:11], s[0:1], 0x40
	s_load_b64 s[6:7], s[0:1], 0x70
	s_lshl_b64 s[14:15], s[12:13], 2
	s_wait_xcnt 0x0
	s_mul_i32 s21, s21, s20
	s_add_nc_u64 s[16:17], s[4:5], s[14:15]
	s_wait_kmcnt 0x0
	s_lshl_b64 s[8:9], s[2:3], 3
	s_delay_alu instid0(SALU_CYCLE_1)
	s_add_nc_u64 s[18:19], s[10:11], s[8:9]
	s_load_b128 s[8:11], s[18:19], 0x0
	s_load_b32 s24, s[16:17], 0x0
	s_wait_xcnt 0x0
	s_sub_co_i32 s18, s12, s21
	s_mov_b32 s19, s23
	v_or_b32_e32 v1, s18, v0
	s_sub_nc_u64 s[20:21], s[12:13], s[18:19]
	s_delay_alu instid0(VALU_DEP_1)
	v_cmpx_eq_u32_e32 0, v1
	s_cbranch_execz .LBB223_7
; %bb.4:
	s_wait_loadcnt_dscnt 0x0
	v_add_f64_e32 v[10:11], -1.0, v[10:11]
	s_lshl_b64 s[12:13], s[2:3], 4
	s_mov_b32 s26, exec_lo
	s_add_nc_u64 s[28:29], s[6:7], s[12:13]
	v_mbcnt_lo_u32_b32 v1, s26, 0
	s_load_b128 s[12:15], s[28:29], 0x0
	global_wb scope:SCOPE_DEV
	s_wait_storecnt 0x0
	global_inv scope:SCOPE_DEV
	s_wait_kmcnt 0x0
	v_mul_f64_e64 v[6:7], s[14:15], -v[12:13]
	v_mul_f64_e32 v[8:9], s[14:15], v[10:11]
	s_mov_b32 s14, exec_lo
	v_cmpx_eq_u32_e32 0, v1
	s_cbranch_execz .LBB223_6
; %bb.5:
	s_bcnt1_i32_b32 s15, s26
	s_lshl_b64 s[26:27], s[20:21], 2
	s_and_b32 s15, s15, 1
	s_delay_alu instid0(SALU_CYCLE_1)
	v_dual_mov_b32 v1, 0 :: v_dual_mov_b32 v14, s15
	s_add_nc_u64 s[26:27], s[4:5], s[26:27]
	global_atomic_xor_b32 v1, v14, s[26:27] scope:SCOPE_DEV
.LBB223_6:
	s_wait_xcnt 0x0
	s_or_b32 exec_lo, exec_lo, s14
	s_delay_alu instid0(VALU_DEP_3) | instskip(NEXT) | instid1(VALU_DEP_3)
	v_fmac_f64_e32 v[6:7], s[12:13], v[10:11]
	v_fmac_f64_e32 v[8:9], s[12:13], v[12:13]
.LBB223_7:
	s_or_b32 exec_lo, exec_lo, s25
	s_mul_u64 s[12:13], s[18:19], 0x300
	s_wait_kmcnt 0x0
	s_sub_nc_u64 s[8:9], s[8:9], s[22:23]
	s_sub_nc_u64 s[10:11], s[10:11], s[22:23]
	s_add_nc_u64 s[8:9], s[8:9], s[12:13]
	v_mov_b32_e32 v1, 0
	s_add_nc_u64 s[12:13], s[8:9], 0x300
	s_wait_loadcnt_dscnt 0x0
	v_min_i64 v[10:11], s[12:13], s[10:11]
	s_delay_alu instid0(VALU_DEP_2) | instskip(SKIP_1) | instid1(VALU_DEP_1)
	v_add_nc_u64_e32 v[12:13], s[8:9], v[0:1]
	s_mov_b32 s8, exec_lo
	v_cmpx_lt_i64_e64 v[12:13], v[10:11]
	s_cbranch_execz .LBB223_11
; %bb.8:
	s_clause 0x1
	s_load_b128 s[12:15], s[0:1], 0x48
	s_load_b32 s9, s[0:1], 0x0
	v_lshlrev_b64_e32 v[16:17], 3, v[12:13]
	s_wait_xcnt 0x0
	s_load_b64 s[0:1], s[0:1], 0x58
	s_wait_kmcnt 0x0
	s_delay_alu instid0(VALU_DEP_1) | instskip(SKIP_4) | instid1(VALU_DEP_2)
	v_add_nc_u64_e32 v[14:15], s[14:15], v[16:17]
	v_add_nc_u64_e32 v[16:17], s[12:13], v[16:17]
	s_bitcmp1_b32 s9, 0
	s_mov_b32 s9, 0
	s_cselect_b32 s10, -1, 0
	v_add_nc_u64_e32 v[14:15], 4, v[14:15]
.LBB223_9:                              ; =>This Inner Loop Header: Depth=1
	global_load_b64 v[18:19], v[16:17], off
	global_load_b64 v[22:23], v[14:15], off offset:-4
	v_add_nc_u64_e32 v[12:13], 0x100, v[12:13]
	s_wait_xcnt 0x0
	v_add_nc_u64_e32 v[14:15], 0x800, v[14:15]
	v_add_nc_u64_e32 v[16:17], 0x800, v[16:17]
	s_delay_alu instid0(VALU_DEP_3)
	v_cmp_ge_i64_e32 vcc_lo, v[12:13], v[10:11]
	s_or_b32 s9, vcc_lo, s9
	s_wait_loadcnt 0x1
	v_sub_nc_u64_e64 v[18:19], v[18:19], s[22:23]
	s_wait_loadcnt 0x0
	v_cndmask_b32_e64 v1, v23, -v23, s10
	v_cvt_f64_f32_e32 v[22:23], v22
	s_delay_alu instid0(VALU_DEP_2) | instskip(NEXT) | instid1(VALU_DEP_4)
	v_cvt_f64_f32_e32 v[24:25], v1
	v_lshl_add_u64 v[18:19], v[18:19], 4, s[0:1]
	global_load_b128 v[18:21], v[18:19], off
	v_mul_f64_e64 v[26:27], -v[4:5], v[24:25]
	v_mul_f64_e32 v[24:25], v[2:3], v[24:25]
	s_delay_alu instid0(VALU_DEP_2) | instskip(NEXT) | instid1(VALU_DEP_2)
	v_fmac_f64_e32 v[26:27], v[2:3], v[22:23]
	v_fmac_f64_e32 v[24:25], v[4:5], v[22:23]
	s_wait_loadcnt 0x0
	s_delay_alu instid0(VALU_DEP_2) | instskip(NEXT) | instid1(VALU_DEP_2)
	v_fmac_f64_e32 v[6:7], v[26:27], v[18:19]
	v_fmac_f64_e32 v[8:9], v[24:25], v[18:19]
	s_delay_alu instid0(VALU_DEP_2) | instskip(NEXT) | instid1(VALU_DEP_2)
	v_fma_f64 v[6:7], -v[24:25], v[20:21], v[6:7]
	v_fmac_f64_e32 v[8:9], v[26:27], v[20:21]
	s_wait_xcnt 0x0
	s_and_not1_b32 exec_lo, exec_lo, s9
	s_cbranch_execnz .LBB223_9
; %bb.10:
	s_or_b32 exec_lo, exec_lo, s9
.LBB223_11:
	s_delay_alu instid0(SALU_CYCLE_1)
	s_or_b32 exec_lo, exec_lo, s8
	v_lshlrev_b32_e32 v1, 4, v0
	s_mov_b32 s0, exec_lo
	ds_store_b128 v1, v[6:9]
	s_wait_storecnt_dscnt 0x0
	s_barrier_signal -1
	s_barrier_wait -1
	v_cmpx_gt_u32_e32 0x80, v0
	s_cbranch_execz .LBB223_13
; %bb.12:
	ds_load_b128 v[2:5], v1 offset:2048
	ds_load_b128 v[6:9], v1
	s_wait_dscnt 0x0
	v_add_f64_e32 v[2:3], v[2:3], v[6:7]
	v_add_f64_e32 v[4:5], v[4:5], v[8:9]
	ds_store_b128 v1, v[2:5]
.LBB223_13:
	s_or_b32 exec_lo, exec_lo, s0
	s_delay_alu instid0(SALU_CYCLE_1)
	s_mov_b32 s0, exec_lo
	s_wait_dscnt 0x0
	s_barrier_signal -1
	s_barrier_wait -1
	v_cmpx_gt_u32_e32 64, v0
	s_cbranch_execz .LBB223_15
; %bb.14:
	ds_load_b128 v[2:5], v1 offset:1024
	ds_load_b128 v[6:9], v1
	s_wait_dscnt 0x0
	v_add_f64_e32 v[2:3], v[2:3], v[6:7]
	v_add_f64_e32 v[4:5], v[4:5], v[8:9]
	ds_store_b128 v1, v[2:5]
.LBB223_15:
	s_or_b32 exec_lo, exec_lo, s0
	s_delay_alu instid0(SALU_CYCLE_1)
	s_mov_b32 s0, exec_lo
	s_wait_dscnt 0x0
	;; [unrolled: 16-line block ×6, first 2 shown]
	s_barrier_signal -1
	s_barrier_wait -1
	v_cmpx_gt_u32_e32 2, v0
	s_cbranch_execz .LBB223_25
; %bb.24:
	ds_load_b128 v[2:5], v1
	ds_load_b128 v[6:9], v1 offset:32
	s_wait_dscnt 0x0
	v_add_f64_e32 v[2:3], v[6:7], v[2:3]
	v_add_f64_e32 v[4:5], v[8:9], v[4:5]
	ds_store_b128 v1, v[2:5]
.LBB223_25:
	s_or_b32 exec_lo, exec_lo, s0
	v_cmp_eq_u32_e32 vcc_lo, 0, v0
	s_wait_dscnt 0x0
	s_barrier_signal -1
	s_barrier_wait -1
	s_and_saveexec_b32 s0, vcc_lo
	s_cbranch_execz .LBB223_27
; %bb.26:
	v_mov_b32_e32 v8, 0
	ds_load_b128 v[0:3], v8
	ds_load_b128 v[4:7], v8 offset:16
	s_wait_dscnt 0x0
	v_add_f64_e32 v[0:1], v[4:5], v[0:1]
	v_add_f64_e32 v[2:3], v[6:7], v[2:3]
	ds_store_b128 v8, v[0:3]
.LBB223_27:
	s_or_b32 exec_lo, exec_lo, s0
	s_wait_dscnt 0x0
	s_barrier_signal -1
	s_barrier_wait -1
	s_and_b32 exec_lo, exec_lo, vcc_lo
	s_cbranch_execz .LBB223_38
; %bb.28:
	s_cmp_eq_u32 s18, 0
	s_cbranch_scc1 .LBB223_34
; %bb.29:
	v_mov_b32_e32 v0, 0
	s_lshl_b64 s[0:1], s[20:21], 2
	s_delay_alu instid0(SALU_CYCLE_1)
	s_add_nc_u64 s[0:1], s[4:5], s[0:1]
	s_branch .LBB223_31
.LBB223_30:                             ;   in Loop: Header=BB223_31 Depth=1
	s_wait_xcnt 0x0
	s_or_b32 exec_lo, exec_lo, s4
	s_wait_loadcnt 0x0
	v_readfirstlane_b32 s4, v1
	s_cmp_eq_u32 s4, s24
	s_cbranch_scc0 .LBB223_33
.LBB223_31:                             ; =>This Inner Loop Header: Depth=1
	v_mbcnt_lo_u32_b32 v1, exec_lo, 0
	s_delay_alu instid0(VALU_DEP_1)
	v_cmp_eq_u32_e32 vcc_lo, 0, v1
                                        ; implicit-def: $vgpr1
	s_and_saveexec_b32 s4, vcc_lo
	s_cbranch_execz .LBB223_30
; %bb.32:                               ;   in Loop: Header=BB223_31 Depth=1
	global_load_b32 v1, v0, s[0:1] scope:SCOPE_DEV
	s_branch .LBB223_30
.LBB223_33:
	v_mov_b32_e32 v0, 0
	global_load_u16 v1, v0, s[16:17]
	s_wait_loadcnt 0x0
	v_xor_b32_e32 v1, 1, v1
	global_store_b16 v0, v1, s[16:17]
.LBB223_34:
	v_mov_b32_e32 v4, 0
	s_mov_b32 s4, exec_lo
	s_lshl_b64 s[0:1], s[2:3], 4
	v_mbcnt_lo_u32_b32 v5, s4, 0
	s_add_nc_u64 s[0:1], s[6:7], s[0:1]
	s_wait_xcnt 0x0
	ds_load_b128 v[0:3], v4
	s_mov_b32 s2, exec_lo
	v_cmpx_eq_u32_e32 0, v5
	s_cbranch_execz .LBB223_36
; %bb.35:
	s_bcnt1_i32_b32 s3, s4
	s_delay_alu instid0(SALU_CYCLE_1) | instskip(SKIP_1) | instid1(VALU_DEP_1)
	v_cvt_f64_u32_e32 v[6:7], s3
	s_wait_dscnt 0x0
	v_mul_f64_e32 v[0:1], v[0:1], v[6:7]
	global_atomic_add_f64 v4, v[0:1], s[0:1] scope:SCOPE_DEV
.LBB223_36:
	s_wait_xcnt 0x0
	s_or_b32 exec_lo, exec_lo, s2
	s_delay_alu instid0(SALU_CYCLE_1) | instskip(SKIP_2) | instid1(VALU_DEP_1)
	s_mov_b32 s2, exec_lo
	s_wait_dscnt 0x0
	v_mbcnt_lo_u32_b32 v0, s2, 0
	v_cmp_eq_u32_e32 vcc_lo, 0, v0
	s_and_b32 s3, exec_lo, vcc_lo
	s_delay_alu instid0(SALU_CYCLE_1)
	s_mov_b32 exec_lo, s3
	s_cbranch_execz .LBB223_38
; %bb.37:
	s_bcnt1_i32_b32 s2, s2
	s_delay_alu instid0(SALU_CYCLE_1) | instskip(NEXT) | instid1(VALU_DEP_1)
	v_cvt_f64_u32_e32 v[0:1], s2
	v_dual_mul_f64 v[0:1], v[2:3], v[0:1] :: v_dual_mov_b32 v2, 0
	global_atomic_add_f64 v2, v[0:1], s[0:1] offset:8 scope:SCOPE_DEV
.LBB223_38:
	s_endpgm
	.section	.rodata,"a",@progbits
	.p2align	6, 0x0
	.amdhsa_kernel _ZN9rocsparseL27csrmvn_lrb_long_rows_kernelIll21rocsparse_complex_numIfES1_IdES3_S3_EEvbT_PjPT0_S7_jNS_24const_host_device_scalarIT4_EEPKS4_PKS6_PKT1_PKT2_SA_PT3_21rocsparse_index_base_b
		.amdhsa_group_segment_fixed_size 4096
		.amdhsa_private_segment_fixed_size 0
		.amdhsa_kernarg_size 128
		.amdhsa_user_sgpr_count 2
		.amdhsa_user_sgpr_dispatch_ptr 0
		.amdhsa_user_sgpr_queue_ptr 0
		.amdhsa_user_sgpr_kernarg_segment_ptr 1
		.amdhsa_user_sgpr_dispatch_id 0
		.amdhsa_user_sgpr_kernarg_preload_length 0
		.amdhsa_user_sgpr_kernarg_preload_offset 0
		.amdhsa_user_sgpr_private_segment_size 0
		.amdhsa_wavefront_size32 1
		.amdhsa_uses_dynamic_stack 0
		.amdhsa_enable_private_segment 0
		.amdhsa_system_sgpr_workgroup_id_x 1
		.amdhsa_system_sgpr_workgroup_id_y 0
		.amdhsa_system_sgpr_workgroup_id_z 0
		.amdhsa_system_sgpr_workgroup_info 0
		.amdhsa_system_vgpr_workitem_id 0
		.amdhsa_next_free_vgpr 28
		.amdhsa_next_free_sgpr 30
		.amdhsa_named_barrier_count 0
		.amdhsa_reserve_vcc 1
		.amdhsa_float_round_mode_32 0
		.amdhsa_float_round_mode_16_64 0
		.amdhsa_float_denorm_mode_32 3
		.amdhsa_float_denorm_mode_16_64 3
		.amdhsa_fp16_overflow 0
		.amdhsa_memory_ordered 1
		.amdhsa_forward_progress 1
		.amdhsa_inst_pref_size 15
		.amdhsa_round_robin_scheduling 0
		.amdhsa_exception_fp_ieee_invalid_op 0
		.amdhsa_exception_fp_denorm_src 0
		.amdhsa_exception_fp_ieee_div_zero 0
		.amdhsa_exception_fp_ieee_overflow 0
		.amdhsa_exception_fp_ieee_underflow 0
		.amdhsa_exception_fp_ieee_inexact 0
		.amdhsa_exception_int_div_zero 0
	.end_amdhsa_kernel
	.section	.text._ZN9rocsparseL27csrmvn_lrb_long_rows_kernelIll21rocsparse_complex_numIfES1_IdES3_S3_EEvbT_PjPT0_S7_jNS_24const_host_device_scalarIT4_EEPKS4_PKS6_PKT1_PKT2_SA_PT3_21rocsparse_index_base_b,"axG",@progbits,_ZN9rocsparseL27csrmvn_lrb_long_rows_kernelIll21rocsparse_complex_numIfES1_IdES3_S3_EEvbT_PjPT0_S7_jNS_24const_host_device_scalarIT4_EEPKS4_PKS6_PKT1_PKT2_SA_PT3_21rocsparse_index_base_b,comdat
.Lfunc_end223:
	.size	_ZN9rocsparseL27csrmvn_lrb_long_rows_kernelIll21rocsparse_complex_numIfES1_IdES3_S3_EEvbT_PjPT0_S7_jNS_24const_host_device_scalarIT4_EEPKS4_PKS6_PKT1_PKT2_SA_PT3_21rocsparse_index_base_b, .Lfunc_end223-_ZN9rocsparseL27csrmvn_lrb_long_rows_kernelIll21rocsparse_complex_numIfES1_IdES3_S3_EEvbT_PjPT0_S7_jNS_24const_host_device_scalarIT4_EEPKS4_PKS6_PKT1_PKT2_SA_PT3_21rocsparse_index_base_b
                                        ; -- End function
	.set _ZN9rocsparseL27csrmvn_lrb_long_rows_kernelIll21rocsparse_complex_numIfES1_IdES3_S3_EEvbT_PjPT0_S7_jNS_24const_host_device_scalarIT4_EEPKS4_PKS6_PKT1_PKT2_SA_PT3_21rocsparse_index_base_b.num_vgpr, 28
	.set _ZN9rocsparseL27csrmvn_lrb_long_rows_kernelIll21rocsparse_complex_numIfES1_IdES3_S3_EEvbT_PjPT0_S7_jNS_24const_host_device_scalarIT4_EEPKS4_PKS6_PKT1_PKT2_SA_PT3_21rocsparse_index_base_b.num_agpr, 0
	.set _ZN9rocsparseL27csrmvn_lrb_long_rows_kernelIll21rocsparse_complex_numIfES1_IdES3_S3_EEvbT_PjPT0_S7_jNS_24const_host_device_scalarIT4_EEPKS4_PKS6_PKT1_PKT2_SA_PT3_21rocsparse_index_base_b.numbered_sgpr, 30
	.set _ZN9rocsparseL27csrmvn_lrb_long_rows_kernelIll21rocsparse_complex_numIfES1_IdES3_S3_EEvbT_PjPT0_S7_jNS_24const_host_device_scalarIT4_EEPKS4_PKS6_PKT1_PKT2_SA_PT3_21rocsparse_index_base_b.num_named_barrier, 0
	.set _ZN9rocsparseL27csrmvn_lrb_long_rows_kernelIll21rocsparse_complex_numIfES1_IdES3_S3_EEvbT_PjPT0_S7_jNS_24const_host_device_scalarIT4_EEPKS4_PKS6_PKT1_PKT2_SA_PT3_21rocsparse_index_base_b.private_seg_size, 0
	.set _ZN9rocsparseL27csrmvn_lrb_long_rows_kernelIll21rocsparse_complex_numIfES1_IdES3_S3_EEvbT_PjPT0_S7_jNS_24const_host_device_scalarIT4_EEPKS4_PKS6_PKT1_PKT2_SA_PT3_21rocsparse_index_base_b.uses_vcc, 1
	.set _ZN9rocsparseL27csrmvn_lrb_long_rows_kernelIll21rocsparse_complex_numIfES1_IdES3_S3_EEvbT_PjPT0_S7_jNS_24const_host_device_scalarIT4_EEPKS4_PKS6_PKT1_PKT2_SA_PT3_21rocsparse_index_base_b.uses_flat_scratch, 0
	.set _ZN9rocsparseL27csrmvn_lrb_long_rows_kernelIll21rocsparse_complex_numIfES1_IdES3_S3_EEvbT_PjPT0_S7_jNS_24const_host_device_scalarIT4_EEPKS4_PKS6_PKT1_PKT2_SA_PT3_21rocsparse_index_base_b.has_dyn_sized_stack, 0
	.set _ZN9rocsparseL27csrmvn_lrb_long_rows_kernelIll21rocsparse_complex_numIfES1_IdES3_S3_EEvbT_PjPT0_S7_jNS_24const_host_device_scalarIT4_EEPKS4_PKS6_PKT1_PKT2_SA_PT3_21rocsparse_index_base_b.has_recursion, 0
	.set _ZN9rocsparseL27csrmvn_lrb_long_rows_kernelIll21rocsparse_complex_numIfES1_IdES3_S3_EEvbT_PjPT0_S7_jNS_24const_host_device_scalarIT4_EEPKS4_PKS6_PKT1_PKT2_SA_PT3_21rocsparse_index_base_b.has_indirect_call, 0
	.section	.AMDGPU.csdata,"",@progbits
; Kernel info:
; codeLenInByte = 1892
; TotalNumSgprs: 32
; NumVgprs: 28
; ScratchSize: 0
; MemoryBound: 0
; FloatMode: 240
; IeeeMode: 1
; LDSByteSize: 4096 bytes/workgroup (compile time only)
; SGPRBlocks: 0
; VGPRBlocks: 1
; NumSGPRsForWavesPerEU: 32
; NumVGPRsForWavesPerEU: 28
; NamedBarCnt: 0
; Occupancy: 16
; WaveLimiterHint : 1
; COMPUTE_PGM_RSRC2:SCRATCH_EN: 0
; COMPUTE_PGM_RSRC2:USER_SGPR: 2
; COMPUTE_PGM_RSRC2:TRAP_HANDLER: 0
; COMPUTE_PGM_RSRC2:TGID_X_EN: 1
; COMPUTE_PGM_RSRC2:TGID_Y_EN: 0
; COMPUTE_PGM_RSRC2:TGID_Z_EN: 0
; COMPUTE_PGM_RSRC2:TIDIG_COMP_CNT: 0
	.section	.AMDGPU.gpr_maximums,"",@progbits
	.set amdgpu.max_num_vgpr, 0
	.set amdgpu.max_num_agpr, 0
	.set amdgpu.max_num_sgpr, 0
	.section	.AMDGPU.csdata,"",@progbits
	.type	__hip_cuid_84806cc4915ea744,@object ; @__hip_cuid_84806cc4915ea744
	.section	.bss,"aw",@nobits
	.globl	__hip_cuid_84806cc4915ea744
__hip_cuid_84806cc4915ea744:
	.byte	0                               ; 0x0
	.size	__hip_cuid_84806cc4915ea744, 1

	.ident	"AMD clang version 22.0.0git (https://github.com/RadeonOpenCompute/llvm-project roc-7.2.4 26084 f58b06dce1f9c15707c5f808fd002e18c2accf7e)"
	.section	".note.GNU-stack","",@progbits
	.addrsig
	.addrsig_sym __hip_cuid_84806cc4915ea744
	.amdgpu_metadata
---
amdhsa.kernels:
  - .args:
      - .offset:         0
        .size:           4
        .value_kind:     by_value
      - .address_space:  global
        .offset:         8
        .size:           8
        .value_kind:     global_buffer
      - .address_space:  global
        .offset:         16
        .size:           8
        .value_kind:     global_buffer
      - .address_space:  global
        .offset:         24
        .size:           8
        .value_kind:     global_buffer
      - .offset:         32
        .size:           4
        .value_kind:     hidden_block_count_x
      - .offset:         36
        .size:           4
        .value_kind:     hidden_block_count_y
      - .offset:         40
        .size:           4
        .value_kind:     hidden_block_count_z
      - .offset:         44
        .size:           2
        .value_kind:     hidden_group_size_x
      - .offset:         46
        .size:           2
        .value_kind:     hidden_group_size_y
      - .offset:         48
        .size:           2
        .value_kind:     hidden_group_size_z
      - .offset:         50
        .size:           2
        .value_kind:     hidden_remainder_x
      - .offset:         52
        .size:           2
        .value_kind:     hidden_remainder_y
      - .offset:         54
        .size:           2
        .value_kind:     hidden_remainder_z
      - .offset:         72
        .size:           8
        .value_kind:     hidden_global_offset_x
      - .offset:         80
        .size:           8
        .value_kind:     hidden_global_offset_y
      - .offset:         88
        .size:           8
        .value_kind:     hidden_global_offset_z
      - .offset:         96
        .size:           2
        .value_kind:     hidden_grid_dims
    .group_segment_fixed_size: 0
    .kernarg_segment_align: 8
    .kernarg_segment_size: 288
    .language:       OpenCL C
    .language_version:
      - 2
      - 0
    .max_flat_workgroup_size: 256
    .name:           _ZN9rocsparseL46csrmvn_preprocess_device_32_bins_3phase_phase1ILj256EiiEEvT1_PKT0_PS1_S5_
    .private_segment_fixed_size: 0
    .sgpr_count:     13
    .sgpr_spill_count: 0
    .symbol:         _ZN9rocsparseL46csrmvn_preprocess_device_32_bins_3phase_phase1ILj256EiiEEvT1_PKT0_PS1_S5_.kd
    .uniform_work_group_size: 1
    .uses_dynamic_stack: false
    .vgpr_count:     6
    .vgpr_spill_count: 0
    .wavefront_size: 32
  - .args:
      - .address_space:  global
        .offset:         0
        .size:           8
        .value_kind:     global_buffer
    .group_segment_fixed_size: 0
    .kernarg_segment_align: 8
    .kernarg_segment_size: 8
    .language:       OpenCL C
    .language_version:
      - 2
      - 0
    .max_flat_workgroup_size: 1
    .name:           _ZN9rocsparseL46csrmvn_preprocess_device_32_bins_3phase_phase2IiEEvPT_
    .private_segment_fixed_size: 0
    .sgpr_count:     36
    .sgpr_spill_count: 0
    .symbol:         _ZN9rocsparseL46csrmvn_preprocess_device_32_bins_3phase_phase2IiEEvPT_.kd
    .uniform_work_group_size: 1
    .uses_dynamic_stack: false
    .vgpr_count:     28
    .vgpr_spill_count: 0
    .wavefront_size: 32
  - .args:
      - .offset:         0
        .size:           4
        .value_kind:     by_value
      - .address_space:  global
        .offset:         8
        .size:           8
        .value_kind:     global_buffer
      - .address_space:  global
        .offset:         16
        .size:           8
        .value_kind:     global_buffer
      - .address_space:  global
        .offset:         24
        .size:           8
        .value_kind:     global_buffer
      - .address_space:  global
        .offset:         32
        .size:           8
        .value_kind:     global_buffer
      - .offset:         40
        .size:           4
        .value_kind:     hidden_block_count_x
      - .offset:         44
        .size:           4
        .value_kind:     hidden_block_count_y
      - .offset:         48
        .size:           4
        .value_kind:     hidden_block_count_z
      - .offset:         52
        .size:           2
        .value_kind:     hidden_group_size_x
      - .offset:         54
        .size:           2
        .value_kind:     hidden_group_size_y
      - .offset:         56
        .size:           2
        .value_kind:     hidden_group_size_z
      - .offset:         58
        .size:           2
        .value_kind:     hidden_remainder_x
      - .offset:         60
        .size:           2
        .value_kind:     hidden_remainder_y
      - .offset:         62
        .size:           2
        .value_kind:     hidden_remainder_z
      - .offset:         80
        .size:           8
        .value_kind:     hidden_global_offset_x
      - .offset:         88
        .size:           8
        .value_kind:     hidden_global_offset_y
      - .offset:         96
        .size:           8
        .value_kind:     hidden_global_offset_z
      - .offset:         104
        .size:           2
        .value_kind:     hidden_grid_dims
    .group_segment_fixed_size: 0
    .kernarg_segment_align: 8
    .kernarg_segment_size: 296
    .language:       OpenCL C
    .language_version:
      - 2
      - 0
    .max_flat_workgroup_size: 256
    .name:           _ZN9rocsparseL46csrmvn_preprocess_device_32_bins_3phase_phase3ILj256EiiEEvT1_PKT0_PKS1_S6_PS1_
    .private_segment_fixed_size: 0
    .sgpr_count:     15
    .sgpr_spill_count: 0
    .symbol:         _ZN9rocsparseL46csrmvn_preprocess_device_32_bins_3phase_phase3ILj256EiiEEvT1_PKT0_PKS1_S6_PS1_.kd
    .uniform_work_group_size: 1
    .uses_dynamic_stack: false
    .vgpr_count:     5
    .vgpr_spill_count: 0
    .wavefront_size: 32
  - .args:
      - .offset:         0
        .size:           4
        .value_kind:     by_value
      - .address_space:  global
        .offset:         8
        .size:           8
        .value_kind:     global_buffer
      - .address_space:  global
        .offset:         16
        .size:           8
        .value_kind:     global_buffer
      - .address_space:  global
        .offset:         24
        .size:           8
        .value_kind:     global_buffer
      - .offset:         32
        .size:           4
        .value_kind:     hidden_block_count_x
      - .offset:         36
        .size:           4
        .value_kind:     hidden_block_count_y
      - .offset:         40
        .size:           4
        .value_kind:     hidden_block_count_z
      - .offset:         44
        .size:           2
        .value_kind:     hidden_group_size_x
      - .offset:         46
        .size:           2
        .value_kind:     hidden_group_size_y
      - .offset:         48
        .size:           2
        .value_kind:     hidden_group_size_z
      - .offset:         50
        .size:           2
        .value_kind:     hidden_remainder_x
      - .offset:         52
        .size:           2
        .value_kind:     hidden_remainder_y
      - .offset:         54
        .size:           2
        .value_kind:     hidden_remainder_z
      - .offset:         72
        .size:           8
        .value_kind:     hidden_global_offset_x
      - .offset:         80
        .size:           8
        .value_kind:     hidden_global_offset_y
      - .offset:         88
        .size:           8
        .value_kind:     hidden_global_offset_z
      - .offset:         96
        .size:           2
        .value_kind:     hidden_grid_dims
    .group_segment_fixed_size: 0
    .kernarg_segment_align: 8
    .kernarg_segment_size: 288
    .language:       OpenCL C
    .language_version:
      - 2
      - 0
    .max_flat_workgroup_size: 256
    .name:           _ZN9rocsparseL46csrmvn_preprocess_device_32_bins_3phase_phase1ILj256EliEEvT1_PKT0_PS1_S5_
    .private_segment_fixed_size: 0
    .sgpr_count:     16
    .sgpr_spill_count: 0
    .symbol:         _ZN9rocsparseL46csrmvn_preprocess_device_32_bins_3phase_phase1ILj256EliEEvT1_PKT0_PS1_S5_.kd
    .uniform_work_group_size: 1
    .uses_dynamic_stack: false
    .vgpr_count:     24
    .vgpr_spill_count: 0
    .wavefront_size: 32
  - .args:
      - .offset:         0
        .size:           4
        .value_kind:     by_value
      - .address_space:  global
        .offset:         8
        .size:           8
        .value_kind:     global_buffer
      - .address_space:  global
        .offset:         16
        .size:           8
        .value_kind:     global_buffer
      - .address_space:  global
        .offset:         24
        .size:           8
        .value_kind:     global_buffer
      - .address_space:  global
        .offset:         32
        .size:           8
        .value_kind:     global_buffer
      - .offset:         40
        .size:           4
        .value_kind:     hidden_block_count_x
      - .offset:         44
        .size:           4
        .value_kind:     hidden_block_count_y
      - .offset:         48
        .size:           4
        .value_kind:     hidden_block_count_z
      - .offset:         52
        .size:           2
        .value_kind:     hidden_group_size_x
      - .offset:         54
        .size:           2
        .value_kind:     hidden_group_size_y
      - .offset:         56
        .size:           2
        .value_kind:     hidden_group_size_z
      - .offset:         58
        .size:           2
        .value_kind:     hidden_remainder_x
      - .offset:         60
        .size:           2
        .value_kind:     hidden_remainder_y
      - .offset:         62
        .size:           2
        .value_kind:     hidden_remainder_z
      - .offset:         80
        .size:           8
        .value_kind:     hidden_global_offset_x
      - .offset:         88
        .size:           8
        .value_kind:     hidden_global_offset_y
      - .offset:         96
        .size:           8
        .value_kind:     hidden_global_offset_z
      - .offset:         104
        .size:           2
        .value_kind:     hidden_grid_dims
    .group_segment_fixed_size: 0
    .kernarg_segment_align: 8
    .kernarg_segment_size: 296
    .language:       OpenCL C
    .language_version:
      - 2
      - 0
    .max_flat_workgroup_size: 256
    .name:           _ZN9rocsparseL46csrmvn_preprocess_device_32_bins_3phase_phase3ILj256EliEEvT1_PKT0_PKS1_S6_PS1_
    .private_segment_fixed_size: 0
    .sgpr_count:     18
    .sgpr_spill_count: 0
    .symbol:         _ZN9rocsparseL46csrmvn_preprocess_device_32_bins_3phase_phase3ILj256EliEEvT1_PKT0_PKS1_S6_PS1_.kd
    .uniform_work_group_size: 1
    .uses_dynamic_stack: false
    .vgpr_count:     22
    .vgpr_spill_count: 0
    .wavefront_size: 32
  - .args:
      - .offset:         0
        .size:           8
        .value_kind:     by_value
      - .address_space:  global
        .offset:         8
        .size:           8
        .value_kind:     global_buffer
      - .address_space:  global
        .offset:         16
        .size:           8
        .value_kind:     global_buffer
      - .address_space:  global
        .offset:         24
        .size:           8
        .value_kind:     global_buffer
      - .offset:         32
        .size:           4
        .value_kind:     hidden_block_count_x
      - .offset:         36
        .size:           4
        .value_kind:     hidden_block_count_y
      - .offset:         40
        .size:           4
        .value_kind:     hidden_block_count_z
      - .offset:         44
        .size:           2
        .value_kind:     hidden_group_size_x
      - .offset:         46
        .size:           2
        .value_kind:     hidden_group_size_y
      - .offset:         48
        .size:           2
        .value_kind:     hidden_group_size_z
      - .offset:         50
        .size:           2
        .value_kind:     hidden_remainder_x
      - .offset:         52
        .size:           2
        .value_kind:     hidden_remainder_y
      - .offset:         54
        .size:           2
        .value_kind:     hidden_remainder_z
      - .offset:         72
        .size:           8
        .value_kind:     hidden_global_offset_x
      - .offset:         80
        .size:           8
        .value_kind:     hidden_global_offset_y
      - .offset:         88
        .size:           8
        .value_kind:     hidden_global_offset_z
      - .offset:         96
        .size:           2
        .value_kind:     hidden_grid_dims
    .group_segment_fixed_size: 0
    .kernarg_segment_align: 8
    .kernarg_segment_size: 288
    .language:       OpenCL C
    .language_version:
      - 2
      - 0
    .max_flat_workgroup_size: 256
    .name:           _ZN9rocsparseL46csrmvn_preprocess_device_32_bins_3phase_phase1ILj256EllEEvT1_PKT0_PS1_S5_
    .private_segment_fixed_size: 0
    .sgpr_count:     20
    .sgpr_spill_count: 0
    .symbol:         _ZN9rocsparseL46csrmvn_preprocess_device_32_bins_3phase_phase1ILj256EllEEvT1_PKT0_PS1_S5_.kd
    .uniform_work_group_size: 1
    .uses_dynamic_stack: false
    .vgpr_count:     26
    .vgpr_spill_count: 0
    .wavefront_size: 32
  - .args:
      - .address_space:  global
        .offset:         0
        .size:           8
        .value_kind:     global_buffer
    .group_segment_fixed_size: 0
    .kernarg_segment_align: 8
    .kernarg_segment_size: 8
    .language:       OpenCL C
    .language_version:
      - 2
      - 0
    .max_flat_workgroup_size: 1
    .name:           _ZN9rocsparseL46csrmvn_preprocess_device_32_bins_3phase_phase2IlEEvPT_
    .private_segment_fixed_size: 0
    .sgpr_count:     66
    .sgpr_spill_count: 0
    .symbol:         _ZN9rocsparseL46csrmvn_preprocess_device_32_bins_3phase_phase2IlEEvPT_.kd
    .uniform_work_group_size: 1
    .uses_dynamic_stack: false
    .vgpr_count:     26
    .vgpr_spill_count: 0
    .wavefront_size: 32
  - .args:
      - .offset:         0
        .size:           8
        .value_kind:     by_value
      - .address_space:  global
        .offset:         8
        .size:           8
        .value_kind:     global_buffer
      - .address_space:  global
        .offset:         16
        .size:           8
        .value_kind:     global_buffer
      - .address_space:  global
        .offset:         24
        .size:           8
        .value_kind:     global_buffer
      - .address_space:  global
        .offset:         32
        .size:           8
        .value_kind:     global_buffer
      - .offset:         40
        .size:           4
        .value_kind:     hidden_block_count_x
      - .offset:         44
        .size:           4
        .value_kind:     hidden_block_count_y
      - .offset:         48
        .size:           4
        .value_kind:     hidden_block_count_z
      - .offset:         52
        .size:           2
        .value_kind:     hidden_group_size_x
      - .offset:         54
        .size:           2
        .value_kind:     hidden_group_size_y
      - .offset:         56
        .size:           2
        .value_kind:     hidden_group_size_z
      - .offset:         58
        .size:           2
        .value_kind:     hidden_remainder_x
      - .offset:         60
        .size:           2
        .value_kind:     hidden_remainder_y
      - .offset:         62
        .size:           2
        .value_kind:     hidden_remainder_z
      - .offset:         80
        .size:           8
        .value_kind:     hidden_global_offset_x
      - .offset:         88
        .size:           8
        .value_kind:     hidden_global_offset_y
      - .offset:         96
        .size:           8
        .value_kind:     hidden_global_offset_z
      - .offset:         104
        .size:           2
        .value_kind:     hidden_grid_dims
    .group_segment_fixed_size: 0
    .kernarg_segment_align: 8
    .kernarg_segment_size: 296
    .language:       OpenCL C
    .language_version:
      - 2
      - 0
    .max_flat_workgroup_size: 256
    .name:           _ZN9rocsparseL46csrmvn_preprocess_device_32_bins_3phase_phase3ILj256EllEEvT1_PKT0_PKS1_S6_PS1_
    .private_segment_fixed_size: 0
    .sgpr_count:     22
    .sgpr_spill_count: 0
    .symbol:         _ZN9rocsparseL46csrmvn_preprocess_device_32_bins_3phase_phase3ILj256EllEEvT1_PKT0_PKS1_S6_PS1_.kd
    .uniform_work_group_size: 1
    .uses_dynamic_stack: false
    .vgpr_count:     24
    .vgpr_spill_count: 0
    .wavefront_size: 32
  - .args:
      - .offset:         0
        .size:           1
        .value_kind:     by_value
      - .offset:         4
        .size:           4
        .value_kind:     by_value
      - .actual_access:  read_only
        .address_space:  global
        .offset:         8
        .size:           8
        .value_kind:     global_buffer
      - .actual_access:  read_only
        .address_space:  global
        .offset:         16
        .size:           8
        .value_kind:     global_buffer
      - .offset:         24
        .size:           4
        .value_kind:     by_value
      - .offset:         32
        .size:           8
        .value_kind:     by_value
      - .actual_access:  read_only
        .address_space:  global
        .offset:         40
        .size:           8
        .value_kind:     global_buffer
      - .actual_access:  read_only
        .address_space:  global
        .offset:         48
        .size:           8
        .value_kind:     global_buffer
      - .actual_access:  read_only
        .address_space:  global
        .offset:         56
        .size:           8
        .value_kind:     global_buffer
      - .actual_access:  read_only
        .address_space:  global
        .offset:         64
        .size:           8
        .value_kind:     global_buffer
      - .offset:         72
        .size:           8
        .value_kind:     by_value
      - .address_space:  global
        .offset:         80
        .size:           8
        .value_kind:     global_buffer
      - .offset:         88
        .size:           4
        .value_kind:     by_value
      - .offset:         92
        .size:           1
        .value_kind:     by_value
    .group_segment_fixed_size: 0
    .kernarg_segment_align: 8
    .kernarg_segment_size: 96
    .language:       OpenCL C
    .language_version:
      - 2
      - 0
    .max_flat_workgroup_size: 256
    .name:           _ZN9rocsparseL28csrmvn_lrb_short_rows_kernelIiiffffEEvbT_PT0_S3_jNS_24const_host_device_scalarIT4_EEPKS1_PKS2_PKT1_PKT2_S6_PT3_21rocsparse_index_base_b
    .private_segment_fixed_size: 0
    .sgpr_count:     25
    .sgpr_spill_count: 0
    .symbol:         _ZN9rocsparseL28csrmvn_lrb_short_rows_kernelIiiffffEEvbT_PT0_S3_jNS_24const_host_device_scalarIT4_EEPKS1_PKS2_PKT1_PKT2_S6_PT3_21rocsparse_index_base_b.kd
    .uniform_work_group_size: 1
    .uses_dynamic_stack: false
    .vgpr_count:     7
    .vgpr_spill_count: 0
    .wavefront_size: 32
  - .args:
      - .offset:         0
        .size:           1
        .value_kind:     by_value
      - .offset:         4
        .size:           4
        .value_kind:     by_value
      - .actual_access:  read_only
        .address_space:  global
        .offset:         8
        .size:           8
        .value_kind:     global_buffer
      - .actual_access:  read_only
        .address_space:  global
        .offset:         16
        .size:           8
        .value_kind:     global_buffer
      - .offset:         24
        .size:           4
        .value_kind:     by_value
      - .offset:         32
        .size:           8
        .value_kind:     by_value
      - .actual_access:  read_only
        .address_space:  global
        .offset:         40
        .size:           8
        .value_kind:     global_buffer
      - .actual_access:  read_only
        .address_space:  global
        .offset:         48
        .size:           8
        .value_kind:     global_buffer
      - .actual_access:  read_only
        .address_space:  global
        .offset:         56
        .size:           8
        .value_kind:     global_buffer
      - .actual_access:  read_only
        .address_space:  global
        .offset:         64
        .size:           8
        .value_kind:     global_buffer
      - .offset:         72
        .size:           8
        .value_kind:     by_value
      - .address_space:  global
        .offset:         80
        .size:           8
        .value_kind:     global_buffer
      - .offset:         88
        .size:           4
        .value_kind:     by_value
      - .offset:         92
        .size:           1
        .value_kind:     by_value
    .group_segment_fixed_size: 4096
    .kernarg_segment_align: 8
    .kernarg_segment_size: 96
    .language:       OpenCL C
    .language_version:
      - 2
      - 0
    .max_flat_workgroup_size: 256
    .name:           _ZN9rocsparseL30csrmvn_lrb_short_rows_2_kernelIiiffffEEvbT_PT0_S3_jNS_24const_host_device_scalarIT4_EEPKS1_PKS2_PKT1_PKT2_S6_PT3_21rocsparse_index_base_b
    .private_segment_fixed_size: 0
    .sgpr_count:     24
    .sgpr_spill_count: 0
    .symbol:         _ZN9rocsparseL30csrmvn_lrb_short_rows_2_kernelIiiffffEEvbT_PT0_S3_jNS_24const_host_device_scalarIT4_EEPKS1_PKS2_PKT1_PKT2_S6_PT3_21rocsparse_index_base_b.kd
    .uniform_work_group_size: 1
    .uses_dynamic_stack: false
    .vgpr_count:     6
    .vgpr_spill_count: 0
    .wavefront_size: 32
  - .args:
      - .offset:         0
        .size:           1
        .value_kind:     by_value
      - .offset:         4
        .size:           4
        .value_kind:     by_value
      - .offset:         8
        .size:           8
        .value_kind:     by_value
      - .actual_access:  read_only
        .address_space:  global
        .offset:         16
        .size:           8
        .value_kind:     global_buffer
      - .actual_access:  read_only
        .address_space:  global
        .offset:         24
        .size:           8
        .value_kind:     global_buffer
      - .offset:         32
        .size:           4
        .value_kind:     by_value
      - .offset:         40
        .size:           8
        .value_kind:     by_value
      - .actual_access:  read_only
        .address_space:  global
        .offset:         48
        .size:           8
        .value_kind:     global_buffer
      - .actual_access:  read_only
        .address_space:  global
        .offset:         56
        .size:           8
        .value_kind:     global_buffer
      - .actual_access:  read_only
        .address_space:  global
        .offset:         64
        .size:           8
        .value_kind:     global_buffer
      - .actual_access:  read_only
        .address_space:  global
        .offset:         72
        .size:           8
        .value_kind:     global_buffer
      - .offset:         80
        .size:           8
        .value_kind:     by_value
      - .address_space:  global
        .offset:         88
        .size:           8
        .value_kind:     global_buffer
      - .offset:         96
        .size:           4
        .value_kind:     by_value
      - .offset:         100
        .size:           1
        .value_kind:     by_value
    .group_segment_fixed_size: 0
    .kernarg_segment_align: 8
    .kernarg_segment_size: 104
    .language:       OpenCL C
    .language_version:
      - 2
      - 0
    .max_flat_workgroup_size: 256
    .name:           _ZN9rocsparseL41csrmvn_lrb_medium_rows_warp_reduce_kernelILj256ELj32EiiffffEEvbT1_lPT2_S3_jNS_24const_host_device_scalarIT6_EEPKS1_PKS2_PKT3_PKT4_S6_PT5_21rocsparse_index_base_b
    .private_segment_fixed_size: 0
    .sgpr_count:     16
    .sgpr_spill_count: 0
    .symbol:         _ZN9rocsparseL41csrmvn_lrb_medium_rows_warp_reduce_kernelILj256ELj32EiiffffEEvbT1_lPT2_S3_jNS_24const_host_device_scalarIT6_EEPKS1_PKS2_PKT3_PKT4_S6_PT5_21rocsparse_index_base_b.kd
    .uniform_work_group_size: 1
    .uses_dynamic_stack: false
    .vgpr_count:     8
    .vgpr_spill_count: 0
    .wavefront_size: 32
  - .args:
      - .offset:         0
        .size:           1
        .value_kind:     by_value
      - .offset:         4
        .size:           4
        .value_kind:     by_value
      - .offset:         8
        .size:           8
        .value_kind:     by_value
      - .actual_access:  read_only
        .address_space:  global
        .offset:         16
        .size:           8
        .value_kind:     global_buffer
      - .actual_access:  read_only
        .address_space:  global
        .offset:         24
        .size:           8
        .value_kind:     global_buffer
      - .offset:         32
        .size:           4
        .value_kind:     by_value
      - .offset:         40
        .size:           8
        .value_kind:     by_value
      - .actual_access:  read_only
        .address_space:  global
        .offset:         48
        .size:           8
        .value_kind:     global_buffer
      - .actual_access:  read_only
        .address_space:  global
        .offset:         56
        .size:           8
        .value_kind:     global_buffer
      - .actual_access:  read_only
        .address_space:  global
        .offset:         64
        .size:           8
        .value_kind:     global_buffer
      - .actual_access:  read_only
        .address_space:  global
        .offset:         72
        .size:           8
        .value_kind:     global_buffer
      - .offset:         80
        .size:           8
        .value_kind:     by_value
      - .address_space:  global
        .offset:         88
        .size:           8
        .value_kind:     global_buffer
      - .offset:         96
        .size:           4
        .value_kind:     by_value
      - .offset:         100
        .size:           1
        .value_kind:     by_value
    .group_segment_fixed_size: 0
    .kernarg_segment_align: 8
    .kernarg_segment_size: 104
    .language:       OpenCL C
    .language_version:
      - 2
      - 0
    .max_flat_workgroup_size: 256
    .name:           _ZN9rocsparseL41csrmvn_lrb_medium_rows_warp_reduce_kernelILj256ELj64EiiffffEEvbT1_lPT2_S3_jNS_24const_host_device_scalarIT6_EEPKS1_PKS2_PKT3_PKT4_S6_PT5_21rocsparse_index_base_b
    .private_segment_fixed_size: 0
    .sgpr_count:     16
    .sgpr_spill_count: 0
    .symbol:         _ZN9rocsparseL41csrmvn_lrb_medium_rows_warp_reduce_kernelILj256ELj64EiiffffEEvbT1_lPT2_S3_jNS_24const_host_device_scalarIT6_EEPKS1_PKS2_PKT3_PKT4_S6_PT5_21rocsparse_index_base_b.kd
    .uniform_work_group_size: 1
    .uses_dynamic_stack: false
    .vgpr_count:     8
    .vgpr_spill_count: 0
    .wavefront_size: 32
  - .args:
      - .offset:         0
        .size:           1
        .value_kind:     by_value
      - .offset:         4
        .size:           4
        .value_kind:     by_value
      - .actual_access:  read_only
        .address_space:  global
        .offset:         8
        .size:           8
        .value_kind:     global_buffer
      - .actual_access:  read_only
        .address_space:  global
        .offset:         16
        .size:           8
        .value_kind:     global_buffer
      - .offset:         24
        .size:           4
        .value_kind:     by_value
      - .offset:         32
        .size:           8
        .value_kind:     by_value
      - .actual_access:  read_only
        .address_space:  global
        .offset:         40
        .size:           8
        .value_kind:     global_buffer
      - .actual_access:  read_only
        .address_space:  global
        .offset:         48
        .size:           8
        .value_kind:     global_buffer
      - .actual_access:  read_only
        .address_space:  global
        .offset:         56
        .size:           8
        .value_kind:     global_buffer
      - .actual_access:  read_only
        .address_space:  global
        .offset:         64
        .size:           8
        .value_kind:     global_buffer
      - .offset:         72
        .size:           8
        .value_kind:     by_value
      - .address_space:  global
        .offset:         80
        .size:           8
        .value_kind:     global_buffer
      - .offset:         88
        .size:           4
        .value_kind:     by_value
      - .offset:         92
        .size:           1
        .value_kind:     by_value
    .group_segment_fixed_size: 1024
    .kernarg_segment_align: 8
    .kernarg_segment_size: 96
    .language:       OpenCL C
    .language_version:
      - 2
      - 0
    .max_flat_workgroup_size: 256
    .name:           _ZN9rocsparseL29csrmvn_lrb_medium_rows_kernelILj256EiiffffEEvbT0_PT1_S3_jNS_24const_host_device_scalarIT5_EEPKS1_PKS2_PKT2_PKT3_S6_PT4_21rocsparse_index_base_b
    .private_segment_fixed_size: 0
    .sgpr_count:     18
    .sgpr_spill_count: 0
    .symbol:         _ZN9rocsparseL29csrmvn_lrb_medium_rows_kernelILj256EiiffffEEvbT0_PT1_S3_jNS_24const_host_device_scalarIT5_EEPKS1_PKS2_PKT2_PKT3_S6_PT4_21rocsparse_index_base_b.kd
    .uniform_work_group_size: 1
    .uses_dynamic_stack: false
    .vgpr_count:     5
    .vgpr_spill_count: 0
    .wavefront_size: 32
  - .args:
      - .offset:         0
        .size:           1
        .value_kind:     by_value
      - .offset:         4
        .size:           4
        .value_kind:     by_value
      - .address_space:  global
        .offset:         8
        .size:           8
        .value_kind:     global_buffer
      - .actual_access:  read_only
        .address_space:  global
        .offset:         16
        .size:           8
        .value_kind:     global_buffer
      - .actual_access:  read_only
        .address_space:  global
        .offset:         24
        .size:           8
        .value_kind:     global_buffer
      - .offset:         32
        .size:           4
        .value_kind:     by_value
      - .offset:         40
        .size:           8
        .value_kind:     by_value
      - .actual_access:  read_only
        .address_space:  global
        .offset:         48
        .size:           8
        .value_kind:     global_buffer
      - .actual_access:  read_only
        .address_space:  global
        .offset:         56
        .size:           8
        .value_kind:     global_buffer
      - .actual_access:  read_only
        .address_space:  global
        .offset:         64
        .size:           8
        .value_kind:     global_buffer
      - .actual_access:  read_only
        .address_space:  global
        .offset:         72
        .size:           8
        .value_kind:     global_buffer
      - .offset:         80
        .size:           8
        .value_kind:     by_value
      - .address_space:  global
        .offset:         88
        .size:           8
        .value_kind:     global_buffer
      - .offset:         96
        .size:           4
        .value_kind:     by_value
      - .offset:         100
        .size:           1
        .value_kind:     by_value
    .group_segment_fixed_size: 1024
    .kernarg_segment_align: 8
    .kernarg_segment_size: 104
    .language:       OpenCL C
    .language_version:
      - 2
      - 0
    .max_flat_workgroup_size: 256
    .name:           _ZN9rocsparseL27csrmvn_lrb_long_rows_kernelIiiffffEEvbT_PjPT0_S4_jNS_24const_host_device_scalarIT4_EEPKS1_PKS3_PKT1_PKT2_S7_PT3_21rocsparse_index_base_b
    .private_segment_fixed_size: 0
    .sgpr_count:     25
    .sgpr_spill_count: 0
    .symbol:         _ZN9rocsparseL27csrmvn_lrb_long_rows_kernelIiiffffEEvbT_PjPT0_S4_jNS_24const_host_device_scalarIT4_EEPKS1_PKS3_PKT1_PKT2_S7_PT3_21rocsparse_index_base_b.kd
    .uniform_work_group_size: 1
    .uses_dynamic_stack: false
    .vgpr_count:     5
    .vgpr_spill_count: 0
    .wavefront_size: 32
  - .args:
      - .offset:         0
        .size:           1
        .value_kind:     by_value
      - .offset:         8
        .size:           8
        .value_kind:     by_value
      - .actual_access:  read_only
        .address_space:  global
        .offset:         16
        .size:           8
        .value_kind:     global_buffer
      - .actual_access:  read_only
        .address_space:  global
        .offset:         24
        .size:           8
        .value_kind:     global_buffer
      - .offset:         32
        .size:           4
        .value_kind:     by_value
      - .offset:         40
        .size:           8
        .value_kind:     by_value
      - .actual_access:  read_only
        .address_space:  global
        .offset:         48
        .size:           8
        .value_kind:     global_buffer
      - .actual_access:  read_only
        .address_space:  global
        .offset:         56
        .size:           8
        .value_kind:     global_buffer
      - .actual_access:  read_only
        .address_space:  global
        .offset:         64
        .size:           8
        .value_kind:     global_buffer
      - .actual_access:  read_only
        .address_space:  global
        .offset:         72
        .size:           8
        .value_kind:     global_buffer
      - .offset:         80
        .size:           8
        .value_kind:     by_value
      - .address_space:  global
        .offset:         88
        .size:           8
        .value_kind:     global_buffer
      - .offset:         96
        .size:           4
        .value_kind:     by_value
      - .offset:         100
        .size:           1
        .value_kind:     by_value
    .group_segment_fixed_size: 0
    .kernarg_segment_align: 8
    .kernarg_segment_size: 104
    .language:       OpenCL C
    .language_version:
      - 2
      - 0
    .max_flat_workgroup_size: 256
    .name:           _ZN9rocsparseL28csrmvn_lrb_short_rows_kernelIliffffEEvbT_PT0_S3_jNS_24const_host_device_scalarIT4_EEPKS1_PKS2_PKT1_PKT2_S6_PT3_21rocsparse_index_base_b
    .private_segment_fixed_size: 0
    .sgpr_count:     26
    .sgpr_spill_count: 0
    .symbol:         _ZN9rocsparseL28csrmvn_lrb_short_rows_kernelIliffffEEvbT_PT0_S3_jNS_24const_host_device_scalarIT4_EEPKS1_PKS2_PKT1_PKT2_S6_PT3_21rocsparse_index_base_b.kd
    .uniform_work_group_size: 1
    .uses_dynamic_stack: false
    .vgpr_count:     8
    .vgpr_spill_count: 0
    .wavefront_size: 32
  - .args:
      - .offset:         0
        .size:           1
        .value_kind:     by_value
      - .offset:         8
        .size:           8
        .value_kind:     by_value
      - .actual_access:  read_only
        .address_space:  global
        .offset:         16
        .size:           8
        .value_kind:     global_buffer
      - .actual_access:  read_only
        .address_space:  global
        .offset:         24
        .size:           8
        .value_kind:     global_buffer
      - .offset:         32
        .size:           4
        .value_kind:     by_value
      - .offset:         40
        .size:           8
        .value_kind:     by_value
      - .actual_access:  read_only
        .address_space:  global
        .offset:         48
        .size:           8
        .value_kind:     global_buffer
      - .actual_access:  read_only
        .address_space:  global
        .offset:         56
        .size:           8
        .value_kind:     global_buffer
      - .actual_access:  read_only
        .address_space:  global
        .offset:         64
        .size:           8
        .value_kind:     global_buffer
      - .actual_access:  read_only
        .address_space:  global
        .offset:         72
        .size:           8
        .value_kind:     global_buffer
      - .offset:         80
        .size:           8
        .value_kind:     by_value
      - .address_space:  global
        .offset:         88
        .size:           8
        .value_kind:     global_buffer
      - .offset:         96
        .size:           4
        .value_kind:     by_value
      - .offset:         100
        .size:           1
        .value_kind:     by_value
    .group_segment_fixed_size: 4096
    .kernarg_segment_align: 8
    .kernarg_segment_size: 104
    .language:       OpenCL C
    .language_version:
      - 2
      - 0
    .max_flat_workgroup_size: 256
    .name:           _ZN9rocsparseL30csrmvn_lrb_short_rows_2_kernelIliffffEEvbT_PT0_S3_jNS_24const_host_device_scalarIT4_EEPKS1_PKS2_PKT1_PKT2_S6_PT3_21rocsparse_index_base_b
    .private_segment_fixed_size: 0
    .sgpr_count:     25
    .sgpr_spill_count: 0
    .symbol:         _ZN9rocsparseL30csrmvn_lrb_short_rows_2_kernelIliffffEEvbT_PT0_S3_jNS_24const_host_device_scalarIT4_EEPKS1_PKS2_PKT1_PKT2_S6_PT3_21rocsparse_index_base_b.kd
    .uniform_work_group_size: 1
    .uses_dynamic_stack: false
    .vgpr_count:     8
    .vgpr_spill_count: 0
    .wavefront_size: 32
  - .args:
      - .offset:         0
        .size:           1
        .value_kind:     by_value
      - .offset:         8
        .size:           8
        .value_kind:     by_value
      - .offset:         16
        .size:           8
        .value_kind:     by_value
      - .actual_access:  read_only
        .address_space:  global
        .offset:         24
        .size:           8
        .value_kind:     global_buffer
      - .actual_access:  read_only
        .address_space:  global
        .offset:         32
        .size:           8
        .value_kind:     global_buffer
      - .offset:         40
        .size:           4
        .value_kind:     by_value
      - .offset:         48
        .size:           8
        .value_kind:     by_value
      - .actual_access:  read_only
        .address_space:  global
        .offset:         56
        .size:           8
        .value_kind:     global_buffer
      - .actual_access:  read_only
        .address_space:  global
        .offset:         64
        .size:           8
        .value_kind:     global_buffer
      - .actual_access:  read_only
        .address_space:  global
        .offset:         72
        .size:           8
        .value_kind:     global_buffer
      - .actual_access:  read_only
        .address_space:  global
        .offset:         80
        .size:           8
        .value_kind:     global_buffer
      - .offset:         88
        .size:           8
        .value_kind:     by_value
      - .address_space:  global
        .offset:         96
        .size:           8
        .value_kind:     global_buffer
      - .offset:         104
        .size:           4
        .value_kind:     by_value
      - .offset:         108
        .size:           1
        .value_kind:     by_value
    .group_segment_fixed_size: 0
    .kernarg_segment_align: 8
    .kernarg_segment_size: 112
    .language:       OpenCL C
    .language_version:
      - 2
      - 0
    .max_flat_workgroup_size: 256
    .name:           _ZN9rocsparseL41csrmvn_lrb_medium_rows_warp_reduce_kernelILj256ELj32EliffffEEvbT1_lPT2_S3_jNS_24const_host_device_scalarIT6_EEPKS1_PKS2_PKT3_PKT4_S6_PT5_21rocsparse_index_base_b
    .private_segment_fixed_size: 0
    .sgpr_count:     18
    .sgpr_spill_count: 0
    .symbol:         _ZN9rocsparseL41csrmvn_lrb_medium_rows_warp_reduce_kernelILj256ELj32EliffffEEvbT1_lPT2_S3_jNS_24const_host_device_scalarIT6_EEPKS1_PKS2_PKT3_PKT4_S6_PT5_21rocsparse_index_base_b.kd
    .uniform_work_group_size: 1
    .uses_dynamic_stack: false
    .vgpr_count:     14
    .vgpr_spill_count: 0
    .wavefront_size: 32
  - .args:
      - .offset:         0
        .size:           1
        .value_kind:     by_value
      - .offset:         8
        .size:           8
        .value_kind:     by_value
      - .offset:         16
        .size:           8
        .value_kind:     by_value
      - .actual_access:  read_only
        .address_space:  global
        .offset:         24
        .size:           8
        .value_kind:     global_buffer
      - .actual_access:  read_only
        .address_space:  global
        .offset:         32
        .size:           8
        .value_kind:     global_buffer
      - .offset:         40
        .size:           4
        .value_kind:     by_value
      - .offset:         48
        .size:           8
        .value_kind:     by_value
      - .actual_access:  read_only
        .address_space:  global
        .offset:         56
        .size:           8
        .value_kind:     global_buffer
      - .actual_access:  read_only
        .address_space:  global
        .offset:         64
        .size:           8
        .value_kind:     global_buffer
      - .actual_access:  read_only
        .address_space:  global
        .offset:         72
        .size:           8
        .value_kind:     global_buffer
      - .actual_access:  read_only
        .address_space:  global
        .offset:         80
        .size:           8
        .value_kind:     global_buffer
      - .offset:         88
        .size:           8
        .value_kind:     by_value
      - .address_space:  global
        .offset:         96
        .size:           8
        .value_kind:     global_buffer
      - .offset:         104
        .size:           4
        .value_kind:     by_value
      - .offset:         108
        .size:           1
        .value_kind:     by_value
    .group_segment_fixed_size: 0
    .kernarg_segment_align: 8
    .kernarg_segment_size: 112
    .language:       OpenCL C
    .language_version:
      - 2
      - 0
    .max_flat_workgroup_size: 256
    .name:           _ZN9rocsparseL41csrmvn_lrb_medium_rows_warp_reduce_kernelILj256ELj64EliffffEEvbT1_lPT2_S3_jNS_24const_host_device_scalarIT6_EEPKS1_PKS2_PKT3_PKT4_S6_PT5_21rocsparse_index_base_b
    .private_segment_fixed_size: 0
    .sgpr_count:     18
    .sgpr_spill_count: 0
    .symbol:         _ZN9rocsparseL41csrmvn_lrb_medium_rows_warp_reduce_kernelILj256ELj64EliffffEEvbT1_lPT2_S3_jNS_24const_host_device_scalarIT6_EEPKS1_PKS2_PKT3_PKT4_S6_PT5_21rocsparse_index_base_b.kd
    .uniform_work_group_size: 1
    .uses_dynamic_stack: false
    .vgpr_count:     14
    .vgpr_spill_count: 0
    .wavefront_size: 32
  - .args:
      - .offset:         0
        .size:           1
        .value_kind:     by_value
      - .offset:         8
        .size:           8
        .value_kind:     by_value
      - .actual_access:  read_only
        .address_space:  global
        .offset:         16
        .size:           8
        .value_kind:     global_buffer
      - .actual_access:  read_only
        .address_space:  global
        .offset:         24
        .size:           8
        .value_kind:     global_buffer
      - .offset:         32
        .size:           4
        .value_kind:     by_value
      - .offset:         40
        .size:           8
        .value_kind:     by_value
      - .actual_access:  read_only
        .address_space:  global
        .offset:         48
        .size:           8
        .value_kind:     global_buffer
      - .actual_access:  read_only
        .address_space:  global
        .offset:         56
        .size:           8
        .value_kind:     global_buffer
      - .actual_access:  read_only
        .address_space:  global
        .offset:         64
        .size:           8
        .value_kind:     global_buffer
      - .actual_access:  read_only
        .address_space:  global
        .offset:         72
        .size:           8
        .value_kind:     global_buffer
      - .offset:         80
        .size:           8
        .value_kind:     by_value
      - .address_space:  global
        .offset:         88
        .size:           8
        .value_kind:     global_buffer
      - .offset:         96
        .size:           4
        .value_kind:     by_value
      - .offset:         100
        .size:           1
        .value_kind:     by_value
    .group_segment_fixed_size: 1024
    .kernarg_segment_align: 8
    .kernarg_segment_size: 104
    .language:       OpenCL C
    .language_version:
      - 2
      - 0
    .max_flat_workgroup_size: 256
    .name:           _ZN9rocsparseL29csrmvn_lrb_medium_rows_kernelILj256EliffffEEvbT0_PT1_S3_jNS_24const_host_device_scalarIT5_EEPKS1_PKS2_PKT2_PKT3_S6_PT4_21rocsparse_index_base_b
    .private_segment_fixed_size: 0
    .sgpr_count:     22
    .sgpr_spill_count: 0
    .symbol:         _ZN9rocsparseL29csrmvn_lrb_medium_rows_kernelILj256EliffffEEvbT0_PT1_S3_jNS_24const_host_device_scalarIT5_EEPKS1_PKS2_PKT2_PKT3_S6_PT4_21rocsparse_index_base_b.kd
    .uniform_work_group_size: 1
    .uses_dynamic_stack: false
    .vgpr_count:     10
    .vgpr_spill_count: 0
    .wavefront_size: 32
  - .args:
      - .offset:         0
        .size:           1
        .value_kind:     by_value
      - .offset:         8
        .size:           8
        .value_kind:     by_value
      - .address_space:  global
        .offset:         16
        .size:           8
        .value_kind:     global_buffer
      - .actual_access:  read_only
        .address_space:  global
        .offset:         24
        .size:           8
        .value_kind:     global_buffer
      - .actual_access:  read_only
        .address_space:  global
        .offset:         32
        .size:           8
        .value_kind:     global_buffer
      - .offset:         40
        .size:           4
        .value_kind:     by_value
      - .offset:         48
        .size:           8
        .value_kind:     by_value
      - .actual_access:  read_only
        .address_space:  global
        .offset:         56
        .size:           8
        .value_kind:     global_buffer
      - .actual_access:  read_only
        .address_space:  global
        .offset:         64
        .size:           8
        .value_kind:     global_buffer
      - .actual_access:  read_only
        .address_space:  global
        .offset:         72
        .size:           8
        .value_kind:     global_buffer
      - .actual_access:  read_only
        .address_space:  global
        .offset:         80
        .size:           8
        .value_kind:     global_buffer
      - .offset:         88
        .size:           8
        .value_kind:     by_value
      - .address_space:  global
        .offset:         96
        .size:           8
        .value_kind:     global_buffer
      - .offset:         104
        .size:           4
        .value_kind:     by_value
      - .offset:         108
        .size:           1
        .value_kind:     by_value
    .group_segment_fixed_size: 1024
    .kernarg_segment_align: 8
    .kernarg_segment_size: 112
    .language:       OpenCL C
    .language_version:
      - 2
      - 0
    .max_flat_workgroup_size: 256
    .name:           _ZN9rocsparseL27csrmvn_lrb_long_rows_kernelIliffffEEvbT_PjPT0_S4_jNS_24const_host_device_scalarIT4_EEPKS1_PKS3_PKT1_PKT2_S7_PT3_21rocsparse_index_base_b
    .private_segment_fixed_size: 0
    .sgpr_count:     30
    .sgpr_spill_count: 0
    .symbol:         _ZN9rocsparseL27csrmvn_lrb_long_rows_kernelIliffffEEvbT_PjPT0_S4_jNS_24const_host_device_scalarIT4_EEPKS1_PKS3_PKT1_PKT2_S7_PT3_21rocsparse_index_base_b.kd
    .uniform_work_group_size: 1
    .uses_dynamic_stack: false
    .vgpr_count:     12
    .vgpr_spill_count: 0
    .wavefront_size: 32
  - .args:
      - .offset:         0
        .size:           1
        .value_kind:     by_value
      - .offset:         8
        .size:           8
        .value_kind:     by_value
      - .actual_access:  read_only
        .address_space:  global
        .offset:         16
        .size:           8
        .value_kind:     global_buffer
      - .actual_access:  read_only
        .address_space:  global
        .offset:         24
        .size:           8
        .value_kind:     global_buffer
      - .offset:         32
        .size:           4
        .value_kind:     by_value
      - .offset:         40
        .size:           8
        .value_kind:     by_value
      - .actual_access:  read_only
        .address_space:  global
        .offset:         48
        .size:           8
        .value_kind:     global_buffer
      - .actual_access:  read_only
        .address_space:  global
        .offset:         56
        .size:           8
        .value_kind:     global_buffer
      - .actual_access:  read_only
        .address_space:  global
        .offset:         64
        .size:           8
        .value_kind:     global_buffer
      - .actual_access:  read_only
        .address_space:  global
        .offset:         72
        .size:           8
        .value_kind:     global_buffer
      - .offset:         80
        .size:           8
        .value_kind:     by_value
      - .address_space:  global
        .offset:         88
        .size:           8
        .value_kind:     global_buffer
      - .offset:         96
        .size:           4
        .value_kind:     by_value
      - .offset:         100
        .size:           1
        .value_kind:     by_value
    .group_segment_fixed_size: 0
    .kernarg_segment_align: 8
    .kernarg_segment_size: 104
    .language:       OpenCL C
    .language_version:
      - 2
      - 0
    .max_flat_workgroup_size: 256
    .name:           _ZN9rocsparseL28csrmvn_lrb_short_rows_kernelIllffffEEvbT_PT0_S3_jNS_24const_host_device_scalarIT4_EEPKS1_PKS2_PKT1_PKT2_S6_PT3_21rocsparse_index_base_b
    .private_segment_fixed_size: 0
    .sgpr_count:     29
    .sgpr_spill_count: 0
    .symbol:         _ZN9rocsparseL28csrmvn_lrb_short_rows_kernelIllffffEEvbT_PT0_S3_jNS_24const_host_device_scalarIT4_EEPKS1_PKS2_PKT1_PKT2_S6_PT3_21rocsparse_index_base_b.kd
    .uniform_work_group_size: 1
    .uses_dynamic_stack: false
    .vgpr_count:     9
    .vgpr_spill_count: 0
    .wavefront_size: 32
  - .args:
      - .offset:         0
        .size:           1
        .value_kind:     by_value
      - .offset:         8
        .size:           8
        .value_kind:     by_value
      - .actual_access:  read_only
        .address_space:  global
        .offset:         16
        .size:           8
        .value_kind:     global_buffer
      - .actual_access:  read_only
        .address_space:  global
        .offset:         24
        .size:           8
        .value_kind:     global_buffer
      - .offset:         32
        .size:           4
        .value_kind:     by_value
      - .offset:         40
        .size:           8
        .value_kind:     by_value
      - .actual_access:  read_only
        .address_space:  global
        .offset:         48
        .size:           8
        .value_kind:     global_buffer
      - .actual_access:  read_only
        .address_space:  global
        .offset:         56
        .size:           8
        .value_kind:     global_buffer
      - .actual_access:  read_only
        .address_space:  global
        .offset:         64
        .size:           8
        .value_kind:     global_buffer
      - .actual_access:  read_only
        .address_space:  global
        .offset:         72
        .size:           8
        .value_kind:     global_buffer
      - .offset:         80
        .size:           8
        .value_kind:     by_value
      - .address_space:  global
        .offset:         88
        .size:           8
        .value_kind:     global_buffer
      - .offset:         96
        .size:           4
        .value_kind:     by_value
      - .offset:         100
        .size:           1
        .value_kind:     by_value
    .group_segment_fixed_size: 4096
    .kernarg_segment_align: 8
    .kernarg_segment_size: 104
    .language:       OpenCL C
    .language_version:
      - 2
      - 0
    .max_flat_workgroup_size: 256
    .name:           _ZN9rocsparseL30csrmvn_lrb_short_rows_2_kernelIllffffEEvbT_PT0_S3_jNS_24const_host_device_scalarIT4_EEPKS1_PKS2_PKT1_PKT2_S6_PT3_21rocsparse_index_base_b
    .private_segment_fixed_size: 0
    .sgpr_count:     30
    .sgpr_spill_count: 0
    .symbol:         _ZN9rocsparseL30csrmvn_lrb_short_rows_2_kernelIllffffEEvbT_PT0_S3_jNS_24const_host_device_scalarIT4_EEPKS1_PKS2_PKT1_PKT2_S6_PT3_21rocsparse_index_base_b.kd
    .uniform_work_group_size: 1
    .uses_dynamic_stack: false
    .vgpr_count:     8
    .vgpr_spill_count: 0
    .wavefront_size: 32
  - .args:
      - .offset:         0
        .size:           1
        .value_kind:     by_value
      - .offset:         8
        .size:           8
        .value_kind:     by_value
      - .offset:         16
        .size:           8
        .value_kind:     by_value
      - .actual_access:  read_only
        .address_space:  global
        .offset:         24
        .size:           8
        .value_kind:     global_buffer
      - .actual_access:  read_only
        .address_space:  global
        .offset:         32
        .size:           8
        .value_kind:     global_buffer
      - .offset:         40
        .size:           4
        .value_kind:     by_value
      - .offset:         48
        .size:           8
        .value_kind:     by_value
      - .actual_access:  read_only
        .address_space:  global
        .offset:         56
        .size:           8
        .value_kind:     global_buffer
      - .actual_access:  read_only
        .address_space:  global
        .offset:         64
        .size:           8
        .value_kind:     global_buffer
      - .actual_access:  read_only
        .address_space:  global
        .offset:         72
        .size:           8
        .value_kind:     global_buffer
      - .actual_access:  read_only
        .address_space:  global
        .offset:         80
        .size:           8
        .value_kind:     global_buffer
      - .offset:         88
        .size:           8
        .value_kind:     by_value
      - .address_space:  global
        .offset:         96
        .size:           8
        .value_kind:     global_buffer
      - .offset:         104
        .size:           4
        .value_kind:     by_value
      - .offset:         108
        .size:           1
        .value_kind:     by_value
    .group_segment_fixed_size: 0
    .kernarg_segment_align: 8
    .kernarg_segment_size: 112
    .language:       OpenCL C
    .language_version:
      - 2
      - 0
    .max_flat_workgroup_size: 256
    .name:           _ZN9rocsparseL41csrmvn_lrb_medium_rows_warp_reduce_kernelILj256ELj32EllffffEEvbT1_lPT2_S3_jNS_24const_host_device_scalarIT6_EEPKS1_PKS2_PKT3_PKT4_S6_PT5_21rocsparse_index_base_b
    .private_segment_fixed_size: 0
    .sgpr_count:     18
    .sgpr_spill_count: 0
    .symbol:         _ZN9rocsparseL41csrmvn_lrb_medium_rows_warp_reduce_kernelILj256ELj32EllffffEEvbT1_lPT2_S3_jNS_24const_host_device_scalarIT6_EEPKS1_PKS2_PKT3_PKT4_S6_PT5_21rocsparse_index_base_b.kd
    .uniform_work_group_size: 1
    .uses_dynamic_stack: false
    .vgpr_count:     15
    .vgpr_spill_count: 0
    .wavefront_size: 32
  - .args:
      - .offset:         0
        .size:           1
        .value_kind:     by_value
      - .offset:         8
        .size:           8
        .value_kind:     by_value
      - .offset:         16
        .size:           8
        .value_kind:     by_value
      - .actual_access:  read_only
        .address_space:  global
        .offset:         24
        .size:           8
        .value_kind:     global_buffer
      - .actual_access:  read_only
        .address_space:  global
        .offset:         32
        .size:           8
        .value_kind:     global_buffer
      - .offset:         40
        .size:           4
        .value_kind:     by_value
      - .offset:         48
        .size:           8
        .value_kind:     by_value
      - .actual_access:  read_only
        .address_space:  global
        .offset:         56
        .size:           8
        .value_kind:     global_buffer
      - .actual_access:  read_only
        .address_space:  global
        .offset:         64
        .size:           8
        .value_kind:     global_buffer
      - .actual_access:  read_only
        .address_space:  global
        .offset:         72
        .size:           8
        .value_kind:     global_buffer
      - .actual_access:  read_only
        .address_space:  global
        .offset:         80
        .size:           8
        .value_kind:     global_buffer
      - .offset:         88
        .size:           8
        .value_kind:     by_value
      - .address_space:  global
        .offset:         96
        .size:           8
        .value_kind:     global_buffer
      - .offset:         104
        .size:           4
        .value_kind:     by_value
      - .offset:         108
        .size:           1
        .value_kind:     by_value
    .group_segment_fixed_size: 0
    .kernarg_segment_align: 8
    .kernarg_segment_size: 112
    .language:       OpenCL C
    .language_version:
      - 2
      - 0
    .max_flat_workgroup_size: 256
    .name:           _ZN9rocsparseL41csrmvn_lrb_medium_rows_warp_reduce_kernelILj256ELj64EllffffEEvbT1_lPT2_S3_jNS_24const_host_device_scalarIT6_EEPKS1_PKS2_PKT3_PKT4_S6_PT5_21rocsparse_index_base_b
    .private_segment_fixed_size: 0
    .sgpr_count:     18
    .sgpr_spill_count: 0
    .symbol:         _ZN9rocsparseL41csrmvn_lrb_medium_rows_warp_reduce_kernelILj256ELj64EllffffEEvbT1_lPT2_S3_jNS_24const_host_device_scalarIT6_EEPKS1_PKS2_PKT3_PKT4_S6_PT5_21rocsparse_index_base_b.kd
    .uniform_work_group_size: 1
    .uses_dynamic_stack: false
    .vgpr_count:     15
    .vgpr_spill_count: 0
    .wavefront_size: 32
  - .args:
      - .offset:         0
        .size:           1
        .value_kind:     by_value
      - .offset:         8
        .size:           8
        .value_kind:     by_value
      - .actual_access:  read_only
        .address_space:  global
        .offset:         16
        .size:           8
        .value_kind:     global_buffer
      - .actual_access:  read_only
        .address_space:  global
        .offset:         24
        .size:           8
        .value_kind:     global_buffer
      - .offset:         32
        .size:           4
        .value_kind:     by_value
      - .offset:         40
        .size:           8
        .value_kind:     by_value
      - .actual_access:  read_only
        .address_space:  global
        .offset:         48
        .size:           8
        .value_kind:     global_buffer
      - .actual_access:  read_only
        .address_space:  global
        .offset:         56
        .size:           8
        .value_kind:     global_buffer
      - .actual_access:  read_only
        .address_space:  global
        .offset:         64
        .size:           8
        .value_kind:     global_buffer
      - .actual_access:  read_only
        .address_space:  global
        .offset:         72
        .size:           8
        .value_kind:     global_buffer
      - .offset:         80
        .size:           8
        .value_kind:     by_value
      - .address_space:  global
        .offset:         88
        .size:           8
        .value_kind:     global_buffer
      - .offset:         96
        .size:           4
        .value_kind:     by_value
      - .offset:         100
        .size:           1
        .value_kind:     by_value
    .group_segment_fixed_size: 1024
    .kernarg_segment_align: 8
    .kernarg_segment_size: 104
    .language:       OpenCL C
    .language_version:
      - 2
      - 0
    .max_flat_workgroup_size: 256
    .name:           _ZN9rocsparseL29csrmvn_lrb_medium_rows_kernelILj256EllffffEEvbT0_PT1_S3_jNS_24const_host_device_scalarIT5_EEPKS1_PKS2_PKT2_PKT3_S6_PT4_21rocsparse_index_base_b
    .private_segment_fixed_size: 0
    .sgpr_count:     22
    .sgpr_spill_count: 0
    .symbol:         _ZN9rocsparseL29csrmvn_lrb_medium_rows_kernelILj256EllffffEEvbT0_PT1_S3_jNS_24const_host_device_scalarIT5_EEPKS1_PKS2_PKT2_PKT3_S6_PT4_21rocsparse_index_base_b.kd
    .uniform_work_group_size: 1
    .uses_dynamic_stack: false
    .vgpr_count:     11
    .vgpr_spill_count: 0
    .wavefront_size: 32
  - .args:
      - .offset:         0
        .size:           1
        .value_kind:     by_value
      - .offset:         8
        .size:           8
        .value_kind:     by_value
      - .address_space:  global
        .offset:         16
        .size:           8
        .value_kind:     global_buffer
      - .actual_access:  read_only
        .address_space:  global
        .offset:         24
        .size:           8
        .value_kind:     global_buffer
      - .actual_access:  read_only
        .address_space:  global
        .offset:         32
        .size:           8
        .value_kind:     global_buffer
      - .offset:         40
        .size:           4
        .value_kind:     by_value
      - .offset:         48
        .size:           8
        .value_kind:     by_value
      - .actual_access:  read_only
        .address_space:  global
        .offset:         56
        .size:           8
        .value_kind:     global_buffer
      - .actual_access:  read_only
        .address_space:  global
        .offset:         64
        .size:           8
        .value_kind:     global_buffer
      - .actual_access:  read_only
        .address_space:  global
        .offset:         72
        .size:           8
        .value_kind:     global_buffer
      - .actual_access:  read_only
        .address_space:  global
        .offset:         80
        .size:           8
        .value_kind:     global_buffer
      - .offset:         88
        .size:           8
        .value_kind:     by_value
      - .address_space:  global
        .offset:         96
        .size:           8
        .value_kind:     global_buffer
      - .offset:         104
        .size:           4
        .value_kind:     by_value
      - .offset:         108
        .size:           1
        .value_kind:     by_value
    .group_segment_fixed_size: 1024
    .kernarg_segment_align: 8
    .kernarg_segment_size: 112
    .language:       OpenCL C
    .language_version:
      - 2
      - 0
    .max_flat_workgroup_size: 256
    .name:           _ZN9rocsparseL27csrmvn_lrb_long_rows_kernelIllffffEEvbT_PjPT0_S4_jNS_24const_host_device_scalarIT4_EEPKS1_PKS3_PKT1_PKT2_S7_PT3_21rocsparse_index_base_b
    .private_segment_fixed_size: 0
    .sgpr_count:     30
    .sgpr_spill_count: 0
    .symbol:         _ZN9rocsparseL27csrmvn_lrb_long_rows_kernelIllffffEEvbT_PjPT0_S4_jNS_24const_host_device_scalarIT4_EEPKS1_PKS3_PKT1_PKT2_S7_PT3_21rocsparse_index_base_b.kd
    .uniform_work_group_size: 1
    .uses_dynamic_stack: false
    .vgpr_count:     14
    .vgpr_spill_count: 0
    .wavefront_size: 32
  - .args:
      - .offset:         0
        .size:           1
        .value_kind:     by_value
      - .offset:         4
        .size:           4
        .value_kind:     by_value
      - .actual_access:  read_only
        .address_space:  global
        .offset:         8
        .size:           8
        .value_kind:     global_buffer
      - .actual_access:  read_only
        .address_space:  global
        .offset:         16
        .size:           8
        .value_kind:     global_buffer
      - .offset:         24
        .size:           4
        .value_kind:     by_value
      - .offset:         32
        .size:           8
        .value_kind:     by_value
      - .actual_access:  read_only
        .address_space:  global
        .offset:         40
        .size:           8
        .value_kind:     global_buffer
      - .actual_access:  read_only
        .address_space:  global
        .offset:         48
        .size:           8
        .value_kind:     global_buffer
      - .actual_access:  read_only
        .address_space:  global
        .offset:         56
        .size:           8
        .value_kind:     global_buffer
      - .actual_access:  read_only
        .address_space:  global
        .offset:         64
        .size:           8
        .value_kind:     global_buffer
      - .offset:         72
        .size:           8
        .value_kind:     by_value
      - .address_space:  global
        .offset:         80
        .size:           8
        .value_kind:     global_buffer
      - .offset:         88
        .size:           4
        .value_kind:     by_value
      - .offset:         92
        .size:           1
        .value_kind:     by_value
    .group_segment_fixed_size: 0
    .kernarg_segment_align: 8
    .kernarg_segment_size: 96
    .language:       OpenCL C
    .language_version:
      - 2
      - 0
    .max_flat_workgroup_size: 256
    .name:           _ZN9rocsparseL28csrmvn_lrb_short_rows_kernelIiiddddEEvbT_PT0_S3_jNS_24const_host_device_scalarIT4_EEPKS1_PKS2_PKT1_PKT2_S6_PT3_21rocsparse_index_base_b
    .private_segment_fixed_size: 0
    .sgpr_count:     23
    .sgpr_spill_count: 0
    .symbol:         _ZN9rocsparseL28csrmvn_lrb_short_rows_kernelIiiddddEEvbT_PT0_S3_jNS_24const_host_device_scalarIT4_EEPKS1_PKS2_PKT1_PKT2_S6_PT3_21rocsparse_index_base_b.kd
    .uniform_work_group_size: 1
    .uses_dynamic_stack: false
    .vgpr_count:     12
    .vgpr_spill_count: 0
    .wavefront_size: 32
  - .args:
      - .offset:         0
        .size:           1
        .value_kind:     by_value
      - .offset:         4
        .size:           4
        .value_kind:     by_value
      - .actual_access:  read_only
        .address_space:  global
        .offset:         8
        .size:           8
        .value_kind:     global_buffer
      - .actual_access:  read_only
        .address_space:  global
        .offset:         16
        .size:           8
        .value_kind:     global_buffer
      - .offset:         24
        .size:           4
        .value_kind:     by_value
      - .offset:         32
        .size:           8
        .value_kind:     by_value
      - .actual_access:  read_only
        .address_space:  global
        .offset:         40
        .size:           8
        .value_kind:     global_buffer
      - .actual_access:  read_only
        .address_space:  global
        .offset:         48
        .size:           8
        .value_kind:     global_buffer
      - .actual_access:  read_only
        .address_space:  global
        .offset:         56
        .size:           8
        .value_kind:     global_buffer
      - .actual_access:  read_only
        .address_space:  global
        .offset:         64
        .size:           8
        .value_kind:     global_buffer
      - .offset:         72
        .size:           8
        .value_kind:     by_value
      - .address_space:  global
        .offset:         80
        .size:           8
        .value_kind:     global_buffer
      - .offset:         88
        .size:           4
        .value_kind:     by_value
      - .offset:         92
        .size:           1
        .value_kind:     by_value
    .group_segment_fixed_size: 8192
    .kernarg_segment_align: 8
    .kernarg_segment_size: 96
    .language:       OpenCL C
    .language_version:
      - 2
      - 0
    .max_flat_workgroup_size: 256
    .name:           _ZN9rocsparseL30csrmvn_lrb_short_rows_2_kernelIiiddddEEvbT_PT0_S3_jNS_24const_host_device_scalarIT4_EEPKS1_PKS2_PKT1_PKT2_S6_PT3_21rocsparse_index_base_b
    .private_segment_fixed_size: 0
    .sgpr_count:     22
    .sgpr_spill_count: 0
    .symbol:         _ZN9rocsparseL30csrmvn_lrb_short_rows_2_kernelIiiddddEEvbT_PT0_S3_jNS_24const_host_device_scalarIT4_EEPKS1_PKS2_PKT1_PKT2_S6_PT3_21rocsparse_index_base_b.kd
    .uniform_work_group_size: 1
    .uses_dynamic_stack: false
    .vgpr_count:     11
    .vgpr_spill_count: 0
    .wavefront_size: 32
  - .args:
      - .offset:         0
        .size:           1
        .value_kind:     by_value
      - .offset:         4
        .size:           4
        .value_kind:     by_value
      - .offset:         8
        .size:           8
        .value_kind:     by_value
      - .actual_access:  read_only
        .address_space:  global
        .offset:         16
        .size:           8
        .value_kind:     global_buffer
      - .actual_access:  read_only
        .address_space:  global
        .offset:         24
        .size:           8
        .value_kind:     global_buffer
      - .offset:         32
        .size:           4
        .value_kind:     by_value
      - .offset:         40
        .size:           8
        .value_kind:     by_value
      - .actual_access:  read_only
        .address_space:  global
        .offset:         48
        .size:           8
        .value_kind:     global_buffer
      - .actual_access:  read_only
        .address_space:  global
        .offset:         56
        .size:           8
        .value_kind:     global_buffer
      - .actual_access:  read_only
        .address_space:  global
        .offset:         64
        .size:           8
        .value_kind:     global_buffer
      - .actual_access:  read_only
        .address_space:  global
        .offset:         72
        .size:           8
        .value_kind:     global_buffer
      - .offset:         80
        .size:           8
        .value_kind:     by_value
      - .address_space:  global
        .offset:         88
        .size:           8
        .value_kind:     global_buffer
      - .offset:         96
        .size:           4
        .value_kind:     by_value
      - .offset:         100
        .size:           1
        .value_kind:     by_value
    .group_segment_fixed_size: 0
    .kernarg_segment_align: 8
    .kernarg_segment_size: 104
    .language:       OpenCL C
    .language_version:
      - 2
      - 0
    .max_flat_workgroup_size: 256
    .name:           _ZN9rocsparseL41csrmvn_lrb_medium_rows_warp_reduce_kernelILj256ELj32EiiddddEEvbT1_lPT2_S3_jNS_24const_host_device_scalarIT6_EEPKS1_PKS2_PKT3_PKT4_S6_PT5_21rocsparse_index_base_b
    .private_segment_fixed_size: 0
    .sgpr_count:     13
    .sgpr_spill_count: 0
    .symbol:         _ZN9rocsparseL41csrmvn_lrb_medium_rows_warp_reduce_kernelILj256ELj32EiiddddEEvbT1_lPT2_S3_jNS_24const_host_device_scalarIT6_EEPKS1_PKS2_PKT3_PKT4_S6_PT5_21rocsparse_index_base_b.kd
    .uniform_work_group_size: 1
    .uses_dynamic_stack: false
    .vgpr_count:     16
    .vgpr_spill_count: 0
    .wavefront_size: 32
  - .args:
      - .offset:         0
        .size:           1
        .value_kind:     by_value
      - .offset:         4
        .size:           4
        .value_kind:     by_value
      - .offset:         8
        .size:           8
        .value_kind:     by_value
      - .actual_access:  read_only
        .address_space:  global
        .offset:         16
        .size:           8
        .value_kind:     global_buffer
      - .actual_access:  read_only
        .address_space:  global
        .offset:         24
        .size:           8
        .value_kind:     global_buffer
      - .offset:         32
        .size:           4
        .value_kind:     by_value
      - .offset:         40
        .size:           8
        .value_kind:     by_value
      - .actual_access:  read_only
        .address_space:  global
        .offset:         48
        .size:           8
        .value_kind:     global_buffer
      - .actual_access:  read_only
        .address_space:  global
        .offset:         56
        .size:           8
        .value_kind:     global_buffer
      - .actual_access:  read_only
        .address_space:  global
        .offset:         64
        .size:           8
        .value_kind:     global_buffer
      - .actual_access:  read_only
        .address_space:  global
        .offset:         72
        .size:           8
        .value_kind:     global_buffer
      - .offset:         80
        .size:           8
        .value_kind:     by_value
      - .address_space:  global
        .offset:         88
        .size:           8
        .value_kind:     global_buffer
      - .offset:         96
        .size:           4
        .value_kind:     by_value
      - .offset:         100
        .size:           1
        .value_kind:     by_value
    .group_segment_fixed_size: 0
    .kernarg_segment_align: 8
    .kernarg_segment_size: 104
    .language:       OpenCL C
    .language_version:
      - 2
      - 0
    .max_flat_workgroup_size: 256
    .name:           _ZN9rocsparseL41csrmvn_lrb_medium_rows_warp_reduce_kernelILj256ELj64EiiddddEEvbT1_lPT2_S3_jNS_24const_host_device_scalarIT6_EEPKS1_PKS2_PKT3_PKT4_S6_PT5_21rocsparse_index_base_b
    .private_segment_fixed_size: 0
    .sgpr_count:     13
    .sgpr_spill_count: 0
    .symbol:         _ZN9rocsparseL41csrmvn_lrb_medium_rows_warp_reduce_kernelILj256ELj64EiiddddEEvbT1_lPT2_S3_jNS_24const_host_device_scalarIT6_EEPKS1_PKS2_PKT3_PKT4_S6_PT5_21rocsparse_index_base_b.kd
    .uniform_work_group_size: 1
    .uses_dynamic_stack: false
    .vgpr_count:     16
    .vgpr_spill_count: 0
    .wavefront_size: 32
  - .args:
      - .offset:         0
        .size:           1
        .value_kind:     by_value
      - .offset:         4
        .size:           4
        .value_kind:     by_value
      - .actual_access:  read_only
        .address_space:  global
        .offset:         8
        .size:           8
        .value_kind:     global_buffer
      - .actual_access:  read_only
        .address_space:  global
        .offset:         16
        .size:           8
        .value_kind:     global_buffer
      - .offset:         24
        .size:           4
        .value_kind:     by_value
      - .offset:         32
        .size:           8
        .value_kind:     by_value
      - .actual_access:  read_only
        .address_space:  global
        .offset:         40
        .size:           8
        .value_kind:     global_buffer
      - .actual_access:  read_only
        .address_space:  global
        .offset:         48
        .size:           8
        .value_kind:     global_buffer
      - .actual_access:  read_only
        .address_space:  global
        .offset:         56
        .size:           8
        .value_kind:     global_buffer
      - .actual_access:  read_only
        .address_space:  global
        .offset:         64
        .size:           8
        .value_kind:     global_buffer
      - .offset:         72
        .size:           8
        .value_kind:     by_value
      - .address_space:  global
        .offset:         80
        .size:           8
        .value_kind:     global_buffer
      - .offset:         88
        .size:           4
        .value_kind:     by_value
      - .offset:         92
        .size:           1
        .value_kind:     by_value
    .group_segment_fixed_size: 2048
    .kernarg_segment_align: 8
    .kernarg_segment_size: 96
    .language:       OpenCL C
    .language_version:
      - 2
      - 0
    .max_flat_workgroup_size: 256
    .name:           _ZN9rocsparseL29csrmvn_lrb_medium_rows_kernelILj256EiiddddEEvbT0_PT1_S3_jNS_24const_host_device_scalarIT5_EEPKS1_PKS2_PKT2_PKT3_S6_PT4_21rocsparse_index_base_b
    .private_segment_fixed_size: 0
    .sgpr_count:     16
    .sgpr_spill_count: 0
    .symbol:         _ZN9rocsparseL29csrmvn_lrb_medium_rows_kernelILj256EiiddddEEvbT0_PT1_S3_jNS_24const_host_device_scalarIT5_EEPKS1_PKS2_PKT2_PKT3_S6_PT4_21rocsparse_index_base_b.kd
    .uniform_work_group_size: 1
    .uses_dynamic_stack: false
    .vgpr_count:     12
    .vgpr_spill_count: 0
    .wavefront_size: 32
  - .args:
      - .offset:         0
        .size:           1
        .value_kind:     by_value
      - .offset:         4
        .size:           4
        .value_kind:     by_value
      - .address_space:  global
        .offset:         8
        .size:           8
        .value_kind:     global_buffer
      - .actual_access:  read_only
        .address_space:  global
        .offset:         16
        .size:           8
        .value_kind:     global_buffer
      - .actual_access:  read_only
        .address_space:  global
        .offset:         24
        .size:           8
        .value_kind:     global_buffer
      - .offset:         32
        .size:           4
        .value_kind:     by_value
      - .offset:         40
        .size:           8
        .value_kind:     by_value
      - .actual_access:  read_only
        .address_space:  global
        .offset:         48
        .size:           8
        .value_kind:     global_buffer
      - .actual_access:  read_only
        .address_space:  global
        .offset:         56
        .size:           8
        .value_kind:     global_buffer
      - .actual_access:  read_only
        .address_space:  global
        .offset:         64
        .size:           8
        .value_kind:     global_buffer
      - .actual_access:  read_only
        .address_space:  global
        .offset:         72
        .size:           8
        .value_kind:     global_buffer
      - .offset:         80
        .size:           8
        .value_kind:     by_value
      - .address_space:  global
        .offset:         88
        .size:           8
        .value_kind:     global_buffer
      - .offset:         96
        .size:           4
        .value_kind:     by_value
      - .offset:         100
        .size:           1
        .value_kind:     by_value
    .group_segment_fixed_size: 2048
    .kernarg_segment_align: 8
    .kernarg_segment_size: 104
    .language:       OpenCL C
    .language_version:
      - 2
      - 0
    .max_flat_workgroup_size: 256
    .name:           _ZN9rocsparseL27csrmvn_lrb_long_rows_kernelIiiddddEEvbT_PjPT0_S4_jNS_24const_host_device_scalarIT4_EEPKS1_PKS3_PKT1_PKT2_S7_PT3_21rocsparse_index_base_b
    .private_segment_fixed_size: 0
    .sgpr_count:     24
    .sgpr_spill_count: 0
    .symbol:         _ZN9rocsparseL27csrmvn_lrb_long_rows_kernelIiiddddEEvbT_PjPT0_S4_jNS_24const_host_device_scalarIT4_EEPKS1_PKS3_PKT1_PKT2_S7_PT3_21rocsparse_index_base_b.kd
    .uniform_work_group_size: 1
    .uses_dynamic_stack: false
    .vgpr_count:     10
    .vgpr_spill_count: 0
    .wavefront_size: 32
  - .args:
      - .offset:         0
        .size:           1
        .value_kind:     by_value
      - .offset:         8
        .size:           8
        .value_kind:     by_value
      - .actual_access:  read_only
        .address_space:  global
        .offset:         16
        .size:           8
        .value_kind:     global_buffer
      - .actual_access:  read_only
        .address_space:  global
        .offset:         24
        .size:           8
        .value_kind:     global_buffer
      - .offset:         32
        .size:           4
        .value_kind:     by_value
      - .offset:         40
        .size:           8
        .value_kind:     by_value
      - .actual_access:  read_only
        .address_space:  global
        .offset:         48
        .size:           8
        .value_kind:     global_buffer
      - .actual_access:  read_only
        .address_space:  global
        .offset:         56
        .size:           8
        .value_kind:     global_buffer
      - .actual_access:  read_only
        .address_space:  global
        .offset:         64
        .size:           8
        .value_kind:     global_buffer
      - .actual_access:  read_only
        .address_space:  global
        .offset:         72
        .size:           8
        .value_kind:     global_buffer
      - .offset:         80
        .size:           8
        .value_kind:     by_value
      - .address_space:  global
        .offset:         88
        .size:           8
        .value_kind:     global_buffer
      - .offset:         96
        .size:           4
        .value_kind:     by_value
      - .offset:         100
        .size:           1
        .value_kind:     by_value
    .group_segment_fixed_size: 0
    .kernarg_segment_align: 8
    .kernarg_segment_size: 104
    .language:       OpenCL C
    .language_version:
      - 2
      - 0
    .max_flat_workgroup_size: 256
    .name:           _ZN9rocsparseL28csrmvn_lrb_short_rows_kernelIliddddEEvbT_PT0_S3_jNS_24const_host_device_scalarIT4_EEPKS1_PKS2_PKT1_PKT2_S6_PT3_21rocsparse_index_base_b
    .private_segment_fixed_size: 0
    .sgpr_count:     24
    .sgpr_spill_count: 0
    .symbol:         _ZN9rocsparseL28csrmvn_lrb_short_rows_kernelIliddddEEvbT_PT0_S3_jNS_24const_host_device_scalarIT4_EEPKS1_PKS2_PKT1_PKT2_S6_PT3_21rocsparse_index_base_b.kd
    .uniform_work_group_size: 1
    .uses_dynamic_stack: false
    .vgpr_count:     12
    .vgpr_spill_count: 0
    .wavefront_size: 32
  - .args:
      - .offset:         0
        .size:           1
        .value_kind:     by_value
      - .offset:         8
        .size:           8
        .value_kind:     by_value
      - .actual_access:  read_only
        .address_space:  global
        .offset:         16
        .size:           8
        .value_kind:     global_buffer
      - .actual_access:  read_only
        .address_space:  global
        .offset:         24
        .size:           8
        .value_kind:     global_buffer
      - .offset:         32
        .size:           4
        .value_kind:     by_value
      - .offset:         40
        .size:           8
        .value_kind:     by_value
      - .actual_access:  read_only
        .address_space:  global
        .offset:         48
        .size:           8
        .value_kind:     global_buffer
      - .actual_access:  read_only
        .address_space:  global
        .offset:         56
        .size:           8
        .value_kind:     global_buffer
      - .actual_access:  read_only
        .address_space:  global
        .offset:         64
        .size:           8
        .value_kind:     global_buffer
      - .actual_access:  read_only
        .address_space:  global
        .offset:         72
        .size:           8
        .value_kind:     global_buffer
      - .offset:         80
        .size:           8
        .value_kind:     by_value
      - .address_space:  global
        .offset:         88
        .size:           8
        .value_kind:     global_buffer
      - .offset:         96
        .size:           4
        .value_kind:     by_value
      - .offset:         100
        .size:           1
        .value_kind:     by_value
    .group_segment_fixed_size: 8192
    .kernarg_segment_align: 8
    .kernarg_segment_size: 104
    .language:       OpenCL C
    .language_version:
      - 2
      - 0
    .max_flat_workgroup_size: 256
    .name:           _ZN9rocsparseL30csrmvn_lrb_short_rows_2_kernelIliddddEEvbT_PT0_S3_jNS_24const_host_device_scalarIT4_EEPKS1_PKS2_PKT1_PKT2_S6_PT3_21rocsparse_index_base_b
    .private_segment_fixed_size: 0
    .sgpr_count:     23
    .sgpr_spill_count: 0
    .symbol:         _ZN9rocsparseL30csrmvn_lrb_short_rows_2_kernelIliddddEEvbT_PT0_S3_jNS_24const_host_device_scalarIT4_EEPKS1_PKS2_PKT1_PKT2_S6_PT3_21rocsparse_index_base_b.kd
    .uniform_work_group_size: 1
    .uses_dynamic_stack: false
    .vgpr_count:     12
    .vgpr_spill_count: 0
    .wavefront_size: 32
  - .args:
      - .offset:         0
        .size:           1
        .value_kind:     by_value
      - .offset:         8
        .size:           8
        .value_kind:     by_value
      - .offset:         16
        .size:           8
        .value_kind:     by_value
      - .actual_access:  read_only
        .address_space:  global
        .offset:         24
        .size:           8
        .value_kind:     global_buffer
      - .actual_access:  read_only
        .address_space:  global
        .offset:         32
        .size:           8
        .value_kind:     global_buffer
      - .offset:         40
        .size:           4
        .value_kind:     by_value
      - .offset:         48
        .size:           8
        .value_kind:     by_value
      - .actual_access:  read_only
        .address_space:  global
        .offset:         56
        .size:           8
        .value_kind:     global_buffer
      - .actual_access:  read_only
        .address_space:  global
        .offset:         64
        .size:           8
        .value_kind:     global_buffer
      - .actual_access:  read_only
        .address_space:  global
        .offset:         72
        .size:           8
        .value_kind:     global_buffer
      - .actual_access:  read_only
        .address_space:  global
        .offset:         80
        .size:           8
        .value_kind:     global_buffer
      - .offset:         88
        .size:           8
        .value_kind:     by_value
      - .address_space:  global
        .offset:         96
        .size:           8
        .value_kind:     global_buffer
      - .offset:         104
        .size:           4
        .value_kind:     by_value
      - .offset:         108
        .size:           1
        .value_kind:     by_value
    .group_segment_fixed_size: 0
    .kernarg_segment_align: 8
    .kernarg_segment_size: 112
    .language:       OpenCL C
    .language_version:
      - 2
      - 0
    .max_flat_workgroup_size: 256
    .name:           _ZN9rocsparseL41csrmvn_lrb_medium_rows_warp_reduce_kernelILj256ELj32EliddddEEvbT1_lPT2_S3_jNS_24const_host_device_scalarIT6_EEPKS1_PKS2_PKT3_PKT4_S6_PT5_21rocsparse_index_base_b
    .private_segment_fixed_size: 0
    .sgpr_count:     14
    .sgpr_spill_count: 0
    .symbol:         _ZN9rocsparseL41csrmvn_lrb_medium_rows_warp_reduce_kernelILj256ELj32EliddddEEvbT1_lPT2_S3_jNS_24const_host_device_scalarIT6_EEPKS1_PKS2_PKT3_PKT4_S6_PT5_21rocsparse_index_base_b.kd
    .uniform_work_group_size: 1
    .uses_dynamic_stack: false
    .vgpr_count:     22
    .vgpr_spill_count: 0
    .wavefront_size: 32
  - .args:
      - .offset:         0
        .size:           1
        .value_kind:     by_value
      - .offset:         8
        .size:           8
        .value_kind:     by_value
      - .offset:         16
        .size:           8
        .value_kind:     by_value
      - .actual_access:  read_only
        .address_space:  global
        .offset:         24
        .size:           8
        .value_kind:     global_buffer
      - .actual_access:  read_only
        .address_space:  global
        .offset:         32
        .size:           8
        .value_kind:     global_buffer
      - .offset:         40
        .size:           4
        .value_kind:     by_value
      - .offset:         48
        .size:           8
        .value_kind:     by_value
      - .actual_access:  read_only
        .address_space:  global
        .offset:         56
        .size:           8
        .value_kind:     global_buffer
      - .actual_access:  read_only
        .address_space:  global
        .offset:         64
        .size:           8
        .value_kind:     global_buffer
      - .actual_access:  read_only
        .address_space:  global
        .offset:         72
        .size:           8
        .value_kind:     global_buffer
      - .actual_access:  read_only
        .address_space:  global
        .offset:         80
        .size:           8
        .value_kind:     global_buffer
      - .offset:         88
        .size:           8
        .value_kind:     by_value
      - .address_space:  global
        .offset:         96
        .size:           8
        .value_kind:     global_buffer
      - .offset:         104
        .size:           4
        .value_kind:     by_value
      - .offset:         108
        .size:           1
        .value_kind:     by_value
    .group_segment_fixed_size: 0
    .kernarg_segment_align: 8
    .kernarg_segment_size: 112
    .language:       OpenCL C
    .language_version:
      - 2
      - 0
    .max_flat_workgroup_size: 256
    .name:           _ZN9rocsparseL41csrmvn_lrb_medium_rows_warp_reduce_kernelILj256ELj64EliddddEEvbT1_lPT2_S3_jNS_24const_host_device_scalarIT6_EEPKS1_PKS2_PKT3_PKT4_S6_PT5_21rocsparse_index_base_b
    .private_segment_fixed_size: 0
    .sgpr_count:     14
    .sgpr_spill_count: 0
    .symbol:         _ZN9rocsparseL41csrmvn_lrb_medium_rows_warp_reduce_kernelILj256ELj64EliddddEEvbT1_lPT2_S3_jNS_24const_host_device_scalarIT6_EEPKS1_PKS2_PKT3_PKT4_S6_PT5_21rocsparse_index_base_b.kd
    .uniform_work_group_size: 1
    .uses_dynamic_stack: false
    .vgpr_count:     22
    .vgpr_spill_count: 0
    .wavefront_size: 32
  - .args:
      - .offset:         0
        .size:           1
        .value_kind:     by_value
      - .offset:         8
        .size:           8
        .value_kind:     by_value
      - .actual_access:  read_only
        .address_space:  global
        .offset:         16
        .size:           8
        .value_kind:     global_buffer
      - .actual_access:  read_only
        .address_space:  global
        .offset:         24
        .size:           8
        .value_kind:     global_buffer
      - .offset:         32
        .size:           4
        .value_kind:     by_value
      - .offset:         40
        .size:           8
        .value_kind:     by_value
      - .actual_access:  read_only
        .address_space:  global
        .offset:         48
        .size:           8
        .value_kind:     global_buffer
      - .actual_access:  read_only
        .address_space:  global
        .offset:         56
        .size:           8
        .value_kind:     global_buffer
      - .actual_access:  read_only
        .address_space:  global
        .offset:         64
        .size:           8
        .value_kind:     global_buffer
      - .actual_access:  read_only
        .address_space:  global
        .offset:         72
        .size:           8
        .value_kind:     global_buffer
      - .offset:         80
        .size:           8
        .value_kind:     by_value
      - .address_space:  global
        .offset:         88
        .size:           8
        .value_kind:     global_buffer
      - .offset:         96
        .size:           4
        .value_kind:     by_value
      - .offset:         100
        .size:           1
        .value_kind:     by_value
    .group_segment_fixed_size: 2048
    .kernarg_segment_align: 8
    .kernarg_segment_size: 104
    .language:       OpenCL C
    .language_version:
      - 2
      - 0
    .max_flat_workgroup_size: 256
    .name:           _ZN9rocsparseL29csrmvn_lrb_medium_rows_kernelILj256EliddddEEvbT0_PT1_S3_jNS_24const_host_device_scalarIT5_EEPKS1_PKS2_PKT2_PKT3_S6_PT4_21rocsparse_index_base_b
    .private_segment_fixed_size: 0
    .sgpr_count:     18
    .sgpr_spill_count: 0
    .symbol:         _ZN9rocsparseL29csrmvn_lrb_medium_rows_kernelILj256EliddddEEvbT0_PT1_S3_jNS_24const_host_device_scalarIT5_EEPKS1_PKS2_PKT2_PKT3_S6_PT4_21rocsparse_index_base_b.kd
    .uniform_work_group_size: 1
    .uses_dynamic_stack: false
    .vgpr_count:     18
    .vgpr_spill_count: 0
    .wavefront_size: 32
  - .args:
      - .offset:         0
        .size:           1
        .value_kind:     by_value
      - .offset:         8
        .size:           8
        .value_kind:     by_value
      - .address_space:  global
        .offset:         16
        .size:           8
        .value_kind:     global_buffer
      - .actual_access:  read_only
        .address_space:  global
        .offset:         24
        .size:           8
        .value_kind:     global_buffer
      - .actual_access:  read_only
        .address_space:  global
        .offset:         32
        .size:           8
        .value_kind:     global_buffer
      - .offset:         40
        .size:           4
        .value_kind:     by_value
      - .offset:         48
        .size:           8
        .value_kind:     by_value
      - .actual_access:  read_only
        .address_space:  global
        .offset:         56
        .size:           8
        .value_kind:     global_buffer
      - .actual_access:  read_only
        .address_space:  global
        .offset:         64
        .size:           8
        .value_kind:     global_buffer
      - .actual_access:  read_only
        .address_space:  global
        .offset:         72
        .size:           8
        .value_kind:     global_buffer
      - .actual_access:  read_only
        .address_space:  global
        .offset:         80
        .size:           8
        .value_kind:     global_buffer
      - .offset:         88
        .size:           8
        .value_kind:     by_value
      - .address_space:  global
        .offset:         96
        .size:           8
        .value_kind:     global_buffer
      - .offset:         104
        .size:           4
        .value_kind:     by_value
      - .offset:         108
        .size:           1
        .value_kind:     by_value
    .group_segment_fixed_size: 2048
    .kernarg_segment_align: 8
    .kernarg_segment_size: 112
    .language:       OpenCL C
    .language_version:
      - 2
      - 0
    .max_flat_workgroup_size: 256
    .name:           _ZN9rocsparseL27csrmvn_lrb_long_rows_kernelIliddddEEvbT_PjPT0_S4_jNS_24const_host_device_scalarIT4_EEPKS1_PKS3_PKT1_PKT2_S7_PT3_21rocsparse_index_base_b
    .private_segment_fixed_size: 0
    .sgpr_count:     30
    .sgpr_spill_count: 0
    .symbol:         _ZN9rocsparseL27csrmvn_lrb_long_rows_kernelIliddddEEvbT_PjPT0_S4_jNS_24const_host_device_scalarIT4_EEPKS1_PKS3_PKT1_PKT2_S7_PT3_21rocsparse_index_base_b.kd
    .uniform_work_group_size: 1
    .uses_dynamic_stack: false
    .vgpr_count:     18
    .vgpr_spill_count: 0
    .wavefront_size: 32
  - .args:
      - .offset:         0
        .size:           1
        .value_kind:     by_value
      - .offset:         8
        .size:           8
        .value_kind:     by_value
      - .actual_access:  read_only
        .address_space:  global
        .offset:         16
        .size:           8
        .value_kind:     global_buffer
      - .actual_access:  read_only
        .address_space:  global
        .offset:         24
        .size:           8
        .value_kind:     global_buffer
      - .offset:         32
        .size:           4
        .value_kind:     by_value
      - .offset:         40
        .size:           8
        .value_kind:     by_value
      - .actual_access:  read_only
        .address_space:  global
        .offset:         48
        .size:           8
        .value_kind:     global_buffer
      - .actual_access:  read_only
        .address_space:  global
        .offset:         56
        .size:           8
        .value_kind:     global_buffer
      - .actual_access:  read_only
        .address_space:  global
        .offset:         64
        .size:           8
        .value_kind:     global_buffer
      - .actual_access:  read_only
        .address_space:  global
        .offset:         72
        .size:           8
        .value_kind:     global_buffer
      - .offset:         80
        .size:           8
        .value_kind:     by_value
      - .address_space:  global
        .offset:         88
        .size:           8
        .value_kind:     global_buffer
      - .offset:         96
        .size:           4
        .value_kind:     by_value
      - .offset:         100
        .size:           1
        .value_kind:     by_value
    .group_segment_fixed_size: 0
    .kernarg_segment_align: 8
    .kernarg_segment_size: 104
    .language:       OpenCL C
    .language_version:
      - 2
      - 0
    .max_flat_workgroup_size: 256
    .name:           _ZN9rocsparseL28csrmvn_lrb_short_rows_kernelIllddddEEvbT_PT0_S3_jNS_24const_host_device_scalarIT4_EEPKS1_PKS2_PKT1_PKT2_S6_PT3_21rocsparse_index_base_b
    .private_segment_fixed_size: 0
    .sgpr_count:     27
    .sgpr_spill_count: 0
    .symbol:         _ZN9rocsparseL28csrmvn_lrb_short_rows_kernelIllddddEEvbT_PT0_S3_jNS_24const_host_device_scalarIT4_EEPKS1_PKS2_PKT1_PKT2_S6_PT3_21rocsparse_index_base_b.kd
    .uniform_work_group_size: 1
    .uses_dynamic_stack: false
    .vgpr_count:     12
    .vgpr_spill_count: 0
    .wavefront_size: 32
  - .args:
      - .offset:         0
        .size:           1
        .value_kind:     by_value
      - .offset:         8
        .size:           8
        .value_kind:     by_value
      - .actual_access:  read_only
        .address_space:  global
        .offset:         16
        .size:           8
        .value_kind:     global_buffer
      - .actual_access:  read_only
        .address_space:  global
        .offset:         24
        .size:           8
        .value_kind:     global_buffer
      - .offset:         32
        .size:           4
        .value_kind:     by_value
      - .offset:         40
        .size:           8
        .value_kind:     by_value
      - .actual_access:  read_only
        .address_space:  global
        .offset:         48
        .size:           8
        .value_kind:     global_buffer
      - .actual_access:  read_only
        .address_space:  global
        .offset:         56
        .size:           8
        .value_kind:     global_buffer
      - .actual_access:  read_only
        .address_space:  global
        .offset:         64
        .size:           8
        .value_kind:     global_buffer
      - .actual_access:  read_only
        .address_space:  global
        .offset:         72
        .size:           8
        .value_kind:     global_buffer
      - .offset:         80
        .size:           8
        .value_kind:     by_value
      - .address_space:  global
        .offset:         88
        .size:           8
        .value_kind:     global_buffer
      - .offset:         96
        .size:           4
        .value_kind:     by_value
      - .offset:         100
        .size:           1
        .value_kind:     by_value
    .group_segment_fixed_size: 8192
    .kernarg_segment_align: 8
    .kernarg_segment_size: 104
    .language:       OpenCL C
    .language_version:
      - 2
      - 0
    .max_flat_workgroup_size: 256
    .name:           _ZN9rocsparseL30csrmvn_lrb_short_rows_2_kernelIllddddEEvbT_PT0_S3_jNS_24const_host_device_scalarIT4_EEPKS1_PKS2_PKT1_PKT2_S6_PT3_21rocsparse_index_base_b
    .private_segment_fixed_size: 0
    .sgpr_count:     30
    .sgpr_spill_count: 0
    .symbol:         _ZN9rocsparseL30csrmvn_lrb_short_rows_2_kernelIllddddEEvbT_PT0_S3_jNS_24const_host_device_scalarIT4_EEPKS1_PKS2_PKT1_PKT2_S6_PT3_21rocsparse_index_base_b.kd
    .uniform_work_group_size: 1
    .uses_dynamic_stack: false
    .vgpr_count:     12
    .vgpr_spill_count: 0
    .wavefront_size: 32
  - .args:
      - .offset:         0
        .size:           1
        .value_kind:     by_value
      - .offset:         8
        .size:           8
        .value_kind:     by_value
      - .offset:         16
        .size:           8
        .value_kind:     by_value
      - .actual_access:  read_only
        .address_space:  global
        .offset:         24
        .size:           8
        .value_kind:     global_buffer
      - .actual_access:  read_only
        .address_space:  global
        .offset:         32
        .size:           8
        .value_kind:     global_buffer
      - .offset:         40
        .size:           4
        .value_kind:     by_value
      - .offset:         48
        .size:           8
        .value_kind:     by_value
      - .actual_access:  read_only
        .address_space:  global
        .offset:         56
        .size:           8
        .value_kind:     global_buffer
      - .actual_access:  read_only
        .address_space:  global
        .offset:         64
        .size:           8
        .value_kind:     global_buffer
      - .actual_access:  read_only
        .address_space:  global
        .offset:         72
        .size:           8
        .value_kind:     global_buffer
      - .actual_access:  read_only
        .address_space:  global
        .offset:         80
        .size:           8
        .value_kind:     global_buffer
      - .offset:         88
        .size:           8
        .value_kind:     by_value
      - .address_space:  global
        .offset:         96
        .size:           8
        .value_kind:     global_buffer
      - .offset:         104
        .size:           4
        .value_kind:     by_value
      - .offset:         108
        .size:           1
        .value_kind:     by_value
    .group_segment_fixed_size: 0
    .kernarg_segment_align: 8
    .kernarg_segment_size: 112
    .language:       OpenCL C
    .language_version:
      - 2
      - 0
    .max_flat_workgroup_size: 256
    .name:           _ZN9rocsparseL41csrmvn_lrb_medium_rows_warp_reduce_kernelILj256ELj32EllddddEEvbT1_lPT2_S3_jNS_24const_host_device_scalarIT6_EEPKS1_PKS2_PKT3_PKT4_S6_PT5_21rocsparse_index_base_b
    .private_segment_fixed_size: 0
    .sgpr_count:     14
    .sgpr_spill_count: 0
    .symbol:         _ZN9rocsparseL41csrmvn_lrb_medium_rows_warp_reduce_kernelILj256ELj32EllddddEEvbT1_lPT2_S3_jNS_24const_host_device_scalarIT6_EEPKS1_PKS2_PKT3_PKT4_S6_PT5_21rocsparse_index_base_b.kd
    .uniform_work_group_size: 1
    .uses_dynamic_stack: false
    .vgpr_count:     22
    .vgpr_spill_count: 0
    .wavefront_size: 32
  - .args:
      - .offset:         0
        .size:           1
        .value_kind:     by_value
      - .offset:         8
        .size:           8
        .value_kind:     by_value
      - .offset:         16
        .size:           8
        .value_kind:     by_value
      - .actual_access:  read_only
        .address_space:  global
        .offset:         24
        .size:           8
        .value_kind:     global_buffer
      - .actual_access:  read_only
        .address_space:  global
        .offset:         32
        .size:           8
        .value_kind:     global_buffer
      - .offset:         40
        .size:           4
        .value_kind:     by_value
      - .offset:         48
        .size:           8
        .value_kind:     by_value
      - .actual_access:  read_only
        .address_space:  global
        .offset:         56
        .size:           8
        .value_kind:     global_buffer
      - .actual_access:  read_only
        .address_space:  global
        .offset:         64
        .size:           8
        .value_kind:     global_buffer
      - .actual_access:  read_only
        .address_space:  global
        .offset:         72
        .size:           8
        .value_kind:     global_buffer
      - .actual_access:  read_only
        .address_space:  global
        .offset:         80
        .size:           8
        .value_kind:     global_buffer
      - .offset:         88
        .size:           8
        .value_kind:     by_value
      - .address_space:  global
        .offset:         96
        .size:           8
        .value_kind:     global_buffer
      - .offset:         104
        .size:           4
        .value_kind:     by_value
      - .offset:         108
        .size:           1
        .value_kind:     by_value
    .group_segment_fixed_size: 0
    .kernarg_segment_align: 8
    .kernarg_segment_size: 112
    .language:       OpenCL C
    .language_version:
      - 2
      - 0
    .max_flat_workgroup_size: 256
    .name:           _ZN9rocsparseL41csrmvn_lrb_medium_rows_warp_reduce_kernelILj256ELj64EllddddEEvbT1_lPT2_S3_jNS_24const_host_device_scalarIT6_EEPKS1_PKS2_PKT3_PKT4_S6_PT5_21rocsparse_index_base_b
    .private_segment_fixed_size: 0
    .sgpr_count:     14
    .sgpr_spill_count: 0
    .symbol:         _ZN9rocsparseL41csrmvn_lrb_medium_rows_warp_reduce_kernelILj256ELj64EllddddEEvbT1_lPT2_S3_jNS_24const_host_device_scalarIT6_EEPKS1_PKS2_PKT3_PKT4_S6_PT5_21rocsparse_index_base_b.kd
    .uniform_work_group_size: 1
    .uses_dynamic_stack: false
    .vgpr_count:     22
    .vgpr_spill_count: 0
    .wavefront_size: 32
  - .args:
      - .offset:         0
        .size:           1
        .value_kind:     by_value
      - .offset:         8
        .size:           8
        .value_kind:     by_value
      - .actual_access:  read_only
        .address_space:  global
        .offset:         16
        .size:           8
        .value_kind:     global_buffer
      - .actual_access:  read_only
        .address_space:  global
        .offset:         24
        .size:           8
        .value_kind:     global_buffer
      - .offset:         32
        .size:           4
        .value_kind:     by_value
      - .offset:         40
        .size:           8
        .value_kind:     by_value
      - .actual_access:  read_only
        .address_space:  global
        .offset:         48
        .size:           8
        .value_kind:     global_buffer
      - .actual_access:  read_only
        .address_space:  global
        .offset:         56
        .size:           8
        .value_kind:     global_buffer
      - .actual_access:  read_only
        .address_space:  global
        .offset:         64
        .size:           8
        .value_kind:     global_buffer
      - .actual_access:  read_only
        .address_space:  global
        .offset:         72
        .size:           8
        .value_kind:     global_buffer
      - .offset:         80
        .size:           8
        .value_kind:     by_value
      - .address_space:  global
        .offset:         88
        .size:           8
        .value_kind:     global_buffer
      - .offset:         96
        .size:           4
        .value_kind:     by_value
      - .offset:         100
        .size:           1
        .value_kind:     by_value
    .group_segment_fixed_size: 2048
    .kernarg_segment_align: 8
    .kernarg_segment_size: 104
    .language:       OpenCL C
    .language_version:
      - 2
      - 0
    .max_flat_workgroup_size: 256
    .name:           _ZN9rocsparseL29csrmvn_lrb_medium_rows_kernelILj256EllddddEEvbT0_PT1_S3_jNS_24const_host_device_scalarIT5_EEPKS1_PKS2_PKT2_PKT3_S6_PT4_21rocsparse_index_base_b
    .private_segment_fixed_size: 0
    .sgpr_count:     18
    .sgpr_spill_count: 0
    .symbol:         _ZN9rocsparseL29csrmvn_lrb_medium_rows_kernelILj256EllddddEEvbT0_PT1_S3_jNS_24const_host_device_scalarIT5_EEPKS1_PKS2_PKT2_PKT3_S6_PT4_21rocsparse_index_base_b.kd
    .uniform_work_group_size: 1
    .uses_dynamic_stack: false
    .vgpr_count:     18
    .vgpr_spill_count: 0
    .wavefront_size: 32
  - .args:
      - .offset:         0
        .size:           1
        .value_kind:     by_value
      - .offset:         8
        .size:           8
        .value_kind:     by_value
      - .address_space:  global
        .offset:         16
        .size:           8
        .value_kind:     global_buffer
      - .actual_access:  read_only
        .address_space:  global
        .offset:         24
        .size:           8
        .value_kind:     global_buffer
      - .actual_access:  read_only
        .address_space:  global
        .offset:         32
        .size:           8
        .value_kind:     global_buffer
      - .offset:         40
        .size:           4
        .value_kind:     by_value
      - .offset:         48
        .size:           8
        .value_kind:     by_value
      - .actual_access:  read_only
        .address_space:  global
        .offset:         56
        .size:           8
        .value_kind:     global_buffer
      - .actual_access:  read_only
        .address_space:  global
        .offset:         64
        .size:           8
        .value_kind:     global_buffer
      - .actual_access:  read_only
        .address_space:  global
        .offset:         72
        .size:           8
        .value_kind:     global_buffer
      - .actual_access:  read_only
        .address_space:  global
        .offset:         80
        .size:           8
        .value_kind:     global_buffer
      - .offset:         88
        .size:           8
        .value_kind:     by_value
      - .address_space:  global
        .offset:         96
        .size:           8
        .value_kind:     global_buffer
      - .offset:         104
        .size:           4
        .value_kind:     by_value
      - .offset:         108
        .size:           1
        .value_kind:     by_value
    .group_segment_fixed_size: 2048
    .kernarg_segment_align: 8
    .kernarg_segment_size: 112
    .language:       OpenCL C
    .language_version:
      - 2
      - 0
    .max_flat_workgroup_size: 256
    .name:           _ZN9rocsparseL27csrmvn_lrb_long_rows_kernelIllddddEEvbT_PjPT0_S4_jNS_24const_host_device_scalarIT4_EEPKS1_PKS3_PKT1_PKT2_S7_PT3_21rocsparse_index_base_b
    .private_segment_fixed_size: 0
    .sgpr_count:     30
    .sgpr_spill_count: 0
    .symbol:         _ZN9rocsparseL27csrmvn_lrb_long_rows_kernelIllddddEEvbT_PjPT0_S4_jNS_24const_host_device_scalarIT4_EEPKS1_PKS3_PKT1_PKT2_S7_PT3_21rocsparse_index_base_b.kd
    .uniform_work_group_size: 1
    .uses_dynamic_stack: false
    .vgpr_count:     18
    .vgpr_spill_count: 0
    .wavefront_size: 32
  - .args:
      - .offset:         0
        .size:           1
        .value_kind:     by_value
      - .offset:         4
        .size:           4
        .value_kind:     by_value
      - .actual_access:  read_only
        .address_space:  global
        .offset:         8
        .size:           8
        .value_kind:     global_buffer
      - .actual_access:  read_only
        .address_space:  global
        .offset:         16
        .size:           8
        .value_kind:     global_buffer
      - .offset:         24
        .size:           4
        .value_kind:     by_value
      - .offset:         32
        .size:           8
        .value_kind:     by_value
      - .actual_access:  read_only
        .address_space:  global
        .offset:         40
        .size:           8
        .value_kind:     global_buffer
      - .actual_access:  read_only
        .address_space:  global
        .offset:         48
        .size:           8
        .value_kind:     global_buffer
      - .actual_access:  read_only
        .address_space:  global
        .offset:         56
        .size:           8
        .value_kind:     global_buffer
      - .actual_access:  read_only
        .address_space:  global
        .offset:         64
        .size:           8
        .value_kind:     global_buffer
      - .offset:         72
        .size:           8
        .value_kind:     by_value
      - .address_space:  global
        .offset:         80
        .size:           8
        .value_kind:     global_buffer
      - .offset:         88
        .size:           4
        .value_kind:     by_value
      - .offset:         92
        .size:           1
        .value_kind:     by_value
    .group_segment_fixed_size: 0
    .kernarg_segment_align: 8
    .kernarg_segment_size: 96
    .language:       OpenCL C
    .language_version:
      - 2
      - 0
    .max_flat_workgroup_size: 256
    .name:           _ZN9rocsparseL28csrmvn_lrb_short_rows_kernelIii21rocsparse_complex_numIfES2_S2_S2_EEvbT_PT0_S5_jNS_24const_host_device_scalarIT4_EEPKS3_PKS4_PKT1_PKT2_S8_PT3_21rocsparse_index_base_b
    .private_segment_fixed_size: 0
    .sgpr_count:     25
    .sgpr_spill_count: 0
    .symbol:         _ZN9rocsparseL28csrmvn_lrb_short_rows_kernelIii21rocsparse_complex_numIfES2_S2_S2_EEvbT_PT0_S5_jNS_24const_host_device_scalarIT4_EEPKS3_PKS4_PKT1_PKT2_S8_PT3_21rocsparse_index_base_b.kd
    .uniform_work_group_size: 1
    .uses_dynamic_stack: false
    .vgpr_count:     18
    .vgpr_spill_count: 0
    .wavefront_size: 32
  - .args:
      - .offset:         0
        .size:           1
        .value_kind:     by_value
      - .offset:         4
        .size:           4
        .value_kind:     by_value
      - .actual_access:  read_only
        .address_space:  global
        .offset:         8
        .size:           8
        .value_kind:     global_buffer
      - .actual_access:  read_only
        .address_space:  global
        .offset:         16
        .size:           8
        .value_kind:     global_buffer
      - .offset:         24
        .size:           4
        .value_kind:     by_value
      - .offset:         32
        .size:           8
        .value_kind:     by_value
      - .actual_access:  read_only
        .address_space:  global
        .offset:         40
        .size:           8
        .value_kind:     global_buffer
      - .actual_access:  read_only
        .address_space:  global
        .offset:         48
        .size:           8
        .value_kind:     global_buffer
      - .actual_access:  read_only
        .address_space:  global
        .offset:         56
        .size:           8
        .value_kind:     global_buffer
      - .actual_access:  read_only
        .address_space:  global
        .offset:         64
        .size:           8
        .value_kind:     global_buffer
      - .offset:         72
        .size:           8
        .value_kind:     by_value
      - .address_space:  global
        .offset:         80
        .size:           8
        .value_kind:     global_buffer
      - .offset:         88
        .size:           4
        .value_kind:     by_value
      - .offset:         92
        .size:           1
        .value_kind:     by_value
    .group_segment_fixed_size: 8192
    .kernarg_segment_align: 8
    .kernarg_segment_size: 96
    .language:       OpenCL C
    .language_version:
      - 2
      - 0
    .max_flat_workgroup_size: 256
    .name:           _ZN9rocsparseL30csrmvn_lrb_short_rows_2_kernelIii21rocsparse_complex_numIfES2_S2_S2_EEvbT_PT0_S5_jNS_24const_host_device_scalarIT4_EEPKS3_PKS4_PKT1_PKT2_S8_PT3_21rocsparse_index_base_b
    .private_segment_fixed_size: 0
    .sgpr_count:     24
    .sgpr_spill_count: 0
    .symbol:         _ZN9rocsparseL30csrmvn_lrb_short_rows_2_kernelIii21rocsparse_complex_numIfES2_S2_S2_EEvbT_PT0_S5_jNS_24const_host_device_scalarIT4_EEPKS3_PKS4_PKT1_PKT2_S8_PT3_21rocsparse_index_base_b.kd
    .uniform_work_group_size: 1
    .uses_dynamic_stack: false
    .vgpr_count:     16
    .vgpr_spill_count: 0
    .wavefront_size: 32
  - .args:
      - .offset:         0
        .size:           1
        .value_kind:     by_value
      - .offset:         4
        .size:           4
        .value_kind:     by_value
      - .offset:         8
        .size:           8
        .value_kind:     by_value
      - .actual_access:  read_only
        .address_space:  global
        .offset:         16
        .size:           8
        .value_kind:     global_buffer
      - .actual_access:  read_only
        .address_space:  global
        .offset:         24
        .size:           8
        .value_kind:     global_buffer
      - .offset:         32
        .size:           4
        .value_kind:     by_value
      - .offset:         40
        .size:           8
        .value_kind:     by_value
      - .actual_access:  read_only
        .address_space:  global
        .offset:         48
        .size:           8
        .value_kind:     global_buffer
      - .actual_access:  read_only
        .address_space:  global
        .offset:         56
        .size:           8
        .value_kind:     global_buffer
      - .actual_access:  read_only
        .address_space:  global
        .offset:         64
        .size:           8
        .value_kind:     global_buffer
      - .actual_access:  read_only
        .address_space:  global
        .offset:         72
        .size:           8
        .value_kind:     global_buffer
      - .offset:         80
        .size:           8
        .value_kind:     by_value
      - .address_space:  global
        .offset:         88
        .size:           8
        .value_kind:     global_buffer
      - .offset:         96
        .size:           4
        .value_kind:     by_value
      - .offset:         100
        .size:           1
        .value_kind:     by_value
    .group_segment_fixed_size: 0
    .kernarg_segment_align: 8
    .kernarg_segment_size: 104
    .language:       OpenCL C
    .language_version:
      - 2
      - 0
    .max_flat_workgroup_size: 256
    .name:           _ZN9rocsparseL41csrmvn_lrb_medium_rows_warp_reduce_kernelILj256ELj32Eii21rocsparse_complex_numIfES2_S2_S2_EEvbT1_lPT2_S5_jNS_24const_host_device_scalarIT6_EEPKS3_PKS4_PKT3_PKT4_S8_PT5_21rocsparse_index_base_b
    .private_segment_fixed_size: 0
    .sgpr_count:     15
    .sgpr_spill_count: 0
    .symbol:         _ZN9rocsparseL41csrmvn_lrb_medium_rows_warp_reduce_kernelILj256ELj32Eii21rocsparse_complex_numIfES2_S2_S2_EEvbT1_lPT2_S5_jNS_24const_host_device_scalarIT6_EEPKS3_PKS4_PKT3_PKT4_S8_PT5_21rocsparse_index_base_b.kd
    .uniform_work_group_size: 1
    .uses_dynamic_stack: false
    .vgpr_count:     20
    .vgpr_spill_count: 0
    .wavefront_size: 32
  - .args:
      - .offset:         0
        .size:           1
        .value_kind:     by_value
      - .offset:         4
        .size:           4
        .value_kind:     by_value
      - .offset:         8
        .size:           8
        .value_kind:     by_value
      - .actual_access:  read_only
        .address_space:  global
        .offset:         16
        .size:           8
        .value_kind:     global_buffer
      - .actual_access:  read_only
        .address_space:  global
        .offset:         24
        .size:           8
        .value_kind:     global_buffer
      - .offset:         32
        .size:           4
        .value_kind:     by_value
      - .offset:         40
        .size:           8
        .value_kind:     by_value
      - .actual_access:  read_only
        .address_space:  global
        .offset:         48
        .size:           8
        .value_kind:     global_buffer
      - .actual_access:  read_only
        .address_space:  global
        .offset:         56
        .size:           8
        .value_kind:     global_buffer
      - .actual_access:  read_only
        .address_space:  global
        .offset:         64
        .size:           8
        .value_kind:     global_buffer
      - .actual_access:  read_only
        .address_space:  global
        .offset:         72
        .size:           8
        .value_kind:     global_buffer
      - .offset:         80
        .size:           8
        .value_kind:     by_value
      - .address_space:  global
        .offset:         88
        .size:           8
        .value_kind:     global_buffer
      - .offset:         96
        .size:           4
        .value_kind:     by_value
      - .offset:         100
        .size:           1
        .value_kind:     by_value
    .group_segment_fixed_size: 0
    .kernarg_segment_align: 8
    .kernarg_segment_size: 104
    .language:       OpenCL C
    .language_version:
      - 2
      - 0
    .max_flat_workgroup_size: 256
    .name:           _ZN9rocsparseL41csrmvn_lrb_medium_rows_warp_reduce_kernelILj256ELj64Eii21rocsparse_complex_numIfES2_S2_S2_EEvbT1_lPT2_S5_jNS_24const_host_device_scalarIT6_EEPKS3_PKS4_PKT3_PKT4_S8_PT5_21rocsparse_index_base_b
    .private_segment_fixed_size: 0
    .sgpr_count:     15
    .sgpr_spill_count: 0
    .symbol:         _ZN9rocsparseL41csrmvn_lrb_medium_rows_warp_reduce_kernelILj256ELj64Eii21rocsparse_complex_numIfES2_S2_S2_EEvbT1_lPT2_S5_jNS_24const_host_device_scalarIT6_EEPKS3_PKS4_PKT3_PKT4_S8_PT5_21rocsparse_index_base_b.kd
    .uniform_work_group_size: 1
    .uses_dynamic_stack: false
    .vgpr_count:     20
    .vgpr_spill_count: 0
    .wavefront_size: 32
  - .args:
      - .offset:         0
        .size:           1
        .value_kind:     by_value
      - .offset:         4
        .size:           4
        .value_kind:     by_value
      - .actual_access:  read_only
        .address_space:  global
        .offset:         8
        .size:           8
        .value_kind:     global_buffer
      - .actual_access:  read_only
        .address_space:  global
        .offset:         16
        .size:           8
        .value_kind:     global_buffer
      - .offset:         24
        .size:           4
        .value_kind:     by_value
      - .offset:         32
        .size:           8
        .value_kind:     by_value
      - .actual_access:  read_only
        .address_space:  global
        .offset:         40
        .size:           8
        .value_kind:     global_buffer
      - .actual_access:  read_only
        .address_space:  global
        .offset:         48
        .size:           8
        .value_kind:     global_buffer
      - .actual_access:  read_only
        .address_space:  global
        .offset:         56
        .size:           8
        .value_kind:     global_buffer
      - .actual_access:  read_only
        .address_space:  global
        .offset:         64
        .size:           8
        .value_kind:     global_buffer
      - .offset:         72
        .size:           8
        .value_kind:     by_value
      - .address_space:  global
        .offset:         80
        .size:           8
        .value_kind:     global_buffer
      - .offset:         88
        .size:           4
        .value_kind:     by_value
      - .offset:         92
        .size:           1
        .value_kind:     by_value
    .group_segment_fixed_size: 2048
    .kernarg_segment_align: 8
    .kernarg_segment_size: 96
    .language:       OpenCL C
    .language_version:
      - 2
      - 0
    .max_flat_workgroup_size: 256
    .name:           _ZN9rocsparseL29csrmvn_lrb_medium_rows_kernelILj256Eii21rocsparse_complex_numIfES2_S2_S2_EEvbT0_PT1_S5_jNS_24const_host_device_scalarIT5_EEPKS3_PKS4_PKT2_PKT3_S8_PT4_21rocsparse_index_base_b
    .private_segment_fixed_size: 0
    .sgpr_count:     18
    .sgpr_spill_count: 0
    .symbol:         _ZN9rocsparseL29csrmvn_lrb_medium_rows_kernelILj256Eii21rocsparse_complex_numIfES2_S2_S2_EEvbT0_PT1_S5_jNS_24const_host_device_scalarIT5_EEPKS3_PKS4_PKT2_PKT3_S8_PT4_21rocsparse_index_base_b.kd
    .uniform_work_group_size: 1
    .uses_dynamic_stack: false
    .vgpr_count:     16
    .vgpr_spill_count: 0
    .wavefront_size: 32
  - .args:
      - .offset:         0
        .size:           1
        .value_kind:     by_value
      - .offset:         4
        .size:           4
        .value_kind:     by_value
      - .address_space:  global
        .offset:         8
        .size:           8
        .value_kind:     global_buffer
      - .actual_access:  read_only
        .address_space:  global
        .offset:         16
        .size:           8
        .value_kind:     global_buffer
      - .actual_access:  read_only
        .address_space:  global
        .offset:         24
        .size:           8
        .value_kind:     global_buffer
      - .offset:         32
        .size:           4
        .value_kind:     by_value
      - .offset:         40
        .size:           8
        .value_kind:     by_value
      - .actual_access:  read_only
        .address_space:  global
        .offset:         48
        .size:           8
        .value_kind:     global_buffer
      - .actual_access:  read_only
        .address_space:  global
        .offset:         56
        .size:           8
        .value_kind:     global_buffer
      - .actual_access:  read_only
        .address_space:  global
        .offset:         64
        .size:           8
        .value_kind:     global_buffer
      - .actual_access:  read_only
        .address_space:  global
        .offset:         72
        .size:           8
        .value_kind:     global_buffer
      - .offset:         80
        .size:           8
        .value_kind:     by_value
      - .address_space:  global
        .offset:         88
        .size:           8
        .value_kind:     global_buffer
      - .offset:         96
        .size:           4
        .value_kind:     by_value
      - .offset:         100
        .size:           1
        .value_kind:     by_value
    .group_segment_fixed_size: 2048
    .kernarg_segment_align: 8
    .kernarg_segment_size: 104
    .language:       OpenCL C
    .language_version:
      - 2
      - 0
    .max_flat_workgroup_size: 256
    .name:           _ZN9rocsparseL27csrmvn_lrb_long_rows_kernelIii21rocsparse_complex_numIfES2_S2_S2_EEvbT_PjPT0_S6_jNS_24const_host_device_scalarIT4_EEPKS3_PKS5_PKT1_PKT2_S9_PT3_21rocsparse_index_base_b
    .private_segment_fixed_size: 0
    .sgpr_count:     25
    .sgpr_spill_count: 0
    .symbol:         _ZN9rocsparseL27csrmvn_lrb_long_rows_kernelIii21rocsparse_complex_numIfES2_S2_S2_EEvbT_PjPT0_S6_jNS_24const_host_device_scalarIT4_EEPKS3_PKS5_PKT1_PKT2_S9_PT3_21rocsparse_index_base_b.kd
    .uniform_work_group_size: 1
    .uses_dynamic_stack: false
    .vgpr_count:     14
    .vgpr_spill_count: 0
    .wavefront_size: 32
  - .args:
      - .offset:         0
        .size:           1
        .value_kind:     by_value
      - .offset:         8
        .size:           8
        .value_kind:     by_value
      - .actual_access:  read_only
        .address_space:  global
        .offset:         16
        .size:           8
        .value_kind:     global_buffer
      - .actual_access:  read_only
        .address_space:  global
        .offset:         24
        .size:           8
        .value_kind:     global_buffer
      - .offset:         32
        .size:           4
        .value_kind:     by_value
      - .offset:         40
        .size:           8
        .value_kind:     by_value
      - .actual_access:  read_only
        .address_space:  global
        .offset:         48
        .size:           8
        .value_kind:     global_buffer
      - .actual_access:  read_only
        .address_space:  global
        .offset:         56
        .size:           8
        .value_kind:     global_buffer
      - .actual_access:  read_only
        .address_space:  global
        .offset:         64
        .size:           8
        .value_kind:     global_buffer
      - .actual_access:  read_only
        .address_space:  global
        .offset:         72
        .size:           8
        .value_kind:     global_buffer
      - .offset:         80
        .size:           8
        .value_kind:     by_value
      - .address_space:  global
        .offset:         88
        .size:           8
        .value_kind:     global_buffer
      - .offset:         96
        .size:           4
        .value_kind:     by_value
      - .offset:         100
        .size:           1
        .value_kind:     by_value
    .group_segment_fixed_size: 0
    .kernarg_segment_align: 8
    .kernarg_segment_size: 104
    .language:       OpenCL C
    .language_version:
      - 2
      - 0
    .max_flat_workgroup_size: 256
    .name:           _ZN9rocsparseL28csrmvn_lrb_short_rows_kernelIli21rocsparse_complex_numIfES2_S2_S2_EEvbT_PT0_S5_jNS_24const_host_device_scalarIT4_EEPKS3_PKS4_PKT1_PKT2_S8_PT3_21rocsparse_index_base_b
    .private_segment_fixed_size: 0
    .sgpr_count:     26
    .sgpr_spill_count: 0
    .symbol:         _ZN9rocsparseL28csrmvn_lrb_short_rows_kernelIli21rocsparse_complex_numIfES2_S2_S2_EEvbT_PT0_S5_jNS_24const_host_device_scalarIT4_EEPKS3_PKS4_PKT1_PKT2_S8_PT3_21rocsparse_index_base_b.kd
    .uniform_work_group_size: 1
    .uses_dynamic_stack: false
    .vgpr_count:     16
    .vgpr_spill_count: 0
    .wavefront_size: 32
  - .args:
      - .offset:         0
        .size:           1
        .value_kind:     by_value
      - .offset:         8
        .size:           8
        .value_kind:     by_value
      - .actual_access:  read_only
        .address_space:  global
        .offset:         16
        .size:           8
        .value_kind:     global_buffer
      - .actual_access:  read_only
        .address_space:  global
        .offset:         24
        .size:           8
        .value_kind:     global_buffer
      - .offset:         32
        .size:           4
        .value_kind:     by_value
      - .offset:         40
        .size:           8
        .value_kind:     by_value
      - .actual_access:  read_only
        .address_space:  global
        .offset:         48
        .size:           8
        .value_kind:     global_buffer
      - .actual_access:  read_only
        .address_space:  global
        .offset:         56
        .size:           8
        .value_kind:     global_buffer
      - .actual_access:  read_only
        .address_space:  global
        .offset:         64
        .size:           8
        .value_kind:     global_buffer
      - .actual_access:  read_only
        .address_space:  global
        .offset:         72
        .size:           8
        .value_kind:     global_buffer
      - .offset:         80
        .size:           8
        .value_kind:     by_value
      - .address_space:  global
        .offset:         88
        .size:           8
        .value_kind:     global_buffer
      - .offset:         96
        .size:           4
        .value_kind:     by_value
      - .offset:         100
        .size:           1
        .value_kind:     by_value
    .group_segment_fixed_size: 8192
    .kernarg_segment_align: 8
    .kernarg_segment_size: 104
    .language:       OpenCL C
    .language_version:
      - 2
      - 0
    .max_flat_workgroup_size: 256
    .name:           _ZN9rocsparseL30csrmvn_lrb_short_rows_2_kernelIli21rocsparse_complex_numIfES2_S2_S2_EEvbT_PT0_S5_jNS_24const_host_device_scalarIT4_EEPKS3_PKS4_PKT1_PKT2_S8_PT3_21rocsparse_index_base_b
    .private_segment_fixed_size: 0
    .sgpr_count:     25
    .sgpr_spill_count: 0
    .symbol:         _ZN9rocsparseL30csrmvn_lrb_short_rows_2_kernelIli21rocsparse_complex_numIfES2_S2_S2_EEvbT_PT0_S5_jNS_24const_host_device_scalarIT4_EEPKS3_PKS4_PKT1_PKT2_S8_PT3_21rocsparse_index_base_b.kd
    .uniform_work_group_size: 1
    .uses_dynamic_stack: false
    .vgpr_count:     16
    .vgpr_spill_count: 0
    .wavefront_size: 32
  - .args:
      - .offset:         0
        .size:           1
        .value_kind:     by_value
      - .offset:         8
        .size:           8
        .value_kind:     by_value
      - .offset:         16
        .size:           8
        .value_kind:     by_value
      - .actual_access:  read_only
        .address_space:  global
        .offset:         24
        .size:           8
        .value_kind:     global_buffer
      - .actual_access:  read_only
        .address_space:  global
        .offset:         32
        .size:           8
        .value_kind:     global_buffer
      - .offset:         40
        .size:           4
        .value_kind:     by_value
      - .offset:         48
        .size:           8
        .value_kind:     by_value
      - .actual_access:  read_only
        .address_space:  global
        .offset:         56
        .size:           8
        .value_kind:     global_buffer
      - .actual_access:  read_only
        .address_space:  global
        .offset:         64
        .size:           8
        .value_kind:     global_buffer
      - .actual_access:  read_only
        .address_space:  global
        .offset:         72
        .size:           8
        .value_kind:     global_buffer
      - .actual_access:  read_only
        .address_space:  global
        .offset:         80
        .size:           8
        .value_kind:     global_buffer
      - .offset:         88
        .size:           8
        .value_kind:     by_value
      - .address_space:  global
        .offset:         96
        .size:           8
        .value_kind:     global_buffer
      - .offset:         104
        .size:           4
        .value_kind:     by_value
      - .offset:         108
        .size:           1
        .value_kind:     by_value
    .group_segment_fixed_size: 0
    .kernarg_segment_align: 8
    .kernarg_segment_size: 112
    .language:       OpenCL C
    .language_version:
      - 2
      - 0
    .max_flat_workgroup_size: 256
    .name:           _ZN9rocsparseL41csrmvn_lrb_medium_rows_warp_reduce_kernelILj256ELj32Eli21rocsparse_complex_numIfES2_S2_S2_EEvbT1_lPT2_S5_jNS_24const_host_device_scalarIT6_EEPKS3_PKS4_PKT3_PKT4_S8_PT5_21rocsparse_index_base_b
    .private_segment_fixed_size: 0
    .sgpr_count:     14
    .sgpr_spill_count: 0
    .symbol:         _ZN9rocsparseL41csrmvn_lrb_medium_rows_warp_reduce_kernelILj256ELj32Eli21rocsparse_complex_numIfES2_S2_S2_EEvbT1_lPT2_S5_jNS_24const_host_device_scalarIT6_EEPKS3_PKS4_PKT3_PKT4_S8_PT5_21rocsparse_index_base_b.kd
    .uniform_work_group_size: 1
    .uses_dynamic_stack: false
    .vgpr_count:     26
    .vgpr_spill_count: 0
    .wavefront_size: 32
  - .args:
      - .offset:         0
        .size:           1
        .value_kind:     by_value
      - .offset:         8
        .size:           8
        .value_kind:     by_value
      - .offset:         16
        .size:           8
        .value_kind:     by_value
      - .actual_access:  read_only
        .address_space:  global
        .offset:         24
        .size:           8
        .value_kind:     global_buffer
      - .actual_access:  read_only
        .address_space:  global
        .offset:         32
        .size:           8
        .value_kind:     global_buffer
      - .offset:         40
        .size:           4
        .value_kind:     by_value
      - .offset:         48
        .size:           8
        .value_kind:     by_value
      - .actual_access:  read_only
        .address_space:  global
        .offset:         56
        .size:           8
        .value_kind:     global_buffer
      - .actual_access:  read_only
        .address_space:  global
        .offset:         64
        .size:           8
        .value_kind:     global_buffer
      - .actual_access:  read_only
        .address_space:  global
        .offset:         72
        .size:           8
        .value_kind:     global_buffer
      - .actual_access:  read_only
        .address_space:  global
        .offset:         80
        .size:           8
        .value_kind:     global_buffer
      - .offset:         88
        .size:           8
        .value_kind:     by_value
      - .address_space:  global
        .offset:         96
        .size:           8
        .value_kind:     global_buffer
      - .offset:         104
        .size:           4
        .value_kind:     by_value
      - .offset:         108
        .size:           1
        .value_kind:     by_value
    .group_segment_fixed_size: 0
    .kernarg_segment_align: 8
    .kernarg_segment_size: 112
    .language:       OpenCL C
    .language_version:
      - 2
      - 0
    .max_flat_workgroup_size: 256
    .name:           _ZN9rocsparseL41csrmvn_lrb_medium_rows_warp_reduce_kernelILj256ELj64Eli21rocsparse_complex_numIfES2_S2_S2_EEvbT1_lPT2_S5_jNS_24const_host_device_scalarIT6_EEPKS3_PKS4_PKT3_PKT4_S8_PT5_21rocsparse_index_base_b
    .private_segment_fixed_size: 0
    .sgpr_count:     14
    .sgpr_spill_count: 0
    .symbol:         _ZN9rocsparseL41csrmvn_lrb_medium_rows_warp_reduce_kernelILj256ELj64Eli21rocsparse_complex_numIfES2_S2_S2_EEvbT1_lPT2_S5_jNS_24const_host_device_scalarIT6_EEPKS3_PKS4_PKT3_PKT4_S8_PT5_21rocsparse_index_base_b.kd
    .uniform_work_group_size: 1
    .uses_dynamic_stack: false
    .vgpr_count:     26
    .vgpr_spill_count: 0
    .wavefront_size: 32
  - .args:
      - .offset:         0
        .size:           1
        .value_kind:     by_value
      - .offset:         8
        .size:           8
        .value_kind:     by_value
      - .actual_access:  read_only
        .address_space:  global
        .offset:         16
        .size:           8
        .value_kind:     global_buffer
      - .actual_access:  read_only
        .address_space:  global
        .offset:         24
        .size:           8
        .value_kind:     global_buffer
      - .offset:         32
        .size:           4
        .value_kind:     by_value
      - .offset:         40
        .size:           8
        .value_kind:     by_value
      - .actual_access:  read_only
        .address_space:  global
        .offset:         48
        .size:           8
        .value_kind:     global_buffer
      - .actual_access:  read_only
        .address_space:  global
        .offset:         56
        .size:           8
        .value_kind:     global_buffer
      - .actual_access:  read_only
        .address_space:  global
        .offset:         64
        .size:           8
        .value_kind:     global_buffer
      - .actual_access:  read_only
        .address_space:  global
        .offset:         72
        .size:           8
        .value_kind:     global_buffer
      - .offset:         80
        .size:           8
        .value_kind:     by_value
      - .address_space:  global
        .offset:         88
        .size:           8
        .value_kind:     global_buffer
      - .offset:         96
        .size:           4
        .value_kind:     by_value
      - .offset:         100
        .size:           1
        .value_kind:     by_value
    .group_segment_fixed_size: 2048
    .kernarg_segment_align: 8
    .kernarg_segment_size: 104
    .language:       OpenCL C
    .language_version:
      - 2
      - 0
    .max_flat_workgroup_size: 256
    .name:           _ZN9rocsparseL29csrmvn_lrb_medium_rows_kernelILj256Eli21rocsparse_complex_numIfES2_S2_S2_EEvbT0_PT1_S5_jNS_24const_host_device_scalarIT5_EEPKS3_PKS4_PKT2_PKT3_S8_PT4_21rocsparse_index_base_b
    .private_segment_fixed_size: 0
    .sgpr_count:     18
    .sgpr_spill_count: 0
    .symbol:         _ZN9rocsparseL29csrmvn_lrb_medium_rows_kernelILj256Eli21rocsparse_complex_numIfES2_S2_S2_EEvbT0_PT1_S5_jNS_24const_host_device_scalarIT5_EEPKS3_PKS4_PKT2_PKT3_S8_PT4_21rocsparse_index_base_b.kd
    .uniform_work_group_size: 1
    .uses_dynamic_stack: false
    .vgpr_count:     22
    .vgpr_spill_count: 0
    .wavefront_size: 32
  - .args:
      - .offset:         0
        .size:           1
        .value_kind:     by_value
      - .offset:         8
        .size:           8
        .value_kind:     by_value
      - .address_space:  global
        .offset:         16
        .size:           8
        .value_kind:     global_buffer
      - .actual_access:  read_only
        .address_space:  global
        .offset:         24
        .size:           8
        .value_kind:     global_buffer
      - .actual_access:  read_only
        .address_space:  global
        .offset:         32
        .size:           8
        .value_kind:     global_buffer
      - .offset:         40
        .size:           4
        .value_kind:     by_value
      - .offset:         48
        .size:           8
        .value_kind:     by_value
      - .actual_access:  read_only
        .address_space:  global
        .offset:         56
        .size:           8
        .value_kind:     global_buffer
      - .actual_access:  read_only
        .address_space:  global
        .offset:         64
        .size:           8
        .value_kind:     global_buffer
      - .actual_access:  read_only
        .address_space:  global
        .offset:         72
        .size:           8
        .value_kind:     global_buffer
      - .actual_access:  read_only
        .address_space:  global
        .offset:         80
        .size:           8
        .value_kind:     global_buffer
      - .offset:         88
        .size:           8
        .value_kind:     by_value
      - .address_space:  global
        .offset:         96
        .size:           8
        .value_kind:     global_buffer
      - .offset:         104
        .size:           4
        .value_kind:     by_value
      - .offset:         108
        .size:           1
        .value_kind:     by_value
    .group_segment_fixed_size: 2048
    .kernarg_segment_align: 8
    .kernarg_segment_size: 112
    .language:       OpenCL C
    .language_version:
      - 2
      - 0
    .max_flat_workgroup_size: 256
    .name:           _ZN9rocsparseL27csrmvn_lrb_long_rows_kernelIli21rocsparse_complex_numIfES2_S2_S2_EEvbT_PjPT0_S6_jNS_24const_host_device_scalarIT4_EEPKS3_PKS5_PKT1_PKT2_S9_PT3_21rocsparse_index_base_b
    .private_segment_fixed_size: 0
    .sgpr_count:     30
    .sgpr_spill_count: 0
    .symbol:         _ZN9rocsparseL27csrmvn_lrb_long_rows_kernelIli21rocsparse_complex_numIfES2_S2_S2_EEvbT_PjPT0_S6_jNS_24const_host_device_scalarIT4_EEPKS3_PKS5_PKT1_PKT2_S9_PT3_21rocsparse_index_base_b.kd
    .uniform_work_group_size: 1
    .uses_dynamic_stack: false
    .vgpr_count:     22
    .vgpr_spill_count: 0
    .wavefront_size: 32
  - .args:
      - .offset:         0
        .size:           1
        .value_kind:     by_value
      - .offset:         8
        .size:           8
        .value_kind:     by_value
      - .actual_access:  read_only
        .address_space:  global
        .offset:         16
        .size:           8
        .value_kind:     global_buffer
      - .actual_access:  read_only
        .address_space:  global
        .offset:         24
        .size:           8
        .value_kind:     global_buffer
      - .offset:         32
        .size:           4
        .value_kind:     by_value
      - .offset:         40
        .size:           8
        .value_kind:     by_value
      - .actual_access:  read_only
        .address_space:  global
        .offset:         48
        .size:           8
        .value_kind:     global_buffer
      - .actual_access:  read_only
        .address_space:  global
        .offset:         56
        .size:           8
        .value_kind:     global_buffer
      - .actual_access:  read_only
        .address_space:  global
        .offset:         64
        .size:           8
        .value_kind:     global_buffer
      - .actual_access:  read_only
        .address_space:  global
        .offset:         72
        .size:           8
        .value_kind:     global_buffer
      - .offset:         80
        .size:           8
        .value_kind:     by_value
      - .address_space:  global
        .offset:         88
        .size:           8
        .value_kind:     global_buffer
      - .offset:         96
        .size:           4
        .value_kind:     by_value
      - .offset:         100
        .size:           1
        .value_kind:     by_value
    .group_segment_fixed_size: 0
    .kernarg_segment_align: 8
    .kernarg_segment_size: 104
    .language:       OpenCL C
    .language_version:
      - 2
      - 0
    .max_flat_workgroup_size: 256
    .name:           _ZN9rocsparseL28csrmvn_lrb_short_rows_kernelIll21rocsparse_complex_numIfES2_S2_S2_EEvbT_PT0_S5_jNS_24const_host_device_scalarIT4_EEPKS3_PKS4_PKT1_PKT2_S8_PT3_21rocsparse_index_base_b
    .private_segment_fixed_size: 0
    .sgpr_count:     29
    .sgpr_spill_count: 0
    .symbol:         _ZN9rocsparseL28csrmvn_lrb_short_rows_kernelIll21rocsparse_complex_numIfES2_S2_S2_EEvbT_PT0_S5_jNS_24const_host_device_scalarIT4_EEPKS3_PKS4_PKT1_PKT2_S8_PT3_21rocsparse_index_base_b.kd
    .uniform_work_group_size: 1
    .uses_dynamic_stack: false
    .vgpr_count:     16
    .vgpr_spill_count: 0
    .wavefront_size: 32
  - .args:
      - .offset:         0
        .size:           1
        .value_kind:     by_value
      - .offset:         8
        .size:           8
        .value_kind:     by_value
      - .actual_access:  read_only
        .address_space:  global
        .offset:         16
        .size:           8
        .value_kind:     global_buffer
      - .actual_access:  read_only
        .address_space:  global
        .offset:         24
        .size:           8
        .value_kind:     global_buffer
      - .offset:         32
        .size:           4
        .value_kind:     by_value
      - .offset:         40
        .size:           8
        .value_kind:     by_value
      - .actual_access:  read_only
        .address_space:  global
        .offset:         48
        .size:           8
        .value_kind:     global_buffer
      - .actual_access:  read_only
        .address_space:  global
        .offset:         56
        .size:           8
        .value_kind:     global_buffer
      - .actual_access:  read_only
        .address_space:  global
        .offset:         64
        .size:           8
        .value_kind:     global_buffer
      - .actual_access:  read_only
        .address_space:  global
        .offset:         72
        .size:           8
        .value_kind:     global_buffer
      - .offset:         80
        .size:           8
        .value_kind:     by_value
      - .address_space:  global
        .offset:         88
        .size:           8
        .value_kind:     global_buffer
      - .offset:         96
        .size:           4
        .value_kind:     by_value
      - .offset:         100
        .size:           1
        .value_kind:     by_value
    .group_segment_fixed_size: 8192
    .kernarg_segment_align: 8
    .kernarg_segment_size: 104
    .language:       OpenCL C
    .language_version:
      - 2
      - 0
    .max_flat_workgroup_size: 256
    .name:           _ZN9rocsparseL30csrmvn_lrb_short_rows_2_kernelIll21rocsparse_complex_numIfES2_S2_S2_EEvbT_PT0_S5_jNS_24const_host_device_scalarIT4_EEPKS3_PKS4_PKT1_PKT2_S8_PT3_21rocsparse_index_base_b
    .private_segment_fixed_size: 0
    .sgpr_count:     26
    .sgpr_spill_count: 0
    .symbol:         _ZN9rocsparseL30csrmvn_lrb_short_rows_2_kernelIll21rocsparse_complex_numIfES2_S2_S2_EEvbT_PT0_S5_jNS_24const_host_device_scalarIT4_EEPKS3_PKS4_PKT1_PKT2_S8_PT3_21rocsparse_index_base_b.kd
    .uniform_work_group_size: 1
    .uses_dynamic_stack: false
    .vgpr_count:     16
    .vgpr_spill_count: 0
    .wavefront_size: 32
  - .args:
      - .offset:         0
        .size:           1
        .value_kind:     by_value
      - .offset:         8
        .size:           8
        .value_kind:     by_value
      - .offset:         16
        .size:           8
        .value_kind:     by_value
      - .actual_access:  read_only
        .address_space:  global
        .offset:         24
        .size:           8
        .value_kind:     global_buffer
      - .actual_access:  read_only
        .address_space:  global
        .offset:         32
        .size:           8
        .value_kind:     global_buffer
      - .offset:         40
        .size:           4
        .value_kind:     by_value
      - .offset:         48
        .size:           8
        .value_kind:     by_value
      - .actual_access:  read_only
        .address_space:  global
        .offset:         56
        .size:           8
        .value_kind:     global_buffer
      - .actual_access:  read_only
        .address_space:  global
        .offset:         64
        .size:           8
        .value_kind:     global_buffer
      - .actual_access:  read_only
        .address_space:  global
        .offset:         72
        .size:           8
        .value_kind:     global_buffer
      - .actual_access:  read_only
        .address_space:  global
        .offset:         80
        .size:           8
        .value_kind:     global_buffer
      - .offset:         88
        .size:           8
        .value_kind:     by_value
      - .address_space:  global
        .offset:         96
        .size:           8
        .value_kind:     global_buffer
      - .offset:         104
        .size:           4
        .value_kind:     by_value
      - .offset:         108
        .size:           1
        .value_kind:     by_value
    .group_segment_fixed_size: 0
    .kernarg_segment_align: 8
    .kernarg_segment_size: 112
    .language:       OpenCL C
    .language_version:
      - 2
      - 0
    .max_flat_workgroup_size: 256
    .name:           _ZN9rocsparseL41csrmvn_lrb_medium_rows_warp_reduce_kernelILj256ELj32Ell21rocsparse_complex_numIfES2_S2_S2_EEvbT1_lPT2_S5_jNS_24const_host_device_scalarIT6_EEPKS3_PKS4_PKT3_PKT4_S8_PT5_21rocsparse_index_base_b
    .private_segment_fixed_size: 0
    .sgpr_count:     14
    .sgpr_spill_count: 0
    .symbol:         _ZN9rocsparseL41csrmvn_lrb_medium_rows_warp_reduce_kernelILj256ELj32Ell21rocsparse_complex_numIfES2_S2_S2_EEvbT1_lPT2_S5_jNS_24const_host_device_scalarIT6_EEPKS3_PKS4_PKT3_PKT4_S8_PT5_21rocsparse_index_base_b.kd
    .uniform_work_group_size: 1
    .uses_dynamic_stack: false
    .vgpr_count:     26
    .vgpr_spill_count: 0
    .wavefront_size: 32
  - .args:
      - .offset:         0
        .size:           1
        .value_kind:     by_value
      - .offset:         8
        .size:           8
        .value_kind:     by_value
      - .offset:         16
        .size:           8
        .value_kind:     by_value
      - .actual_access:  read_only
        .address_space:  global
        .offset:         24
        .size:           8
        .value_kind:     global_buffer
      - .actual_access:  read_only
        .address_space:  global
        .offset:         32
        .size:           8
        .value_kind:     global_buffer
      - .offset:         40
        .size:           4
        .value_kind:     by_value
      - .offset:         48
        .size:           8
        .value_kind:     by_value
      - .actual_access:  read_only
        .address_space:  global
        .offset:         56
        .size:           8
        .value_kind:     global_buffer
      - .actual_access:  read_only
        .address_space:  global
        .offset:         64
        .size:           8
        .value_kind:     global_buffer
      - .actual_access:  read_only
        .address_space:  global
        .offset:         72
        .size:           8
        .value_kind:     global_buffer
      - .actual_access:  read_only
        .address_space:  global
        .offset:         80
        .size:           8
        .value_kind:     global_buffer
      - .offset:         88
        .size:           8
        .value_kind:     by_value
      - .address_space:  global
        .offset:         96
        .size:           8
        .value_kind:     global_buffer
      - .offset:         104
        .size:           4
        .value_kind:     by_value
      - .offset:         108
        .size:           1
        .value_kind:     by_value
    .group_segment_fixed_size: 0
    .kernarg_segment_align: 8
    .kernarg_segment_size: 112
    .language:       OpenCL C
    .language_version:
      - 2
      - 0
    .max_flat_workgroup_size: 256
    .name:           _ZN9rocsparseL41csrmvn_lrb_medium_rows_warp_reduce_kernelILj256ELj64Ell21rocsparse_complex_numIfES2_S2_S2_EEvbT1_lPT2_S5_jNS_24const_host_device_scalarIT6_EEPKS3_PKS4_PKT3_PKT4_S8_PT5_21rocsparse_index_base_b
    .private_segment_fixed_size: 0
    .sgpr_count:     14
    .sgpr_spill_count: 0
    .symbol:         _ZN9rocsparseL41csrmvn_lrb_medium_rows_warp_reduce_kernelILj256ELj64Ell21rocsparse_complex_numIfES2_S2_S2_EEvbT1_lPT2_S5_jNS_24const_host_device_scalarIT6_EEPKS3_PKS4_PKT3_PKT4_S8_PT5_21rocsparse_index_base_b.kd
    .uniform_work_group_size: 1
    .uses_dynamic_stack: false
    .vgpr_count:     26
    .vgpr_spill_count: 0
    .wavefront_size: 32
  - .args:
      - .offset:         0
        .size:           1
        .value_kind:     by_value
      - .offset:         8
        .size:           8
        .value_kind:     by_value
      - .actual_access:  read_only
        .address_space:  global
        .offset:         16
        .size:           8
        .value_kind:     global_buffer
      - .actual_access:  read_only
        .address_space:  global
        .offset:         24
        .size:           8
        .value_kind:     global_buffer
      - .offset:         32
        .size:           4
        .value_kind:     by_value
      - .offset:         40
        .size:           8
        .value_kind:     by_value
      - .actual_access:  read_only
        .address_space:  global
        .offset:         48
        .size:           8
        .value_kind:     global_buffer
      - .actual_access:  read_only
        .address_space:  global
        .offset:         56
        .size:           8
        .value_kind:     global_buffer
      - .actual_access:  read_only
        .address_space:  global
        .offset:         64
        .size:           8
        .value_kind:     global_buffer
      - .actual_access:  read_only
        .address_space:  global
        .offset:         72
        .size:           8
        .value_kind:     global_buffer
      - .offset:         80
        .size:           8
        .value_kind:     by_value
      - .address_space:  global
        .offset:         88
        .size:           8
        .value_kind:     global_buffer
      - .offset:         96
        .size:           4
        .value_kind:     by_value
      - .offset:         100
        .size:           1
        .value_kind:     by_value
    .group_segment_fixed_size: 2048
    .kernarg_segment_align: 8
    .kernarg_segment_size: 104
    .language:       OpenCL C
    .language_version:
      - 2
      - 0
    .max_flat_workgroup_size: 256
    .name:           _ZN9rocsparseL29csrmvn_lrb_medium_rows_kernelILj256Ell21rocsparse_complex_numIfES2_S2_S2_EEvbT0_PT1_S5_jNS_24const_host_device_scalarIT5_EEPKS3_PKS4_PKT2_PKT3_S8_PT4_21rocsparse_index_base_b
    .private_segment_fixed_size: 0
    .sgpr_count:     18
    .sgpr_spill_count: 0
    .symbol:         _ZN9rocsparseL29csrmvn_lrb_medium_rows_kernelILj256Ell21rocsparse_complex_numIfES2_S2_S2_EEvbT0_PT1_S5_jNS_24const_host_device_scalarIT5_EEPKS3_PKS4_PKT2_PKT3_S8_PT4_21rocsparse_index_base_b.kd
    .uniform_work_group_size: 1
    .uses_dynamic_stack: false
    .vgpr_count:     22
    .vgpr_spill_count: 0
    .wavefront_size: 32
  - .args:
      - .offset:         0
        .size:           1
        .value_kind:     by_value
      - .offset:         8
        .size:           8
        .value_kind:     by_value
      - .address_space:  global
        .offset:         16
        .size:           8
        .value_kind:     global_buffer
      - .actual_access:  read_only
        .address_space:  global
        .offset:         24
        .size:           8
        .value_kind:     global_buffer
      - .actual_access:  read_only
        .address_space:  global
        .offset:         32
        .size:           8
        .value_kind:     global_buffer
      - .offset:         40
        .size:           4
        .value_kind:     by_value
      - .offset:         48
        .size:           8
        .value_kind:     by_value
      - .actual_access:  read_only
        .address_space:  global
        .offset:         56
        .size:           8
        .value_kind:     global_buffer
      - .actual_access:  read_only
        .address_space:  global
        .offset:         64
        .size:           8
        .value_kind:     global_buffer
      - .actual_access:  read_only
        .address_space:  global
        .offset:         72
        .size:           8
        .value_kind:     global_buffer
      - .actual_access:  read_only
        .address_space:  global
        .offset:         80
        .size:           8
        .value_kind:     global_buffer
      - .offset:         88
        .size:           8
        .value_kind:     by_value
      - .address_space:  global
        .offset:         96
        .size:           8
        .value_kind:     global_buffer
      - .offset:         104
        .size:           4
        .value_kind:     by_value
      - .offset:         108
        .size:           1
        .value_kind:     by_value
    .group_segment_fixed_size: 2048
    .kernarg_segment_align: 8
    .kernarg_segment_size: 112
    .language:       OpenCL C
    .language_version:
      - 2
      - 0
    .max_flat_workgroup_size: 256
    .name:           _ZN9rocsparseL27csrmvn_lrb_long_rows_kernelIll21rocsparse_complex_numIfES2_S2_S2_EEvbT_PjPT0_S6_jNS_24const_host_device_scalarIT4_EEPKS3_PKS5_PKT1_PKT2_S9_PT3_21rocsparse_index_base_b
    .private_segment_fixed_size: 0
    .sgpr_count:     30
    .sgpr_spill_count: 0
    .symbol:         _ZN9rocsparseL27csrmvn_lrb_long_rows_kernelIll21rocsparse_complex_numIfES2_S2_S2_EEvbT_PjPT0_S6_jNS_24const_host_device_scalarIT4_EEPKS3_PKS5_PKT1_PKT2_S9_PT3_21rocsparse_index_base_b.kd
    .uniform_work_group_size: 1
    .uses_dynamic_stack: false
    .vgpr_count:     22
    .vgpr_spill_count: 0
    .wavefront_size: 32
  - .args:
      - .offset:         0
        .size:           1
        .value_kind:     by_value
      - .offset:         4
        .size:           4
        .value_kind:     by_value
      - .actual_access:  read_only
        .address_space:  global
        .offset:         8
        .size:           8
        .value_kind:     global_buffer
      - .actual_access:  read_only
        .address_space:  global
        .offset:         16
        .size:           8
        .value_kind:     global_buffer
      - .offset:         24
        .size:           4
        .value_kind:     by_value
      - .offset:         32
        .size:           16
        .value_kind:     by_value
      - .actual_access:  read_only
        .address_space:  global
        .offset:         48
        .size:           8
        .value_kind:     global_buffer
      - .actual_access:  read_only
        .address_space:  global
        .offset:         56
        .size:           8
        .value_kind:     global_buffer
      - .actual_access:  read_only
        .address_space:  global
        .offset:         64
        .size:           8
        .value_kind:     global_buffer
      - .actual_access:  read_only
        .address_space:  global
        .offset:         72
        .size:           8
        .value_kind:     global_buffer
      - .offset:         80
        .size:           16
        .value_kind:     by_value
      - .address_space:  global
        .offset:         96
        .size:           8
        .value_kind:     global_buffer
      - .offset:         104
        .size:           4
        .value_kind:     by_value
      - .offset:         108
        .size:           1
        .value_kind:     by_value
    .group_segment_fixed_size: 0
    .kernarg_segment_align: 8
    .kernarg_segment_size: 112
    .language:       OpenCL C
    .language_version:
      - 2
      - 0
    .max_flat_workgroup_size: 256
    .name:           _ZN9rocsparseL28csrmvn_lrb_short_rows_kernelIii21rocsparse_complex_numIdES2_S2_S2_EEvbT_PT0_S5_jNS_24const_host_device_scalarIT4_EEPKS3_PKS4_PKT1_PKT2_S8_PT3_21rocsparse_index_base_b
    .private_segment_fixed_size: 0
    .sgpr_count:     24
    .sgpr_spill_count: 0
    .symbol:         _ZN9rocsparseL28csrmvn_lrb_short_rows_kernelIii21rocsparse_complex_numIdES2_S2_S2_EEvbT_PT0_S5_jNS_24const_host_device_scalarIT4_EEPKS3_PKS4_PKT1_PKT2_S8_PT3_21rocsparse_index_base_b.kd
    .uniform_work_group_size: 1
    .uses_dynamic_stack: false
    .vgpr_count:     24
    .vgpr_spill_count: 0
    .wavefront_size: 32
  - .args:
      - .offset:         0
        .size:           1
        .value_kind:     by_value
      - .offset:         4
        .size:           4
        .value_kind:     by_value
      - .actual_access:  read_only
        .address_space:  global
        .offset:         8
        .size:           8
        .value_kind:     global_buffer
      - .actual_access:  read_only
        .address_space:  global
        .offset:         16
        .size:           8
        .value_kind:     global_buffer
      - .offset:         24
        .size:           4
        .value_kind:     by_value
      - .offset:         32
        .size:           16
        .value_kind:     by_value
      - .actual_access:  read_only
        .address_space:  global
        .offset:         48
        .size:           8
        .value_kind:     global_buffer
      - .actual_access:  read_only
        .address_space:  global
        .offset:         56
        .size:           8
        .value_kind:     global_buffer
      - .actual_access:  read_only
        .address_space:  global
        .offset:         64
        .size:           8
        .value_kind:     global_buffer
      - .actual_access:  read_only
        .address_space:  global
        .offset:         72
        .size:           8
        .value_kind:     global_buffer
      - .offset:         80
        .size:           16
        .value_kind:     by_value
      - .address_space:  global
        .offset:         96
        .size:           8
        .value_kind:     global_buffer
      - .offset:         104
        .size:           4
        .value_kind:     by_value
      - .offset:         108
        .size:           1
        .value_kind:     by_value
    .group_segment_fixed_size: 16384
    .kernarg_segment_align: 8
    .kernarg_segment_size: 112
    .language:       OpenCL C
    .language_version:
      - 2
      - 0
    .max_flat_workgroup_size: 256
    .name:           _ZN9rocsparseL30csrmvn_lrb_short_rows_2_kernelIii21rocsparse_complex_numIdES2_S2_S2_EEvbT_PT0_S5_jNS_24const_host_device_scalarIT4_EEPKS3_PKS4_PKT1_PKT2_S8_PT3_21rocsparse_index_base_b
    .private_segment_fixed_size: 0
    .sgpr_count:     23
    .sgpr_spill_count: 0
    .symbol:         _ZN9rocsparseL30csrmvn_lrb_short_rows_2_kernelIii21rocsparse_complex_numIdES2_S2_S2_EEvbT_PT0_S5_jNS_24const_host_device_scalarIT4_EEPKS3_PKS4_PKT1_PKT2_S8_PT3_21rocsparse_index_base_b.kd
    .uniform_work_group_size: 1
    .uses_dynamic_stack: false
    .vgpr_count:     24
    .vgpr_spill_count: 0
    .wavefront_size: 32
  - .args:
      - .offset:         0
        .size:           1
        .value_kind:     by_value
      - .offset:         4
        .size:           4
        .value_kind:     by_value
      - .offset:         8
        .size:           8
        .value_kind:     by_value
      - .actual_access:  read_only
        .address_space:  global
        .offset:         16
        .size:           8
        .value_kind:     global_buffer
      - .actual_access:  read_only
        .address_space:  global
        .offset:         24
        .size:           8
        .value_kind:     global_buffer
      - .offset:         32
        .size:           4
        .value_kind:     by_value
      - .offset:         40
        .size:           16
        .value_kind:     by_value
      - .actual_access:  read_only
        .address_space:  global
        .offset:         56
        .size:           8
        .value_kind:     global_buffer
      - .actual_access:  read_only
        .address_space:  global
        .offset:         64
        .size:           8
        .value_kind:     global_buffer
      - .actual_access:  read_only
        .address_space:  global
        .offset:         72
        .size:           8
        .value_kind:     global_buffer
      - .actual_access:  read_only
        .address_space:  global
        .offset:         80
        .size:           8
        .value_kind:     global_buffer
      - .offset:         88
        .size:           16
        .value_kind:     by_value
      - .address_space:  global
        .offset:         104
        .size:           8
        .value_kind:     global_buffer
      - .offset:         112
        .size:           4
        .value_kind:     by_value
      - .offset:         116
        .size:           1
        .value_kind:     by_value
    .group_segment_fixed_size: 0
    .kernarg_segment_align: 8
    .kernarg_segment_size: 120
    .language:       OpenCL C
    .language_version:
      - 2
      - 0
    .max_flat_workgroup_size: 256
    .name:           _ZN9rocsparseL41csrmvn_lrb_medium_rows_warp_reduce_kernelILj256ELj32Eii21rocsparse_complex_numIdES2_S2_S2_EEvbT1_lPT2_S5_jNS_24const_host_device_scalarIT6_EEPKS3_PKS4_PKT3_PKT4_S8_PT5_21rocsparse_index_base_b
    .private_segment_fixed_size: 0
    .sgpr_count:     14
    .sgpr_spill_count: 0
    .symbol:         _ZN9rocsparseL41csrmvn_lrb_medium_rows_warp_reduce_kernelILj256ELj32Eii21rocsparse_complex_numIdES2_S2_S2_EEvbT1_lPT2_S5_jNS_24const_host_device_scalarIT6_EEPKS3_PKS4_PKT3_PKT4_S8_PT5_21rocsparse_index_base_b.kd
    .uniform_work_group_size: 1
    .uses_dynamic_stack: false
    .vgpr_count:     28
    .vgpr_spill_count: 0
    .wavefront_size: 32
  - .args:
      - .offset:         0
        .size:           1
        .value_kind:     by_value
      - .offset:         4
        .size:           4
        .value_kind:     by_value
      - .offset:         8
        .size:           8
        .value_kind:     by_value
      - .actual_access:  read_only
        .address_space:  global
        .offset:         16
        .size:           8
        .value_kind:     global_buffer
      - .actual_access:  read_only
        .address_space:  global
        .offset:         24
        .size:           8
        .value_kind:     global_buffer
      - .offset:         32
        .size:           4
        .value_kind:     by_value
      - .offset:         40
        .size:           16
        .value_kind:     by_value
      - .actual_access:  read_only
        .address_space:  global
        .offset:         56
        .size:           8
        .value_kind:     global_buffer
      - .actual_access:  read_only
        .address_space:  global
        .offset:         64
        .size:           8
        .value_kind:     global_buffer
      - .actual_access:  read_only
        .address_space:  global
        .offset:         72
        .size:           8
        .value_kind:     global_buffer
      - .actual_access:  read_only
        .address_space:  global
        .offset:         80
        .size:           8
        .value_kind:     global_buffer
      - .offset:         88
        .size:           16
        .value_kind:     by_value
      - .address_space:  global
        .offset:         104
        .size:           8
        .value_kind:     global_buffer
      - .offset:         112
        .size:           4
        .value_kind:     by_value
      - .offset:         116
        .size:           1
        .value_kind:     by_value
    .group_segment_fixed_size: 0
    .kernarg_segment_align: 8
    .kernarg_segment_size: 120
    .language:       OpenCL C
    .language_version:
      - 2
      - 0
    .max_flat_workgroup_size: 256
    .name:           _ZN9rocsparseL41csrmvn_lrb_medium_rows_warp_reduce_kernelILj256ELj64Eii21rocsparse_complex_numIdES2_S2_S2_EEvbT1_lPT2_S5_jNS_24const_host_device_scalarIT6_EEPKS3_PKS4_PKT3_PKT4_S8_PT5_21rocsparse_index_base_b
    .private_segment_fixed_size: 0
    .sgpr_count:     14
    .sgpr_spill_count: 0
    .symbol:         _ZN9rocsparseL41csrmvn_lrb_medium_rows_warp_reduce_kernelILj256ELj64Eii21rocsparse_complex_numIdES2_S2_S2_EEvbT1_lPT2_S5_jNS_24const_host_device_scalarIT6_EEPKS3_PKS4_PKT3_PKT4_S8_PT5_21rocsparse_index_base_b.kd
    .uniform_work_group_size: 1
    .uses_dynamic_stack: false
    .vgpr_count:     28
    .vgpr_spill_count: 0
    .wavefront_size: 32
  - .args:
      - .offset:         0
        .size:           1
        .value_kind:     by_value
      - .offset:         4
        .size:           4
        .value_kind:     by_value
      - .actual_access:  read_only
        .address_space:  global
        .offset:         8
        .size:           8
        .value_kind:     global_buffer
      - .actual_access:  read_only
        .address_space:  global
        .offset:         16
        .size:           8
        .value_kind:     global_buffer
      - .offset:         24
        .size:           4
        .value_kind:     by_value
      - .offset:         32
        .size:           16
        .value_kind:     by_value
      - .actual_access:  read_only
        .address_space:  global
        .offset:         48
        .size:           8
        .value_kind:     global_buffer
      - .actual_access:  read_only
        .address_space:  global
        .offset:         56
        .size:           8
        .value_kind:     global_buffer
      - .actual_access:  read_only
        .address_space:  global
        .offset:         64
        .size:           8
        .value_kind:     global_buffer
      - .actual_access:  read_only
        .address_space:  global
        .offset:         72
        .size:           8
        .value_kind:     global_buffer
      - .offset:         80
        .size:           16
        .value_kind:     by_value
      - .address_space:  global
        .offset:         96
        .size:           8
        .value_kind:     global_buffer
      - .offset:         104
        .size:           4
        .value_kind:     by_value
      - .offset:         108
        .size:           1
        .value_kind:     by_value
    .group_segment_fixed_size: 4096
    .kernarg_segment_align: 8
    .kernarg_segment_size: 112
    .language:       OpenCL C
    .language_version:
      - 2
      - 0
    .max_flat_workgroup_size: 256
    .name:           _ZN9rocsparseL29csrmvn_lrb_medium_rows_kernelILj256Eii21rocsparse_complex_numIdES2_S2_S2_EEvbT0_PT1_S5_jNS_24const_host_device_scalarIT5_EEPKS3_PKS4_PKT2_PKT3_S8_PT4_21rocsparse_index_base_b
    .private_segment_fixed_size: 0
    .sgpr_count:     17
    .sgpr_spill_count: 0
    .symbol:         _ZN9rocsparseL29csrmvn_lrb_medium_rows_kernelILj256Eii21rocsparse_complex_numIdES2_S2_S2_EEvbT0_PT1_S5_jNS_24const_host_device_scalarIT5_EEPKS3_PKS4_PKT2_PKT3_S8_PT4_21rocsparse_index_base_b.kd
    .uniform_work_group_size: 1
    .uses_dynamic_stack: false
    .vgpr_count:     24
    .vgpr_spill_count: 0
    .wavefront_size: 32
  - .args:
      - .offset:         0
        .size:           1
        .value_kind:     by_value
      - .offset:         4
        .size:           4
        .value_kind:     by_value
      - .address_space:  global
        .offset:         8
        .size:           8
        .value_kind:     global_buffer
      - .actual_access:  read_only
        .address_space:  global
        .offset:         16
        .size:           8
        .value_kind:     global_buffer
      - .actual_access:  read_only
        .address_space:  global
        .offset:         24
        .size:           8
        .value_kind:     global_buffer
      - .offset:         32
        .size:           4
        .value_kind:     by_value
      - .offset:         40
        .size:           16
        .value_kind:     by_value
      - .actual_access:  read_only
        .address_space:  global
        .offset:         56
        .size:           8
        .value_kind:     global_buffer
      - .actual_access:  read_only
        .address_space:  global
        .offset:         64
        .size:           8
        .value_kind:     global_buffer
      - .actual_access:  read_only
        .address_space:  global
        .offset:         72
        .size:           8
        .value_kind:     global_buffer
      - .actual_access:  read_only
        .address_space:  global
        .offset:         80
        .size:           8
        .value_kind:     global_buffer
      - .offset:         88
        .size:           16
        .value_kind:     by_value
      - .address_space:  global
        .offset:         104
        .size:           8
        .value_kind:     global_buffer
      - .offset:         112
        .size:           4
        .value_kind:     by_value
      - .offset:         116
        .size:           1
        .value_kind:     by_value
    .group_segment_fixed_size: 4096
    .kernarg_segment_align: 8
    .kernarg_segment_size: 120
    .language:       OpenCL C
    .language_version:
      - 2
      - 0
    .max_flat_workgroup_size: 256
    .name:           _ZN9rocsparseL27csrmvn_lrb_long_rows_kernelIii21rocsparse_complex_numIdES2_S2_S2_EEvbT_PjPT0_S6_jNS_24const_host_device_scalarIT4_EEPKS3_PKS5_PKT1_PKT2_S9_PT3_21rocsparse_index_base_b
    .private_segment_fixed_size: 0
    .sgpr_count:     26
    .sgpr_spill_count: 0
    .symbol:         _ZN9rocsparseL27csrmvn_lrb_long_rows_kernelIii21rocsparse_complex_numIdES2_S2_S2_EEvbT_PjPT0_S6_jNS_24const_host_device_scalarIT4_EEPKS3_PKS5_PKT1_PKT2_S9_PT3_21rocsparse_index_base_b.kd
    .uniform_work_group_size: 1
    .uses_dynamic_stack: false
    .vgpr_count:     20
    .vgpr_spill_count: 0
    .wavefront_size: 32
  - .args:
      - .offset:         0
        .size:           1
        .value_kind:     by_value
      - .offset:         8
        .size:           8
        .value_kind:     by_value
      - .actual_access:  read_only
        .address_space:  global
        .offset:         16
        .size:           8
        .value_kind:     global_buffer
      - .actual_access:  read_only
        .address_space:  global
        .offset:         24
        .size:           8
        .value_kind:     global_buffer
      - .offset:         32
        .size:           4
        .value_kind:     by_value
      - .offset:         40
        .size:           16
        .value_kind:     by_value
      - .actual_access:  read_only
        .address_space:  global
        .offset:         56
        .size:           8
        .value_kind:     global_buffer
      - .actual_access:  read_only
        .address_space:  global
        .offset:         64
        .size:           8
        .value_kind:     global_buffer
      - .actual_access:  read_only
        .address_space:  global
        .offset:         72
        .size:           8
        .value_kind:     global_buffer
      - .actual_access:  read_only
        .address_space:  global
        .offset:         80
        .size:           8
        .value_kind:     global_buffer
      - .offset:         88
        .size:           16
        .value_kind:     by_value
      - .address_space:  global
        .offset:         104
        .size:           8
        .value_kind:     global_buffer
      - .offset:         112
        .size:           4
        .value_kind:     by_value
      - .offset:         116
        .size:           1
        .value_kind:     by_value
    .group_segment_fixed_size: 0
    .kernarg_segment_align: 8
    .kernarg_segment_size: 120
    .language:       OpenCL C
    .language_version:
      - 2
      - 0
    .max_flat_workgroup_size: 256
    .name:           _ZN9rocsparseL28csrmvn_lrb_short_rows_kernelIli21rocsparse_complex_numIdES2_S2_S2_EEvbT_PT0_S5_jNS_24const_host_device_scalarIT4_EEPKS3_PKS4_PKT1_PKT2_S8_PT3_21rocsparse_index_base_b
    .private_segment_fixed_size: 0
    .sgpr_count:     25
    .sgpr_spill_count: 0
    .symbol:         _ZN9rocsparseL28csrmvn_lrb_short_rows_kernelIli21rocsparse_complex_numIdES2_S2_S2_EEvbT_PT0_S5_jNS_24const_host_device_scalarIT4_EEPKS3_PKS4_PKT1_PKT2_S8_PT3_21rocsparse_index_base_b.kd
    .uniform_work_group_size: 1
    .uses_dynamic_stack: false
    .vgpr_count:     26
    .vgpr_spill_count: 0
    .wavefront_size: 32
  - .args:
      - .offset:         0
        .size:           1
        .value_kind:     by_value
      - .offset:         8
        .size:           8
        .value_kind:     by_value
      - .actual_access:  read_only
        .address_space:  global
        .offset:         16
        .size:           8
        .value_kind:     global_buffer
      - .actual_access:  read_only
        .address_space:  global
        .offset:         24
        .size:           8
        .value_kind:     global_buffer
      - .offset:         32
        .size:           4
        .value_kind:     by_value
      - .offset:         40
        .size:           16
        .value_kind:     by_value
      - .actual_access:  read_only
        .address_space:  global
        .offset:         56
        .size:           8
        .value_kind:     global_buffer
      - .actual_access:  read_only
        .address_space:  global
        .offset:         64
        .size:           8
        .value_kind:     global_buffer
      - .actual_access:  read_only
        .address_space:  global
        .offset:         72
        .size:           8
        .value_kind:     global_buffer
      - .actual_access:  read_only
        .address_space:  global
        .offset:         80
        .size:           8
        .value_kind:     global_buffer
      - .offset:         88
        .size:           16
        .value_kind:     by_value
      - .address_space:  global
        .offset:         104
        .size:           8
        .value_kind:     global_buffer
      - .offset:         112
        .size:           4
        .value_kind:     by_value
      - .offset:         116
        .size:           1
        .value_kind:     by_value
    .group_segment_fixed_size: 16384
    .kernarg_segment_align: 8
    .kernarg_segment_size: 120
    .language:       OpenCL C
    .language_version:
      - 2
      - 0
    .max_flat_workgroup_size: 256
    .name:           _ZN9rocsparseL30csrmvn_lrb_short_rows_2_kernelIli21rocsparse_complex_numIdES2_S2_S2_EEvbT_PT0_S5_jNS_24const_host_device_scalarIT4_EEPKS3_PKS4_PKT1_PKT2_S8_PT3_21rocsparse_index_base_b
    .private_segment_fixed_size: 0
    .sgpr_count:     24
    .sgpr_spill_count: 0
    .symbol:         _ZN9rocsparseL30csrmvn_lrb_short_rows_2_kernelIli21rocsparse_complex_numIdES2_S2_S2_EEvbT_PT0_S5_jNS_24const_host_device_scalarIT4_EEPKS3_PKS4_PKT1_PKT2_S8_PT3_21rocsparse_index_base_b.kd
    .uniform_work_group_size: 1
    .uses_dynamic_stack: false
    .vgpr_count:     24
    .vgpr_spill_count: 0
    .wavefront_size: 32
  - .args:
      - .offset:         0
        .size:           1
        .value_kind:     by_value
      - .offset:         8
        .size:           8
        .value_kind:     by_value
      - .offset:         16
        .size:           8
        .value_kind:     by_value
      - .actual_access:  read_only
        .address_space:  global
        .offset:         24
        .size:           8
        .value_kind:     global_buffer
      - .actual_access:  read_only
        .address_space:  global
        .offset:         32
        .size:           8
        .value_kind:     global_buffer
      - .offset:         40
        .size:           4
        .value_kind:     by_value
      - .offset:         48
        .size:           16
        .value_kind:     by_value
      - .actual_access:  read_only
        .address_space:  global
        .offset:         64
        .size:           8
        .value_kind:     global_buffer
      - .actual_access:  read_only
        .address_space:  global
        .offset:         72
        .size:           8
        .value_kind:     global_buffer
      - .actual_access:  read_only
        .address_space:  global
        .offset:         80
        .size:           8
        .value_kind:     global_buffer
      - .actual_access:  read_only
        .address_space:  global
        .offset:         88
        .size:           8
        .value_kind:     global_buffer
      - .offset:         96
        .size:           16
        .value_kind:     by_value
      - .address_space:  global
        .offset:         112
        .size:           8
        .value_kind:     global_buffer
      - .offset:         120
        .size:           4
        .value_kind:     by_value
      - .offset:         124
        .size:           1
        .value_kind:     by_value
    .group_segment_fixed_size: 0
    .kernarg_segment_align: 8
    .kernarg_segment_size: 128
    .language:       OpenCL C
    .language_version:
      - 2
      - 0
    .max_flat_workgroup_size: 256
    .name:           _ZN9rocsparseL41csrmvn_lrb_medium_rows_warp_reduce_kernelILj256ELj32Eli21rocsparse_complex_numIdES2_S2_S2_EEvbT1_lPT2_S5_jNS_24const_host_device_scalarIT6_EEPKS3_PKS4_PKT3_PKT4_S8_PT5_21rocsparse_index_base_b
    .private_segment_fixed_size: 0
    .sgpr_count:     14
    .sgpr_spill_count: 0
    .symbol:         _ZN9rocsparseL41csrmvn_lrb_medium_rows_warp_reduce_kernelILj256ELj32Eli21rocsparse_complex_numIdES2_S2_S2_EEvbT1_lPT2_S5_jNS_24const_host_device_scalarIT6_EEPKS3_PKS4_PKT3_PKT4_S8_PT5_21rocsparse_index_base_b.kd
    .uniform_work_group_size: 1
    .uses_dynamic_stack: false
    .vgpr_count:     34
    .vgpr_spill_count: 0
    .wavefront_size: 32
  - .args:
      - .offset:         0
        .size:           1
        .value_kind:     by_value
      - .offset:         8
        .size:           8
        .value_kind:     by_value
      - .offset:         16
        .size:           8
        .value_kind:     by_value
      - .actual_access:  read_only
        .address_space:  global
        .offset:         24
        .size:           8
        .value_kind:     global_buffer
      - .actual_access:  read_only
        .address_space:  global
        .offset:         32
        .size:           8
        .value_kind:     global_buffer
      - .offset:         40
        .size:           4
        .value_kind:     by_value
      - .offset:         48
        .size:           16
        .value_kind:     by_value
      - .actual_access:  read_only
        .address_space:  global
        .offset:         64
        .size:           8
        .value_kind:     global_buffer
      - .actual_access:  read_only
        .address_space:  global
        .offset:         72
        .size:           8
        .value_kind:     global_buffer
      - .actual_access:  read_only
        .address_space:  global
        .offset:         80
        .size:           8
        .value_kind:     global_buffer
      - .actual_access:  read_only
        .address_space:  global
        .offset:         88
        .size:           8
        .value_kind:     global_buffer
      - .offset:         96
        .size:           16
        .value_kind:     by_value
      - .address_space:  global
        .offset:         112
        .size:           8
        .value_kind:     global_buffer
      - .offset:         120
        .size:           4
        .value_kind:     by_value
      - .offset:         124
        .size:           1
        .value_kind:     by_value
    .group_segment_fixed_size: 0
    .kernarg_segment_align: 8
    .kernarg_segment_size: 128
    .language:       OpenCL C
    .language_version:
      - 2
      - 0
    .max_flat_workgroup_size: 256
    .name:           _ZN9rocsparseL41csrmvn_lrb_medium_rows_warp_reduce_kernelILj256ELj64Eli21rocsparse_complex_numIdES2_S2_S2_EEvbT1_lPT2_S5_jNS_24const_host_device_scalarIT6_EEPKS3_PKS4_PKT3_PKT4_S8_PT5_21rocsparse_index_base_b
    .private_segment_fixed_size: 0
    .sgpr_count:     14
    .sgpr_spill_count: 0
    .symbol:         _ZN9rocsparseL41csrmvn_lrb_medium_rows_warp_reduce_kernelILj256ELj64Eli21rocsparse_complex_numIdES2_S2_S2_EEvbT1_lPT2_S5_jNS_24const_host_device_scalarIT6_EEPKS3_PKS4_PKT3_PKT4_S8_PT5_21rocsparse_index_base_b.kd
    .uniform_work_group_size: 1
    .uses_dynamic_stack: false
    .vgpr_count:     34
    .vgpr_spill_count: 0
    .wavefront_size: 32
  - .args:
      - .offset:         0
        .size:           1
        .value_kind:     by_value
      - .offset:         8
        .size:           8
        .value_kind:     by_value
      - .actual_access:  read_only
        .address_space:  global
        .offset:         16
        .size:           8
        .value_kind:     global_buffer
      - .actual_access:  read_only
        .address_space:  global
        .offset:         24
        .size:           8
        .value_kind:     global_buffer
      - .offset:         32
        .size:           4
        .value_kind:     by_value
      - .offset:         40
        .size:           16
        .value_kind:     by_value
      - .actual_access:  read_only
        .address_space:  global
        .offset:         56
        .size:           8
        .value_kind:     global_buffer
      - .actual_access:  read_only
        .address_space:  global
        .offset:         64
        .size:           8
        .value_kind:     global_buffer
      - .actual_access:  read_only
        .address_space:  global
        .offset:         72
        .size:           8
        .value_kind:     global_buffer
      - .actual_access:  read_only
        .address_space:  global
        .offset:         80
        .size:           8
        .value_kind:     global_buffer
      - .offset:         88
        .size:           16
        .value_kind:     by_value
      - .address_space:  global
        .offset:         104
        .size:           8
        .value_kind:     global_buffer
      - .offset:         112
        .size:           4
        .value_kind:     by_value
      - .offset:         116
        .size:           1
        .value_kind:     by_value
    .group_segment_fixed_size: 4096
    .kernarg_segment_align: 8
    .kernarg_segment_size: 120
    .language:       OpenCL C
    .language_version:
      - 2
      - 0
    .max_flat_workgroup_size: 256
    .name:           _ZN9rocsparseL29csrmvn_lrb_medium_rows_kernelILj256Eli21rocsparse_complex_numIdES2_S2_S2_EEvbT0_PT1_S5_jNS_24const_host_device_scalarIT5_EEPKS3_PKS4_PKT2_PKT3_S8_PT4_21rocsparse_index_base_b
    .private_segment_fixed_size: 0
    .sgpr_count:     18
    .sgpr_spill_count: 0
    .symbol:         _ZN9rocsparseL29csrmvn_lrb_medium_rows_kernelILj256Eli21rocsparse_complex_numIdES2_S2_S2_EEvbT0_PT1_S5_jNS_24const_host_device_scalarIT5_EEPKS3_PKS4_PKT2_PKT3_S8_PT4_21rocsparse_index_base_b.kd
    .uniform_work_group_size: 1
    .uses_dynamic_stack: false
    .vgpr_count:     30
    .vgpr_spill_count: 0
    .wavefront_size: 32
  - .args:
      - .offset:         0
        .size:           1
        .value_kind:     by_value
      - .offset:         8
        .size:           8
        .value_kind:     by_value
      - .address_space:  global
        .offset:         16
        .size:           8
        .value_kind:     global_buffer
      - .actual_access:  read_only
        .address_space:  global
        .offset:         24
        .size:           8
        .value_kind:     global_buffer
      - .actual_access:  read_only
        .address_space:  global
        .offset:         32
        .size:           8
        .value_kind:     global_buffer
      - .offset:         40
        .size:           4
        .value_kind:     by_value
      - .offset:         48
        .size:           16
        .value_kind:     by_value
      - .actual_access:  read_only
        .address_space:  global
        .offset:         64
        .size:           8
        .value_kind:     global_buffer
      - .actual_access:  read_only
        .address_space:  global
        .offset:         72
        .size:           8
        .value_kind:     global_buffer
      - .actual_access:  read_only
        .address_space:  global
        .offset:         80
        .size:           8
        .value_kind:     global_buffer
      - .actual_access:  read_only
        .address_space:  global
        .offset:         88
        .size:           8
        .value_kind:     global_buffer
      - .offset:         96
        .size:           16
        .value_kind:     by_value
      - .address_space:  global
        .offset:         112
        .size:           8
        .value_kind:     global_buffer
      - .offset:         120
        .size:           4
        .value_kind:     by_value
      - .offset:         124
        .size:           1
        .value_kind:     by_value
    .group_segment_fixed_size: 4096
    .kernarg_segment_align: 8
    .kernarg_segment_size: 128
    .language:       OpenCL C
    .language_version:
      - 2
      - 0
    .max_flat_workgroup_size: 256
    .name:           _ZN9rocsparseL27csrmvn_lrb_long_rows_kernelIli21rocsparse_complex_numIdES2_S2_S2_EEvbT_PjPT0_S6_jNS_24const_host_device_scalarIT4_EEPKS3_PKS5_PKT1_PKT2_S9_PT3_21rocsparse_index_base_b
    .private_segment_fixed_size: 0
    .sgpr_count:     30
    .sgpr_spill_count: 0
    .symbol:         _ZN9rocsparseL27csrmvn_lrb_long_rows_kernelIli21rocsparse_complex_numIdES2_S2_S2_EEvbT_PjPT0_S6_jNS_24const_host_device_scalarIT4_EEPKS3_PKS5_PKT1_PKT2_S9_PT3_21rocsparse_index_base_b.kd
    .uniform_work_group_size: 1
    .uses_dynamic_stack: false
    .vgpr_count:     28
    .vgpr_spill_count: 0
    .wavefront_size: 32
  - .args:
      - .offset:         0
        .size:           1
        .value_kind:     by_value
      - .offset:         8
        .size:           8
        .value_kind:     by_value
      - .actual_access:  read_only
        .address_space:  global
        .offset:         16
        .size:           8
        .value_kind:     global_buffer
      - .actual_access:  read_only
        .address_space:  global
        .offset:         24
        .size:           8
        .value_kind:     global_buffer
      - .offset:         32
        .size:           4
        .value_kind:     by_value
      - .offset:         40
        .size:           16
        .value_kind:     by_value
      - .actual_access:  read_only
        .address_space:  global
        .offset:         56
        .size:           8
        .value_kind:     global_buffer
      - .actual_access:  read_only
        .address_space:  global
        .offset:         64
        .size:           8
        .value_kind:     global_buffer
      - .actual_access:  read_only
        .address_space:  global
        .offset:         72
        .size:           8
        .value_kind:     global_buffer
      - .actual_access:  read_only
        .address_space:  global
        .offset:         80
        .size:           8
        .value_kind:     global_buffer
      - .offset:         88
        .size:           16
        .value_kind:     by_value
      - .address_space:  global
        .offset:         104
        .size:           8
        .value_kind:     global_buffer
      - .offset:         112
        .size:           4
        .value_kind:     by_value
      - .offset:         116
        .size:           1
        .value_kind:     by_value
    .group_segment_fixed_size: 0
    .kernarg_segment_align: 8
    .kernarg_segment_size: 120
    .language:       OpenCL C
    .language_version:
      - 2
      - 0
    .max_flat_workgroup_size: 256
    .name:           _ZN9rocsparseL28csrmvn_lrb_short_rows_kernelIll21rocsparse_complex_numIdES2_S2_S2_EEvbT_PT0_S5_jNS_24const_host_device_scalarIT4_EEPKS3_PKS4_PKT1_PKT2_S8_PT3_21rocsparse_index_base_b
    .private_segment_fixed_size: 0
    .sgpr_count:     28
    .sgpr_spill_count: 0
    .symbol:         _ZN9rocsparseL28csrmvn_lrb_short_rows_kernelIll21rocsparse_complex_numIdES2_S2_S2_EEvbT_PT0_S5_jNS_24const_host_device_scalarIT4_EEPKS3_PKS4_PKT1_PKT2_S8_PT3_21rocsparse_index_base_b.kd
    .uniform_work_group_size: 1
    .uses_dynamic_stack: false
    .vgpr_count:     26
    .vgpr_spill_count: 0
    .wavefront_size: 32
  - .args:
      - .offset:         0
        .size:           1
        .value_kind:     by_value
      - .offset:         8
        .size:           8
        .value_kind:     by_value
      - .actual_access:  read_only
        .address_space:  global
        .offset:         16
        .size:           8
        .value_kind:     global_buffer
      - .actual_access:  read_only
        .address_space:  global
        .offset:         24
        .size:           8
        .value_kind:     global_buffer
      - .offset:         32
        .size:           4
        .value_kind:     by_value
      - .offset:         40
        .size:           16
        .value_kind:     by_value
      - .actual_access:  read_only
        .address_space:  global
        .offset:         56
        .size:           8
        .value_kind:     global_buffer
      - .actual_access:  read_only
        .address_space:  global
        .offset:         64
        .size:           8
        .value_kind:     global_buffer
      - .actual_access:  read_only
        .address_space:  global
        .offset:         72
        .size:           8
        .value_kind:     global_buffer
      - .actual_access:  read_only
        .address_space:  global
        .offset:         80
        .size:           8
        .value_kind:     global_buffer
      - .offset:         88
        .size:           16
        .value_kind:     by_value
      - .address_space:  global
        .offset:         104
        .size:           8
        .value_kind:     global_buffer
      - .offset:         112
        .size:           4
        .value_kind:     by_value
      - .offset:         116
        .size:           1
        .value_kind:     by_value
    .group_segment_fixed_size: 16384
    .kernarg_segment_align: 8
    .kernarg_segment_size: 120
    .language:       OpenCL C
    .language_version:
      - 2
      - 0
    .max_flat_workgroup_size: 256
    .name:           _ZN9rocsparseL30csrmvn_lrb_short_rows_2_kernelIll21rocsparse_complex_numIdES2_S2_S2_EEvbT_PT0_S5_jNS_24const_host_device_scalarIT4_EEPKS3_PKS4_PKT1_PKT2_S8_PT3_21rocsparse_index_base_b
    .private_segment_fixed_size: 0
    .sgpr_count:     26
    .sgpr_spill_count: 0
    .symbol:         _ZN9rocsparseL30csrmvn_lrb_short_rows_2_kernelIll21rocsparse_complex_numIdES2_S2_S2_EEvbT_PT0_S5_jNS_24const_host_device_scalarIT4_EEPKS3_PKS4_PKT1_PKT2_S8_PT3_21rocsparse_index_base_b.kd
    .uniform_work_group_size: 1
    .uses_dynamic_stack: false
    .vgpr_count:     24
    .vgpr_spill_count: 0
    .wavefront_size: 32
  - .args:
      - .offset:         0
        .size:           1
        .value_kind:     by_value
      - .offset:         8
        .size:           8
        .value_kind:     by_value
      - .offset:         16
        .size:           8
        .value_kind:     by_value
      - .actual_access:  read_only
        .address_space:  global
        .offset:         24
        .size:           8
        .value_kind:     global_buffer
      - .actual_access:  read_only
        .address_space:  global
        .offset:         32
        .size:           8
        .value_kind:     global_buffer
      - .offset:         40
        .size:           4
        .value_kind:     by_value
      - .offset:         48
        .size:           16
        .value_kind:     by_value
      - .actual_access:  read_only
        .address_space:  global
        .offset:         64
        .size:           8
        .value_kind:     global_buffer
      - .actual_access:  read_only
        .address_space:  global
        .offset:         72
        .size:           8
        .value_kind:     global_buffer
      - .actual_access:  read_only
        .address_space:  global
        .offset:         80
        .size:           8
        .value_kind:     global_buffer
      - .actual_access:  read_only
        .address_space:  global
        .offset:         88
        .size:           8
        .value_kind:     global_buffer
      - .offset:         96
        .size:           16
        .value_kind:     by_value
      - .address_space:  global
        .offset:         112
        .size:           8
        .value_kind:     global_buffer
      - .offset:         120
        .size:           4
        .value_kind:     by_value
      - .offset:         124
        .size:           1
        .value_kind:     by_value
    .group_segment_fixed_size: 0
    .kernarg_segment_align: 8
    .kernarg_segment_size: 128
    .language:       OpenCL C
    .language_version:
      - 2
      - 0
    .max_flat_workgroup_size: 256
    .name:           _ZN9rocsparseL41csrmvn_lrb_medium_rows_warp_reduce_kernelILj256ELj32Ell21rocsparse_complex_numIdES2_S2_S2_EEvbT1_lPT2_S5_jNS_24const_host_device_scalarIT6_EEPKS3_PKS4_PKT3_PKT4_S8_PT5_21rocsparse_index_base_b
    .private_segment_fixed_size: 0
    .sgpr_count:     14
    .sgpr_spill_count: 0
    .symbol:         _ZN9rocsparseL41csrmvn_lrb_medium_rows_warp_reduce_kernelILj256ELj32Ell21rocsparse_complex_numIdES2_S2_S2_EEvbT1_lPT2_S5_jNS_24const_host_device_scalarIT6_EEPKS3_PKS4_PKT3_PKT4_S8_PT5_21rocsparse_index_base_b.kd
    .uniform_work_group_size: 1
    .uses_dynamic_stack: false
    .vgpr_count:     34
    .vgpr_spill_count: 0
    .wavefront_size: 32
  - .args:
      - .offset:         0
        .size:           1
        .value_kind:     by_value
      - .offset:         8
        .size:           8
        .value_kind:     by_value
      - .offset:         16
        .size:           8
        .value_kind:     by_value
      - .actual_access:  read_only
        .address_space:  global
        .offset:         24
        .size:           8
        .value_kind:     global_buffer
      - .actual_access:  read_only
        .address_space:  global
        .offset:         32
        .size:           8
        .value_kind:     global_buffer
      - .offset:         40
        .size:           4
        .value_kind:     by_value
      - .offset:         48
        .size:           16
        .value_kind:     by_value
      - .actual_access:  read_only
        .address_space:  global
        .offset:         64
        .size:           8
        .value_kind:     global_buffer
      - .actual_access:  read_only
        .address_space:  global
        .offset:         72
        .size:           8
        .value_kind:     global_buffer
      - .actual_access:  read_only
        .address_space:  global
        .offset:         80
        .size:           8
        .value_kind:     global_buffer
      - .actual_access:  read_only
        .address_space:  global
        .offset:         88
        .size:           8
        .value_kind:     global_buffer
      - .offset:         96
        .size:           16
        .value_kind:     by_value
      - .address_space:  global
        .offset:         112
        .size:           8
        .value_kind:     global_buffer
      - .offset:         120
        .size:           4
        .value_kind:     by_value
      - .offset:         124
        .size:           1
        .value_kind:     by_value
    .group_segment_fixed_size: 0
    .kernarg_segment_align: 8
    .kernarg_segment_size: 128
    .language:       OpenCL C
    .language_version:
      - 2
      - 0
    .max_flat_workgroup_size: 256
    .name:           _ZN9rocsparseL41csrmvn_lrb_medium_rows_warp_reduce_kernelILj256ELj64Ell21rocsparse_complex_numIdES2_S2_S2_EEvbT1_lPT2_S5_jNS_24const_host_device_scalarIT6_EEPKS3_PKS4_PKT3_PKT4_S8_PT5_21rocsparse_index_base_b
    .private_segment_fixed_size: 0
    .sgpr_count:     14
    .sgpr_spill_count: 0
    .symbol:         _ZN9rocsparseL41csrmvn_lrb_medium_rows_warp_reduce_kernelILj256ELj64Ell21rocsparse_complex_numIdES2_S2_S2_EEvbT1_lPT2_S5_jNS_24const_host_device_scalarIT6_EEPKS3_PKS4_PKT3_PKT4_S8_PT5_21rocsparse_index_base_b.kd
    .uniform_work_group_size: 1
    .uses_dynamic_stack: false
    .vgpr_count:     34
    .vgpr_spill_count: 0
    .wavefront_size: 32
  - .args:
      - .offset:         0
        .size:           1
        .value_kind:     by_value
      - .offset:         8
        .size:           8
        .value_kind:     by_value
      - .actual_access:  read_only
        .address_space:  global
        .offset:         16
        .size:           8
        .value_kind:     global_buffer
      - .actual_access:  read_only
        .address_space:  global
        .offset:         24
        .size:           8
        .value_kind:     global_buffer
      - .offset:         32
        .size:           4
        .value_kind:     by_value
      - .offset:         40
        .size:           16
        .value_kind:     by_value
      - .actual_access:  read_only
        .address_space:  global
        .offset:         56
        .size:           8
        .value_kind:     global_buffer
      - .actual_access:  read_only
        .address_space:  global
        .offset:         64
        .size:           8
        .value_kind:     global_buffer
      - .actual_access:  read_only
        .address_space:  global
        .offset:         72
        .size:           8
        .value_kind:     global_buffer
      - .actual_access:  read_only
        .address_space:  global
        .offset:         80
        .size:           8
        .value_kind:     global_buffer
      - .offset:         88
        .size:           16
        .value_kind:     by_value
      - .address_space:  global
        .offset:         104
        .size:           8
        .value_kind:     global_buffer
      - .offset:         112
        .size:           4
        .value_kind:     by_value
      - .offset:         116
        .size:           1
        .value_kind:     by_value
    .group_segment_fixed_size: 4096
    .kernarg_segment_align: 8
    .kernarg_segment_size: 120
    .language:       OpenCL C
    .language_version:
      - 2
      - 0
    .max_flat_workgroup_size: 256
    .name:           _ZN9rocsparseL29csrmvn_lrb_medium_rows_kernelILj256Ell21rocsparse_complex_numIdES2_S2_S2_EEvbT0_PT1_S5_jNS_24const_host_device_scalarIT5_EEPKS3_PKS4_PKT2_PKT3_S8_PT4_21rocsparse_index_base_b
    .private_segment_fixed_size: 0
    .sgpr_count:     18
    .sgpr_spill_count: 0
    .symbol:         _ZN9rocsparseL29csrmvn_lrb_medium_rows_kernelILj256Ell21rocsparse_complex_numIdES2_S2_S2_EEvbT0_PT1_S5_jNS_24const_host_device_scalarIT5_EEPKS3_PKS4_PKT2_PKT3_S8_PT4_21rocsparse_index_base_b.kd
    .uniform_work_group_size: 1
    .uses_dynamic_stack: false
    .vgpr_count:     30
    .vgpr_spill_count: 0
    .wavefront_size: 32
  - .args:
      - .offset:         0
        .size:           1
        .value_kind:     by_value
      - .offset:         8
        .size:           8
        .value_kind:     by_value
      - .address_space:  global
        .offset:         16
        .size:           8
        .value_kind:     global_buffer
      - .actual_access:  read_only
        .address_space:  global
        .offset:         24
        .size:           8
        .value_kind:     global_buffer
      - .actual_access:  read_only
        .address_space:  global
        .offset:         32
        .size:           8
        .value_kind:     global_buffer
      - .offset:         40
        .size:           4
        .value_kind:     by_value
      - .offset:         48
        .size:           16
        .value_kind:     by_value
      - .actual_access:  read_only
        .address_space:  global
        .offset:         64
        .size:           8
        .value_kind:     global_buffer
      - .actual_access:  read_only
        .address_space:  global
        .offset:         72
        .size:           8
        .value_kind:     global_buffer
      - .actual_access:  read_only
        .address_space:  global
        .offset:         80
        .size:           8
        .value_kind:     global_buffer
      - .actual_access:  read_only
        .address_space:  global
        .offset:         88
        .size:           8
        .value_kind:     global_buffer
      - .offset:         96
        .size:           16
        .value_kind:     by_value
      - .address_space:  global
        .offset:         112
        .size:           8
        .value_kind:     global_buffer
      - .offset:         120
        .size:           4
        .value_kind:     by_value
      - .offset:         124
        .size:           1
        .value_kind:     by_value
    .group_segment_fixed_size: 4096
    .kernarg_segment_align: 8
    .kernarg_segment_size: 128
    .language:       OpenCL C
    .language_version:
      - 2
      - 0
    .max_flat_workgroup_size: 256
    .name:           _ZN9rocsparseL27csrmvn_lrb_long_rows_kernelIll21rocsparse_complex_numIdES2_S2_S2_EEvbT_PjPT0_S6_jNS_24const_host_device_scalarIT4_EEPKS3_PKS5_PKT1_PKT2_S9_PT3_21rocsparse_index_base_b
    .private_segment_fixed_size: 0
    .sgpr_count:     32
    .sgpr_spill_count: 0
    .symbol:         _ZN9rocsparseL27csrmvn_lrb_long_rows_kernelIll21rocsparse_complex_numIdES2_S2_S2_EEvbT_PjPT0_S6_jNS_24const_host_device_scalarIT4_EEPKS3_PKS5_PKT1_PKT2_S9_PT3_21rocsparse_index_base_b.kd
    .uniform_work_group_size: 1
    .uses_dynamic_stack: false
    .vgpr_count:     28
    .vgpr_spill_count: 0
    .wavefront_size: 32
  - .args:
      - .offset:         0
        .size:           1
        .value_kind:     by_value
      - .offset:         4
        .size:           4
        .value_kind:     by_value
      - .actual_access:  read_only
        .address_space:  global
        .offset:         8
        .size:           8
        .value_kind:     global_buffer
      - .actual_access:  read_only
        .address_space:  global
        .offset:         16
        .size:           8
        .value_kind:     global_buffer
      - .offset:         24
        .size:           4
        .value_kind:     by_value
      - .offset:         32
        .size:           8
        .value_kind:     by_value
      - .actual_access:  read_only
        .address_space:  global
        .offset:         40
        .size:           8
        .value_kind:     global_buffer
      - .actual_access:  read_only
        .address_space:  global
        .offset:         48
        .size:           8
        .value_kind:     global_buffer
      - .actual_access:  read_only
        .address_space:  global
        .offset:         56
        .size:           8
        .value_kind:     global_buffer
      - .actual_access:  read_only
        .address_space:  global
        .offset:         64
        .size:           8
        .value_kind:     global_buffer
      - .offset:         72
        .size:           8
        .value_kind:     by_value
      - .address_space:  global
        .offset:         80
        .size:           8
        .value_kind:     global_buffer
      - .offset:         88
        .size:           4
        .value_kind:     by_value
      - .offset:         92
        .size:           1
        .value_kind:     by_value
    .group_segment_fixed_size: 0
    .kernarg_segment_align: 8
    .kernarg_segment_size: 96
    .language:       OpenCL C
    .language_version:
      - 2
      - 0
    .max_flat_workgroup_size: 256
    .name:           _ZN9rocsparseL28csrmvn_lrb_short_rows_kernelIiiaaiiEEvbT_PT0_S3_jNS_24const_host_device_scalarIT4_EEPKS1_PKS2_PKT1_PKT2_S6_PT3_21rocsparse_index_base_b
    .private_segment_fixed_size: 0
    .sgpr_count:     25
    .sgpr_spill_count: 0
    .symbol:         _ZN9rocsparseL28csrmvn_lrb_short_rows_kernelIiiaaiiEEvbT_PT0_S3_jNS_24const_host_device_scalarIT4_EEPKS1_PKS2_PKT1_PKT2_S6_PT3_21rocsparse_index_base_b.kd
    .uniform_work_group_size: 1
    .uses_dynamic_stack: false
    .vgpr_count:     7
    .vgpr_spill_count: 0
    .wavefront_size: 32
  - .args:
      - .offset:         0
        .size:           1
        .value_kind:     by_value
      - .offset:         4
        .size:           4
        .value_kind:     by_value
      - .actual_access:  read_only
        .address_space:  global
        .offset:         8
        .size:           8
        .value_kind:     global_buffer
      - .actual_access:  read_only
        .address_space:  global
        .offset:         16
        .size:           8
        .value_kind:     global_buffer
      - .offset:         24
        .size:           4
        .value_kind:     by_value
      - .offset:         32
        .size:           8
        .value_kind:     by_value
      - .actual_access:  read_only
        .address_space:  global
        .offset:         40
        .size:           8
        .value_kind:     global_buffer
      - .actual_access:  read_only
        .address_space:  global
        .offset:         48
        .size:           8
        .value_kind:     global_buffer
      - .actual_access:  read_only
        .address_space:  global
        .offset:         56
        .size:           8
        .value_kind:     global_buffer
      - .actual_access:  read_only
        .address_space:  global
        .offset:         64
        .size:           8
        .value_kind:     global_buffer
      - .offset:         72
        .size:           8
        .value_kind:     by_value
      - .address_space:  global
        .offset:         80
        .size:           8
        .value_kind:     global_buffer
      - .offset:         88
        .size:           4
        .value_kind:     by_value
      - .offset:         92
        .size:           1
        .value_kind:     by_value
    .group_segment_fixed_size: 4096
    .kernarg_segment_align: 8
    .kernarg_segment_size: 96
    .language:       OpenCL C
    .language_version:
      - 2
      - 0
    .max_flat_workgroup_size: 256
    .name:           _ZN9rocsparseL30csrmvn_lrb_short_rows_2_kernelIiiaaiiEEvbT_PT0_S3_jNS_24const_host_device_scalarIT4_EEPKS1_PKS2_PKT1_PKT2_S6_PT3_21rocsparse_index_base_b
    .private_segment_fixed_size: 0
    .sgpr_count:     24
    .sgpr_spill_count: 0
    .symbol:         _ZN9rocsparseL30csrmvn_lrb_short_rows_2_kernelIiiaaiiEEvbT_PT0_S3_jNS_24const_host_device_scalarIT4_EEPKS1_PKS2_PKT1_PKT2_S6_PT3_21rocsparse_index_base_b.kd
    .uniform_work_group_size: 1
    .uses_dynamic_stack: false
    .vgpr_count:     6
    .vgpr_spill_count: 0
    .wavefront_size: 32
  - .args:
      - .offset:         0
        .size:           1
        .value_kind:     by_value
      - .offset:         4
        .size:           4
        .value_kind:     by_value
      - .offset:         8
        .size:           8
        .value_kind:     by_value
      - .actual_access:  read_only
        .address_space:  global
        .offset:         16
        .size:           8
        .value_kind:     global_buffer
      - .actual_access:  read_only
        .address_space:  global
        .offset:         24
        .size:           8
        .value_kind:     global_buffer
      - .offset:         32
        .size:           4
        .value_kind:     by_value
      - .offset:         40
        .size:           8
        .value_kind:     by_value
      - .actual_access:  read_only
        .address_space:  global
        .offset:         48
        .size:           8
        .value_kind:     global_buffer
      - .actual_access:  read_only
        .address_space:  global
        .offset:         56
        .size:           8
        .value_kind:     global_buffer
      - .actual_access:  read_only
        .address_space:  global
        .offset:         64
        .size:           8
        .value_kind:     global_buffer
      - .actual_access:  read_only
        .address_space:  global
        .offset:         72
        .size:           8
        .value_kind:     global_buffer
      - .offset:         80
        .size:           8
        .value_kind:     by_value
      - .address_space:  global
        .offset:         88
        .size:           8
        .value_kind:     global_buffer
      - .offset:         96
        .size:           4
        .value_kind:     by_value
      - .offset:         100
        .size:           1
        .value_kind:     by_value
    .group_segment_fixed_size: 0
    .kernarg_segment_align: 8
    .kernarg_segment_size: 104
    .language:       OpenCL C
    .language_version:
      - 2
      - 0
    .max_flat_workgroup_size: 256
    .name:           _ZN9rocsparseL41csrmvn_lrb_medium_rows_warp_reduce_kernelILj256ELj32EiiaaiiEEvbT1_lPT2_S3_jNS_24const_host_device_scalarIT6_EEPKS1_PKS2_PKT3_PKT4_S6_PT5_21rocsparse_index_base_b
    .private_segment_fixed_size: 0
    .sgpr_count:     20
    .sgpr_spill_count: 0
    .symbol:         _ZN9rocsparseL41csrmvn_lrb_medium_rows_warp_reduce_kernelILj256ELj32EiiaaiiEEvbT1_lPT2_S3_jNS_24const_host_device_scalarIT6_EEPKS1_PKS2_PKT3_PKT4_S6_PT5_21rocsparse_index_base_b.kd
    .uniform_work_group_size: 1
    .uses_dynamic_stack: false
    .vgpr_count:     18
    .vgpr_spill_count: 0
    .wavefront_size: 32
  - .args:
      - .offset:         0
        .size:           1
        .value_kind:     by_value
      - .offset:         4
        .size:           4
        .value_kind:     by_value
      - .offset:         8
        .size:           8
        .value_kind:     by_value
      - .actual_access:  read_only
        .address_space:  global
        .offset:         16
        .size:           8
        .value_kind:     global_buffer
      - .actual_access:  read_only
        .address_space:  global
        .offset:         24
        .size:           8
        .value_kind:     global_buffer
      - .offset:         32
        .size:           4
        .value_kind:     by_value
      - .offset:         40
        .size:           8
        .value_kind:     by_value
      - .actual_access:  read_only
        .address_space:  global
        .offset:         48
        .size:           8
        .value_kind:     global_buffer
      - .actual_access:  read_only
        .address_space:  global
        .offset:         56
        .size:           8
        .value_kind:     global_buffer
      - .actual_access:  read_only
        .address_space:  global
        .offset:         64
        .size:           8
        .value_kind:     global_buffer
      - .actual_access:  read_only
        .address_space:  global
        .offset:         72
        .size:           8
        .value_kind:     global_buffer
      - .offset:         80
        .size:           8
        .value_kind:     by_value
      - .address_space:  global
        .offset:         88
        .size:           8
        .value_kind:     global_buffer
      - .offset:         96
        .size:           4
        .value_kind:     by_value
      - .offset:         100
        .size:           1
        .value_kind:     by_value
    .group_segment_fixed_size: 0
    .kernarg_segment_align: 8
    .kernarg_segment_size: 104
    .language:       OpenCL C
    .language_version:
      - 2
      - 0
    .max_flat_workgroup_size: 256
    .name:           _ZN9rocsparseL41csrmvn_lrb_medium_rows_warp_reduce_kernelILj256ELj64EiiaaiiEEvbT1_lPT2_S3_jNS_24const_host_device_scalarIT6_EEPKS1_PKS2_PKT3_PKT4_S6_PT5_21rocsparse_index_base_b
    .private_segment_fixed_size: 0
    .sgpr_count:     20
    .sgpr_spill_count: 0
    .symbol:         _ZN9rocsparseL41csrmvn_lrb_medium_rows_warp_reduce_kernelILj256ELj64EiiaaiiEEvbT1_lPT2_S3_jNS_24const_host_device_scalarIT6_EEPKS1_PKS2_PKT3_PKT4_S6_PT5_21rocsparse_index_base_b.kd
    .uniform_work_group_size: 1
    .uses_dynamic_stack: false
    .vgpr_count:     18
    .vgpr_spill_count: 0
    .wavefront_size: 32
  - .args:
      - .offset:         0
        .size:           1
        .value_kind:     by_value
      - .offset:         4
        .size:           4
        .value_kind:     by_value
      - .actual_access:  read_only
        .address_space:  global
        .offset:         8
        .size:           8
        .value_kind:     global_buffer
      - .actual_access:  read_only
        .address_space:  global
        .offset:         16
        .size:           8
        .value_kind:     global_buffer
      - .offset:         24
        .size:           4
        .value_kind:     by_value
      - .offset:         32
        .size:           8
        .value_kind:     by_value
      - .actual_access:  read_only
        .address_space:  global
        .offset:         40
        .size:           8
        .value_kind:     global_buffer
      - .actual_access:  read_only
        .address_space:  global
        .offset:         48
        .size:           8
        .value_kind:     global_buffer
      - .actual_access:  read_only
        .address_space:  global
        .offset:         56
        .size:           8
        .value_kind:     global_buffer
      - .actual_access:  read_only
        .address_space:  global
        .offset:         64
        .size:           8
        .value_kind:     global_buffer
      - .offset:         72
        .size:           8
        .value_kind:     by_value
      - .address_space:  global
        .offset:         80
        .size:           8
        .value_kind:     global_buffer
      - .offset:         88
        .size:           4
        .value_kind:     by_value
      - .offset:         92
        .size:           1
        .value_kind:     by_value
    .group_segment_fixed_size: 1024
    .kernarg_segment_align: 8
    .kernarg_segment_size: 96
    .language:       OpenCL C
    .language_version:
      - 2
      - 0
    .max_flat_workgroup_size: 256
    .name:           _ZN9rocsparseL29csrmvn_lrb_medium_rows_kernelILj256EiiaaiiEEvbT0_PT1_S3_jNS_24const_host_device_scalarIT5_EEPKS1_PKS2_PKT2_PKT3_S6_PT4_21rocsparse_index_base_b
    .private_segment_fixed_size: 0
    .sgpr_count:     23
    .sgpr_spill_count: 0
    .symbol:         _ZN9rocsparseL29csrmvn_lrb_medium_rows_kernelILj256EiiaaiiEEvbT0_PT1_S3_jNS_24const_host_device_scalarIT5_EEPKS1_PKS2_PKT2_PKT3_S6_PT4_21rocsparse_index_base_b.kd
    .uniform_work_group_size: 1
    .uses_dynamic_stack: false
    .vgpr_count:     15
    .vgpr_spill_count: 0
    .wavefront_size: 32
  - .args:
      - .offset:         0
        .size:           1
        .value_kind:     by_value
      - .offset:         4
        .size:           4
        .value_kind:     by_value
      - .address_space:  global
        .offset:         8
        .size:           8
        .value_kind:     global_buffer
      - .actual_access:  read_only
        .address_space:  global
        .offset:         16
        .size:           8
        .value_kind:     global_buffer
      - .actual_access:  read_only
        .address_space:  global
        .offset:         24
        .size:           8
        .value_kind:     global_buffer
      - .offset:         32
        .size:           4
        .value_kind:     by_value
      - .offset:         40
        .size:           8
        .value_kind:     by_value
      - .actual_access:  read_only
        .address_space:  global
        .offset:         48
        .size:           8
        .value_kind:     global_buffer
      - .actual_access:  read_only
        .address_space:  global
        .offset:         56
        .size:           8
        .value_kind:     global_buffer
      - .actual_access:  read_only
        .address_space:  global
        .offset:         64
        .size:           8
        .value_kind:     global_buffer
      - .actual_access:  read_only
        .address_space:  global
        .offset:         72
        .size:           8
        .value_kind:     global_buffer
      - .offset:         80
        .size:           8
        .value_kind:     by_value
      - .address_space:  global
        .offset:         88
        .size:           8
        .value_kind:     global_buffer
      - .offset:         96
        .size:           4
        .value_kind:     by_value
      - .offset:         100
        .size:           1
        .value_kind:     by_value
    .group_segment_fixed_size: 1024
    .kernarg_segment_align: 8
    .kernarg_segment_size: 104
    .language:       OpenCL C
    .language_version:
      - 2
      - 0
    .max_flat_workgroup_size: 256
    .name:           _ZN9rocsparseL27csrmvn_lrb_long_rows_kernelIiiaaiiEEvbT_PjPT0_S4_jNS_24const_host_device_scalarIT4_EEPKS1_PKS3_PKT1_PKT2_S7_PT3_21rocsparse_index_base_b
    .private_segment_fixed_size: 0
    .sgpr_count:     29
    .sgpr_spill_count: 0
    .symbol:         _ZN9rocsparseL27csrmvn_lrb_long_rows_kernelIiiaaiiEEvbT_PjPT0_S4_jNS_24const_host_device_scalarIT4_EEPKS1_PKS3_PKT1_PKT2_S7_PT3_21rocsparse_index_base_b.kd
    .uniform_work_group_size: 1
    .uses_dynamic_stack: false
    .vgpr_count:     15
    .vgpr_spill_count: 0
    .wavefront_size: 32
  - .args:
      - .offset:         0
        .size:           1
        .value_kind:     by_value
      - .offset:         8
        .size:           8
        .value_kind:     by_value
      - .actual_access:  read_only
        .address_space:  global
        .offset:         16
        .size:           8
        .value_kind:     global_buffer
      - .actual_access:  read_only
        .address_space:  global
        .offset:         24
        .size:           8
        .value_kind:     global_buffer
      - .offset:         32
        .size:           4
        .value_kind:     by_value
      - .offset:         40
        .size:           8
        .value_kind:     by_value
      - .actual_access:  read_only
        .address_space:  global
        .offset:         48
        .size:           8
        .value_kind:     global_buffer
      - .actual_access:  read_only
        .address_space:  global
        .offset:         56
        .size:           8
        .value_kind:     global_buffer
      - .actual_access:  read_only
        .address_space:  global
        .offset:         64
        .size:           8
        .value_kind:     global_buffer
      - .actual_access:  read_only
        .address_space:  global
        .offset:         72
        .size:           8
        .value_kind:     global_buffer
      - .offset:         80
        .size:           8
        .value_kind:     by_value
      - .address_space:  global
        .offset:         88
        .size:           8
        .value_kind:     global_buffer
      - .offset:         96
        .size:           4
        .value_kind:     by_value
      - .offset:         100
        .size:           1
        .value_kind:     by_value
    .group_segment_fixed_size: 0
    .kernarg_segment_align: 8
    .kernarg_segment_size: 104
    .language:       OpenCL C
    .language_version:
      - 2
      - 0
    .max_flat_workgroup_size: 256
    .name:           _ZN9rocsparseL28csrmvn_lrb_short_rows_kernelIliaaiiEEvbT_PT0_S3_jNS_24const_host_device_scalarIT4_EEPKS1_PKS2_PKT1_PKT2_S6_PT3_21rocsparse_index_base_b
    .private_segment_fixed_size: 0
    .sgpr_count:     26
    .sgpr_spill_count: 0
    .symbol:         _ZN9rocsparseL28csrmvn_lrb_short_rows_kernelIliaaiiEEvbT_PT0_S3_jNS_24const_host_device_scalarIT4_EEPKS1_PKS2_PKT1_PKT2_S6_PT3_21rocsparse_index_base_b.kd
    .uniform_work_group_size: 1
    .uses_dynamic_stack: false
    .vgpr_count:     8
    .vgpr_spill_count: 0
    .wavefront_size: 32
  - .args:
      - .offset:         0
        .size:           1
        .value_kind:     by_value
      - .offset:         8
        .size:           8
        .value_kind:     by_value
      - .actual_access:  read_only
        .address_space:  global
        .offset:         16
        .size:           8
        .value_kind:     global_buffer
      - .actual_access:  read_only
        .address_space:  global
        .offset:         24
        .size:           8
        .value_kind:     global_buffer
      - .offset:         32
        .size:           4
        .value_kind:     by_value
      - .offset:         40
        .size:           8
        .value_kind:     by_value
      - .actual_access:  read_only
        .address_space:  global
        .offset:         48
        .size:           8
        .value_kind:     global_buffer
      - .actual_access:  read_only
        .address_space:  global
        .offset:         56
        .size:           8
        .value_kind:     global_buffer
      - .actual_access:  read_only
        .address_space:  global
        .offset:         64
        .size:           8
        .value_kind:     global_buffer
      - .actual_access:  read_only
        .address_space:  global
        .offset:         72
        .size:           8
        .value_kind:     global_buffer
      - .offset:         80
        .size:           8
        .value_kind:     by_value
      - .address_space:  global
        .offset:         88
        .size:           8
        .value_kind:     global_buffer
      - .offset:         96
        .size:           4
        .value_kind:     by_value
      - .offset:         100
        .size:           1
        .value_kind:     by_value
    .group_segment_fixed_size: 4096
    .kernarg_segment_align: 8
    .kernarg_segment_size: 104
    .language:       OpenCL C
    .language_version:
      - 2
      - 0
    .max_flat_workgroup_size: 256
    .name:           _ZN9rocsparseL30csrmvn_lrb_short_rows_2_kernelIliaaiiEEvbT_PT0_S3_jNS_24const_host_device_scalarIT4_EEPKS1_PKS2_PKT1_PKT2_S6_PT3_21rocsparse_index_base_b
    .private_segment_fixed_size: 0
    .sgpr_count:     25
    .sgpr_spill_count: 0
    .symbol:         _ZN9rocsparseL30csrmvn_lrb_short_rows_2_kernelIliaaiiEEvbT_PT0_S3_jNS_24const_host_device_scalarIT4_EEPKS1_PKS2_PKT1_PKT2_S6_PT3_21rocsparse_index_base_b.kd
    .uniform_work_group_size: 1
    .uses_dynamic_stack: false
    .vgpr_count:     8
    .vgpr_spill_count: 0
    .wavefront_size: 32
  - .args:
      - .offset:         0
        .size:           1
        .value_kind:     by_value
      - .offset:         8
        .size:           8
        .value_kind:     by_value
      - .offset:         16
        .size:           8
        .value_kind:     by_value
      - .actual_access:  read_only
        .address_space:  global
        .offset:         24
        .size:           8
        .value_kind:     global_buffer
      - .actual_access:  read_only
        .address_space:  global
        .offset:         32
        .size:           8
        .value_kind:     global_buffer
      - .offset:         40
        .size:           4
        .value_kind:     by_value
      - .offset:         48
        .size:           8
        .value_kind:     by_value
      - .actual_access:  read_only
        .address_space:  global
        .offset:         56
        .size:           8
        .value_kind:     global_buffer
      - .actual_access:  read_only
        .address_space:  global
        .offset:         64
        .size:           8
        .value_kind:     global_buffer
      - .actual_access:  read_only
        .address_space:  global
        .offset:         72
        .size:           8
        .value_kind:     global_buffer
      - .actual_access:  read_only
        .address_space:  global
        .offset:         80
        .size:           8
        .value_kind:     global_buffer
      - .offset:         88
        .size:           8
        .value_kind:     by_value
      - .address_space:  global
        .offset:         96
        .size:           8
        .value_kind:     global_buffer
      - .offset:         104
        .size:           4
        .value_kind:     by_value
      - .offset:         108
        .size:           1
        .value_kind:     by_value
    .group_segment_fixed_size: 0
    .kernarg_segment_align: 8
    .kernarg_segment_size: 112
    .language:       OpenCL C
    .language_version:
      - 2
      - 0
    .max_flat_workgroup_size: 256
    .name:           _ZN9rocsparseL41csrmvn_lrb_medium_rows_warp_reduce_kernelILj256ELj32EliaaiiEEvbT1_lPT2_S3_jNS_24const_host_device_scalarIT6_EEPKS1_PKS2_PKT3_PKT4_S6_PT5_21rocsparse_index_base_b
    .private_segment_fixed_size: 0
    .sgpr_count:     18
    .sgpr_spill_count: 0
    .symbol:         _ZN9rocsparseL41csrmvn_lrb_medium_rows_warp_reduce_kernelILj256ELj32EliaaiiEEvbT1_lPT2_S3_jNS_24const_host_device_scalarIT6_EEPKS1_PKS2_PKT3_PKT4_S6_PT5_21rocsparse_index_base_b.kd
    .uniform_work_group_size: 1
    .uses_dynamic_stack: false
    .vgpr_count:     25
    .vgpr_spill_count: 0
    .wavefront_size: 32
  - .args:
      - .offset:         0
        .size:           1
        .value_kind:     by_value
      - .offset:         8
        .size:           8
        .value_kind:     by_value
      - .offset:         16
        .size:           8
        .value_kind:     by_value
      - .actual_access:  read_only
        .address_space:  global
        .offset:         24
        .size:           8
        .value_kind:     global_buffer
      - .actual_access:  read_only
        .address_space:  global
        .offset:         32
        .size:           8
        .value_kind:     global_buffer
      - .offset:         40
        .size:           4
        .value_kind:     by_value
      - .offset:         48
        .size:           8
        .value_kind:     by_value
      - .actual_access:  read_only
        .address_space:  global
        .offset:         56
        .size:           8
        .value_kind:     global_buffer
      - .actual_access:  read_only
        .address_space:  global
        .offset:         64
        .size:           8
        .value_kind:     global_buffer
      - .actual_access:  read_only
        .address_space:  global
        .offset:         72
        .size:           8
        .value_kind:     global_buffer
      - .actual_access:  read_only
        .address_space:  global
        .offset:         80
        .size:           8
        .value_kind:     global_buffer
      - .offset:         88
        .size:           8
        .value_kind:     by_value
      - .address_space:  global
        .offset:         96
        .size:           8
        .value_kind:     global_buffer
      - .offset:         104
        .size:           4
        .value_kind:     by_value
      - .offset:         108
        .size:           1
        .value_kind:     by_value
    .group_segment_fixed_size: 0
    .kernarg_segment_align: 8
    .kernarg_segment_size: 112
    .language:       OpenCL C
    .language_version:
      - 2
      - 0
    .max_flat_workgroup_size: 256
    .name:           _ZN9rocsparseL41csrmvn_lrb_medium_rows_warp_reduce_kernelILj256ELj64EliaaiiEEvbT1_lPT2_S3_jNS_24const_host_device_scalarIT6_EEPKS1_PKS2_PKT3_PKT4_S6_PT5_21rocsparse_index_base_b
    .private_segment_fixed_size: 0
    .sgpr_count:     18
    .sgpr_spill_count: 0
    .symbol:         _ZN9rocsparseL41csrmvn_lrb_medium_rows_warp_reduce_kernelILj256ELj64EliaaiiEEvbT1_lPT2_S3_jNS_24const_host_device_scalarIT6_EEPKS1_PKS2_PKT3_PKT4_S6_PT5_21rocsparse_index_base_b.kd
    .uniform_work_group_size: 1
    .uses_dynamic_stack: false
    .vgpr_count:     25
    .vgpr_spill_count: 0
    .wavefront_size: 32
  - .args:
      - .offset:         0
        .size:           1
        .value_kind:     by_value
      - .offset:         8
        .size:           8
        .value_kind:     by_value
      - .actual_access:  read_only
        .address_space:  global
        .offset:         16
        .size:           8
        .value_kind:     global_buffer
      - .actual_access:  read_only
        .address_space:  global
        .offset:         24
        .size:           8
        .value_kind:     global_buffer
      - .offset:         32
        .size:           4
        .value_kind:     by_value
      - .offset:         40
        .size:           8
        .value_kind:     by_value
      - .actual_access:  read_only
        .address_space:  global
        .offset:         48
        .size:           8
        .value_kind:     global_buffer
      - .actual_access:  read_only
        .address_space:  global
        .offset:         56
        .size:           8
        .value_kind:     global_buffer
      - .actual_access:  read_only
        .address_space:  global
        .offset:         64
        .size:           8
        .value_kind:     global_buffer
      - .actual_access:  read_only
        .address_space:  global
        .offset:         72
        .size:           8
        .value_kind:     global_buffer
      - .offset:         80
        .size:           8
        .value_kind:     by_value
      - .address_space:  global
        .offset:         88
        .size:           8
        .value_kind:     global_buffer
      - .offset:         96
        .size:           4
        .value_kind:     by_value
      - .offset:         100
        .size:           1
        .value_kind:     by_value
    .group_segment_fixed_size: 1024
    .kernarg_segment_align: 8
    .kernarg_segment_size: 104
    .language:       OpenCL C
    .language_version:
      - 2
      - 0
    .max_flat_workgroup_size: 256
    .name:           _ZN9rocsparseL29csrmvn_lrb_medium_rows_kernelILj256EliaaiiEEvbT0_PT1_S3_jNS_24const_host_device_scalarIT5_EEPKS1_PKS2_PKT2_PKT3_S6_PT4_21rocsparse_index_base_b
    .private_segment_fixed_size: 0
    .sgpr_count:     22
    .sgpr_spill_count: 0
    .symbol:         _ZN9rocsparseL29csrmvn_lrb_medium_rows_kernelILj256EliaaiiEEvbT0_PT1_S3_jNS_24const_host_device_scalarIT5_EEPKS1_PKS2_PKT2_PKT3_S6_PT4_21rocsparse_index_base_b.kd
    .uniform_work_group_size: 1
    .uses_dynamic_stack: false
    .vgpr_count:     21
    .vgpr_spill_count: 0
    .wavefront_size: 32
  - .args:
      - .offset:         0
        .size:           1
        .value_kind:     by_value
      - .offset:         8
        .size:           8
        .value_kind:     by_value
      - .address_space:  global
        .offset:         16
        .size:           8
        .value_kind:     global_buffer
      - .actual_access:  read_only
        .address_space:  global
        .offset:         24
        .size:           8
        .value_kind:     global_buffer
      - .actual_access:  read_only
        .address_space:  global
        .offset:         32
        .size:           8
        .value_kind:     global_buffer
      - .offset:         40
        .size:           4
        .value_kind:     by_value
      - .offset:         48
        .size:           8
        .value_kind:     by_value
      - .actual_access:  read_only
        .address_space:  global
        .offset:         56
        .size:           8
        .value_kind:     global_buffer
      - .actual_access:  read_only
        .address_space:  global
        .offset:         64
        .size:           8
        .value_kind:     global_buffer
      - .actual_access:  read_only
        .address_space:  global
        .offset:         72
        .size:           8
        .value_kind:     global_buffer
      - .actual_access:  read_only
        .address_space:  global
        .offset:         80
        .size:           8
        .value_kind:     global_buffer
      - .offset:         88
        .size:           8
        .value_kind:     by_value
      - .address_space:  global
        .offset:         96
        .size:           8
        .value_kind:     global_buffer
      - .offset:         104
        .size:           4
        .value_kind:     by_value
      - .offset:         108
        .size:           1
        .value_kind:     by_value
    .group_segment_fixed_size: 1024
    .kernarg_segment_align: 8
    .kernarg_segment_size: 112
    .language:       OpenCL C
    .language_version:
      - 2
      - 0
    .max_flat_workgroup_size: 256
    .name:           _ZN9rocsparseL27csrmvn_lrb_long_rows_kernelIliaaiiEEvbT_PjPT0_S4_jNS_24const_host_device_scalarIT4_EEPKS1_PKS3_PKT1_PKT2_S7_PT3_21rocsparse_index_base_b
    .private_segment_fixed_size: 0
    .sgpr_count:     28
    .sgpr_spill_count: 0
    .symbol:         _ZN9rocsparseL27csrmvn_lrb_long_rows_kernelIliaaiiEEvbT_PjPT0_S4_jNS_24const_host_device_scalarIT4_EEPKS1_PKS3_PKT1_PKT2_S7_PT3_21rocsparse_index_base_b.kd
    .uniform_work_group_size: 1
    .uses_dynamic_stack: false
    .vgpr_count:     23
    .vgpr_spill_count: 0
    .wavefront_size: 32
  - .args:
      - .offset:         0
        .size:           1
        .value_kind:     by_value
      - .offset:         8
        .size:           8
        .value_kind:     by_value
      - .actual_access:  read_only
        .address_space:  global
        .offset:         16
        .size:           8
        .value_kind:     global_buffer
      - .actual_access:  read_only
        .address_space:  global
        .offset:         24
        .size:           8
        .value_kind:     global_buffer
      - .offset:         32
        .size:           4
        .value_kind:     by_value
      - .offset:         40
        .size:           8
        .value_kind:     by_value
      - .actual_access:  read_only
        .address_space:  global
        .offset:         48
        .size:           8
        .value_kind:     global_buffer
      - .actual_access:  read_only
        .address_space:  global
        .offset:         56
        .size:           8
        .value_kind:     global_buffer
      - .actual_access:  read_only
        .address_space:  global
        .offset:         64
        .size:           8
        .value_kind:     global_buffer
      - .actual_access:  read_only
        .address_space:  global
        .offset:         72
        .size:           8
        .value_kind:     global_buffer
      - .offset:         80
        .size:           8
        .value_kind:     by_value
      - .address_space:  global
        .offset:         88
        .size:           8
        .value_kind:     global_buffer
      - .offset:         96
        .size:           4
        .value_kind:     by_value
      - .offset:         100
        .size:           1
        .value_kind:     by_value
    .group_segment_fixed_size: 0
    .kernarg_segment_align: 8
    .kernarg_segment_size: 104
    .language:       OpenCL C
    .language_version:
      - 2
      - 0
    .max_flat_workgroup_size: 256
    .name:           _ZN9rocsparseL28csrmvn_lrb_short_rows_kernelIllaaiiEEvbT_PT0_S3_jNS_24const_host_device_scalarIT4_EEPKS1_PKS2_PKT1_PKT2_S6_PT3_21rocsparse_index_base_b
    .private_segment_fixed_size: 0
    .sgpr_count:     29
    .sgpr_spill_count: 0
    .symbol:         _ZN9rocsparseL28csrmvn_lrb_short_rows_kernelIllaaiiEEvbT_PT0_S3_jNS_24const_host_device_scalarIT4_EEPKS1_PKS2_PKT1_PKT2_S6_PT3_21rocsparse_index_base_b.kd
    .uniform_work_group_size: 1
    .uses_dynamic_stack: false
    .vgpr_count:     9
    .vgpr_spill_count: 0
    .wavefront_size: 32
  - .args:
      - .offset:         0
        .size:           1
        .value_kind:     by_value
      - .offset:         8
        .size:           8
        .value_kind:     by_value
      - .actual_access:  read_only
        .address_space:  global
        .offset:         16
        .size:           8
        .value_kind:     global_buffer
      - .actual_access:  read_only
        .address_space:  global
        .offset:         24
        .size:           8
        .value_kind:     global_buffer
      - .offset:         32
        .size:           4
        .value_kind:     by_value
      - .offset:         40
        .size:           8
        .value_kind:     by_value
      - .actual_access:  read_only
        .address_space:  global
        .offset:         48
        .size:           8
        .value_kind:     global_buffer
      - .actual_access:  read_only
        .address_space:  global
        .offset:         56
        .size:           8
        .value_kind:     global_buffer
      - .actual_access:  read_only
        .address_space:  global
        .offset:         64
        .size:           8
        .value_kind:     global_buffer
      - .actual_access:  read_only
        .address_space:  global
        .offset:         72
        .size:           8
        .value_kind:     global_buffer
      - .offset:         80
        .size:           8
        .value_kind:     by_value
      - .address_space:  global
        .offset:         88
        .size:           8
        .value_kind:     global_buffer
      - .offset:         96
        .size:           4
        .value_kind:     by_value
      - .offset:         100
        .size:           1
        .value_kind:     by_value
    .group_segment_fixed_size: 4096
    .kernarg_segment_align: 8
    .kernarg_segment_size: 104
    .language:       OpenCL C
    .language_version:
      - 2
      - 0
    .max_flat_workgroup_size: 256
    .name:           _ZN9rocsparseL30csrmvn_lrb_short_rows_2_kernelIllaaiiEEvbT_PT0_S3_jNS_24const_host_device_scalarIT4_EEPKS1_PKS2_PKT1_PKT2_S6_PT3_21rocsparse_index_base_b
    .private_segment_fixed_size: 0
    .sgpr_count:     26
    .sgpr_spill_count: 0
    .symbol:         _ZN9rocsparseL30csrmvn_lrb_short_rows_2_kernelIllaaiiEEvbT_PT0_S3_jNS_24const_host_device_scalarIT4_EEPKS1_PKS2_PKT1_PKT2_S6_PT3_21rocsparse_index_base_b.kd
    .uniform_work_group_size: 1
    .uses_dynamic_stack: false
    .vgpr_count:     8
    .vgpr_spill_count: 0
    .wavefront_size: 32
  - .args:
      - .offset:         0
        .size:           1
        .value_kind:     by_value
      - .offset:         8
        .size:           8
        .value_kind:     by_value
      - .offset:         16
        .size:           8
        .value_kind:     by_value
      - .actual_access:  read_only
        .address_space:  global
        .offset:         24
        .size:           8
        .value_kind:     global_buffer
      - .actual_access:  read_only
        .address_space:  global
        .offset:         32
        .size:           8
        .value_kind:     global_buffer
      - .offset:         40
        .size:           4
        .value_kind:     by_value
      - .offset:         48
        .size:           8
        .value_kind:     by_value
      - .actual_access:  read_only
        .address_space:  global
        .offset:         56
        .size:           8
        .value_kind:     global_buffer
      - .actual_access:  read_only
        .address_space:  global
        .offset:         64
        .size:           8
        .value_kind:     global_buffer
      - .actual_access:  read_only
        .address_space:  global
        .offset:         72
        .size:           8
        .value_kind:     global_buffer
      - .actual_access:  read_only
        .address_space:  global
        .offset:         80
        .size:           8
        .value_kind:     global_buffer
      - .offset:         88
        .size:           8
        .value_kind:     by_value
      - .address_space:  global
        .offset:         96
        .size:           8
        .value_kind:     global_buffer
      - .offset:         104
        .size:           4
        .value_kind:     by_value
      - .offset:         108
        .size:           1
        .value_kind:     by_value
    .group_segment_fixed_size: 0
    .kernarg_segment_align: 8
    .kernarg_segment_size: 112
    .language:       OpenCL C
    .language_version:
      - 2
      - 0
    .max_flat_workgroup_size: 256
    .name:           _ZN9rocsparseL41csrmvn_lrb_medium_rows_warp_reduce_kernelILj256ELj32EllaaiiEEvbT1_lPT2_S3_jNS_24const_host_device_scalarIT6_EEPKS1_PKS2_PKT3_PKT4_S6_PT5_21rocsparse_index_base_b
    .private_segment_fixed_size: 0
    .sgpr_count:     15
    .sgpr_spill_count: 0
    .symbol:         _ZN9rocsparseL41csrmvn_lrb_medium_rows_warp_reduce_kernelILj256ELj32EllaaiiEEvbT1_lPT2_S3_jNS_24const_host_device_scalarIT6_EEPKS1_PKS2_PKT3_PKT4_S6_PT5_21rocsparse_index_base_b.kd
    .uniform_work_group_size: 1
    .uses_dynamic_stack: false
    .vgpr_count:     14
    .vgpr_spill_count: 0
    .wavefront_size: 32
  - .args:
      - .offset:         0
        .size:           1
        .value_kind:     by_value
      - .offset:         8
        .size:           8
        .value_kind:     by_value
      - .offset:         16
        .size:           8
        .value_kind:     by_value
      - .actual_access:  read_only
        .address_space:  global
        .offset:         24
        .size:           8
        .value_kind:     global_buffer
      - .actual_access:  read_only
        .address_space:  global
        .offset:         32
        .size:           8
        .value_kind:     global_buffer
      - .offset:         40
        .size:           4
        .value_kind:     by_value
      - .offset:         48
        .size:           8
        .value_kind:     by_value
      - .actual_access:  read_only
        .address_space:  global
        .offset:         56
        .size:           8
        .value_kind:     global_buffer
      - .actual_access:  read_only
        .address_space:  global
        .offset:         64
        .size:           8
        .value_kind:     global_buffer
      - .actual_access:  read_only
        .address_space:  global
        .offset:         72
        .size:           8
        .value_kind:     global_buffer
      - .actual_access:  read_only
        .address_space:  global
        .offset:         80
        .size:           8
        .value_kind:     global_buffer
      - .offset:         88
        .size:           8
        .value_kind:     by_value
      - .address_space:  global
        .offset:         96
        .size:           8
        .value_kind:     global_buffer
      - .offset:         104
        .size:           4
        .value_kind:     by_value
      - .offset:         108
        .size:           1
        .value_kind:     by_value
    .group_segment_fixed_size: 0
    .kernarg_segment_align: 8
    .kernarg_segment_size: 112
    .language:       OpenCL C
    .language_version:
      - 2
      - 0
    .max_flat_workgroup_size: 256
    .name:           _ZN9rocsparseL41csrmvn_lrb_medium_rows_warp_reduce_kernelILj256ELj64EllaaiiEEvbT1_lPT2_S3_jNS_24const_host_device_scalarIT6_EEPKS1_PKS2_PKT3_PKT4_S6_PT5_21rocsparse_index_base_b
    .private_segment_fixed_size: 0
    .sgpr_count:     15
    .sgpr_spill_count: 0
    .symbol:         _ZN9rocsparseL41csrmvn_lrb_medium_rows_warp_reduce_kernelILj256ELj64EllaaiiEEvbT1_lPT2_S3_jNS_24const_host_device_scalarIT6_EEPKS1_PKS2_PKT3_PKT4_S6_PT5_21rocsparse_index_base_b.kd
    .uniform_work_group_size: 1
    .uses_dynamic_stack: false
    .vgpr_count:     14
    .vgpr_spill_count: 0
    .wavefront_size: 32
  - .args:
      - .offset:         0
        .size:           1
        .value_kind:     by_value
      - .offset:         8
        .size:           8
        .value_kind:     by_value
      - .actual_access:  read_only
        .address_space:  global
        .offset:         16
        .size:           8
        .value_kind:     global_buffer
      - .actual_access:  read_only
        .address_space:  global
        .offset:         24
        .size:           8
        .value_kind:     global_buffer
      - .offset:         32
        .size:           4
        .value_kind:     by_value
      - .offset:         40
        .size:           8
        .value_kind:     by_value
      - .actual_access:  read_only
        .address_space:  global
        .offset:         48
        .size:           8
        .value_kind:     global_buffer
      - .actual_access:  read_only
        .address_space:  global
        .offset:         56
        .size:           8
        .value_kind:     global_buffer
      - .actual_access:  read_only
        .address_space:  global
        .offset:         64
        .size:           8
        .value_kind:     global_buffer
      - .actual_access:  read_only
        .address_space:  global
        .offset:         72
        .size:           8
        .value_kind:     global_buffer
      - .offset:         80
        .size:           8
        .value_kind:     by_value
      - .address_space:  global
        .offset:         88
        .size:           8
        .value_kind:     global_buffer
      - .offset:         96
        .size:           4
        .value_kind:     by_value
      - .offset:         100
        .size:           1
        .value_kind:     by_value
    .group_segment_fixed_size: 1024
    .kernarg_segment_align: 8
    .kernarg_segment_size: 104
    .language:       OpenCL C
    .language_version:
      - 2
      - 0
    .max_flat_workgroup_size: 256
    .name:           _ZN9rocsparseL29csrmvn_lrb_medium_rows_kernelILj256EllaaiiEEvbT0_PT1_S3_jNS_24const_host_device_scalarIT5_EEPKS1_PKS2_PKT2_PKT3_S6_PT4_21rocsparse_index_base_b
    .private_segment_fixed_size: 0
    .sgpr_count:     19
    .sgpr_spill_count: 0
    .symbol:         _ZN9rocsparseL29csrmvn_lrb_medium_rows_kernelILj256EllaaiiEEvbT0_PT1_S3_jNS_24const_host_device_scalarIT5_EEPKS1_PKS2_PKT2_PKT3_S6_PT4_21rocsparse_index_base_b.kd
    .uniform_work_group_size: 1
    .uses_dynamic_stack: false
    .vgpr_count:     10
    .vgpr_spill_count: 0
    .wavefront_size: 32
  - .args:
      - .offset:         0
        .size:           1
        .value_kind:     by_value
      - .offset:         8
        .size:           8
        .value_kind:     by_value
      - .address_space:  global
        .offset:         16
        .size:           8
        .value_kind:     global_buffer
      - .actual_access:  read_only
        .address_space:  global
        .offset:         24
        .size:           8
        .value_kind:     global_buffer
      - .actual_access:  read_only
        .address_space:  global
        .offset:         32
        .size:           8
        .value_kind:     global_buffer
      - .offset:         40
        .size:           4
        .value_kind:     by_value
      - .offset:         48
        .size:           8
        .value_kind:     by_value
      - .actual_access:  read_only
        .address_space:  global
        .offset:         56
        .size:           8
        .value_kind:     global_buffer
      - .actual_access:  read_only
        .address_space:  global
        .offset:         64
        .size:           8
        .value_kind:     global_buffer
      - .actual_access:  read_only
        .address_space:  global
        .offset:         72
        .size:           8
        .value_kind:     global_buffer
      - .actual_access:  read_only
        .address_space:  global
        .offset:         80
        .size:           8
        .value_kind:     global_buffer
      - .offset:         88
        .size:           8
        .value_kind:     by_value
      - .address_space:  global
        .offset:         96
        .size:           8
        .value_kind:     global_buffer
      - .offset:         104
        .size:           4
        .value_kind:     by_value
      - .offset:         108
        .size:           1
        .value_kind:     by_value
    .group_segment_fixed_size: 1024
    .kernarg_segment_align: 8
    .kernarg_segment_size: 112
    .language:       OpenCL C
    .language_version:
      - 2
      - 0
    .max_flat_workgroup_size: 256
    .name:           _ZN9rocsparseL27csrmvn_lrb_long_rows_kernelIllaaiiEEvbT_PjPT0_S4_jNS_24const_host_device_scalarIT4_EEPKS1_PKS3_PKT1_PKT2_S7_PT3_21rocsparse_index_base_b
    .private_segment_fixed_size: 0
    .sgpr_count:     30
    .sgpr_spill_count: 0
    .symbol:         _ZN9rocsparseL27csrmvn_lrb_long_rows_kernelIllaaiiEEvbT_PjPT0_S4_jNS_24const_host_device_scalarIT4_EEPKS1_PKS3_PKT1_PKT2_S7_PT3_21rocsparse_index_base_b.kd
    .uniform_work_group_size: 1
    .uses_dynamic_stack: false
    .vgpr_count:     14
    .vgpr_spill_count: 0
    .wavefront_size: 32
  - .args:
      - .offset:         0
        .size:           1
        .value_kind:     by_value
      - .offset:         4
        .size:           4
        .value_kind:     by_value
      - .actual_access:  read_only
        .address_space:  global
        .offset:         8
        .size:           8
        .value_kind:     global_buffer
      - .actual_access:  read_only
        .address_space:  global
        .offset:         16
        .size:           8
        .value_kind:     global_buffer
      - .offset:         24
        .size:           4
        .value_kind:     by_value
      - .offset:         32
        .size:           8
        .value_kind:     by_value
      - .actual_access:  read_only
        .address_space:  global
        .offset:         40
        .size:           8
        .value_kind:     global_buffer
      - .actual_access:  read_only
        .address_space:  global
        .offset:         48
        .size:           8
        .value_kind:     global_buffer
      - .actual_access:  read_only
        .address_space:  global
        .offset:         56
        .size:           8
        .value_kind:     global_buffer
      - .actual_access:  read_only
        .address_space:  global
        .offset:         64
        .size:           8
        .value_kind:     global_buffer
      - .offset:         72
        .size:           8
        .value_kind:     by_value
      - .address_space:  global
        .offset:         80
        .size:           8
        .value_kind:     global_buffer
      - .offset:         88
        .size:           4
        .value_kind:     by_value
      - .offset:         92
        .size:           1
        .value_kind:     by_value
    .group_segment_fixed_size: 0
    .kernarg_segment_align: 8
    .kernarg_segment_size: 96
    .language:       OpenCL C
    .language_version:
      - 2
      - 0
    .max_flat_workgroup_size: 256
    .name:           _ZN9rocsparseL28csrmvn_lrb_short_rows_kernelIiiaaffEEvbT_PT0_S3_jNS_24const_host_device_scalarIT4_EEPKS1_PKS2_PKT1_PKT2_S6_PT3_21rocsparse_index_base_b
    .private_segment_fixed_size: 0
    .sgpr_count:     25
    .sgpr_spill_count: 0
    .symbol:         _ZN9rocsparseL28csrmvn_lrb_short_rows_kernelIiiaaffEEvbT_PT0_S3_jNS_24const_host_device_scalarIT4_EEPKS1_PKS2_PKT1_PKT2_S6_PT3_21rocsparse_index_base_b.kd
    .uniform_work_group_size: 1
    .uses_dynamic_stack: false
    .vgpr_count:     7
    .vgpr_spill_count: 0
    .wavefront_size: 32
  - .args:
      - .offset:         0
        .size:           1
        .value_kind:     by_value
      - .offset:         4
        .size:           4
        .value_kind:     by_value
      - .actual_access:  read_only
        .address_space:  global
        .offset:         8
        .size:           8
        .value_kind:     global_buffer
      - .actual_access:  read_only
        .address_space:  global
        .offset:         16
        .size:           8
        .value_kind:     global_buffer
      - .offset:         24
        .size:           4
        .value_kind:     by_value
      - .offset:         32
        .size:           8
        .value_kind:     by_value
      - .actual_access:  read_only
        .address_space:  global
        .offset:         40
        .size:           8
        .value_kind:     global_buffer
      - .actual_access:  read_only
        .address_space:  global
        .offset:         48
        .size:           8
        .value_kind:     global_buffer
      - .actual_access:  read_only
        .address_space:  global
        .offset:         56
        .size:           8
        .value_kind:     global_buffer
      - .actual_access:  read_only
        .address_space:  global
        .offset:         64
        .size:           8
        .value_kind:     global_buffer
      - .offset:         72
        .size:           8
        .value_kind:     by_value
      - .address_space:  global
        .offset:         80
        .size:           8
        .value_kind:     global_buffer
      - .offset:         88
        .size:           4
        .value_kind:     by_value
      - .offset:         92
        .size:           1
        .value_kind:     by_value
    .group_segment_fixed_size: 4096
    .kernarg_segment_align: 8
    .kernarg_segment_size: 96
    .language:       OpenCL C
    .language_version:
      - 2
      - 0
    .max_flat_workgroup_size: 256
    .name:           _ZN9rocsparseL30csrmvn_lrb_short_rows_2_kernelIiiaaffEEvbT_PT0_S3_jNS_24const_host_device_scalarIT4_EEPKS1_PKS2_PKT1_PKT2_S6_PT3_21rocsparse_index_base_b
    .private_segment_fixed_size: 0
    .sgpr_count:     24
    .sgpr_spill_count: 0
    .symbol:         _ZN9rocsparseL30csrmvn_lrb_short_rows_2_kernelIiiaaffEEvbT_PT0_S3_jNS_24const_host_device_scalarIT4_EEPKS1_PKS2_PKT1_PKT2_S6_PT3_21rocsparse_index_base_b.kd
    .uniform_work_group_size: 1
    .uses_dynamic_stack: false
    .vgpr_count:     6
    .vgpr_spill_count: 0
    .wavefront_size: 32
  - .args:
      - .offset:         0
        .size:           1
        .value_kind:     by_value
      - .offset:         4
        .size:           4
        .value_kind:     by_value
      - .offset:         8
        .size:           8
        .value_kind:     by_value
      - .actual_access:  read_only
        .address_space:  global
        .offset:         16
        .size:           8
        .value_kind:     global_buffer
      - .actual_access:  read_only
        .address_space:  global
        .offset:         24
        .size:           8
        .value_kind:     global_buffer
      - .offset:         32
        .size:           4
        .value_kind:     by_value
      - .offset:         40
        .size:           8
        .value_kind:     by_value
      - .actual_access:  read_only
        .address_space:  global
        .offset:         48
        .size:           8
        .value_kind:     global_buffer
      - .actual_access:  read_only
        .address_space:  global
        .offset:         56
        .size:           8
        .value_kind:     global_buffer
      - .actual_access:  read_only
        .address_space:  global
        .offset:         64
        .size:           8
        .value_kind:     global_buffer
      - .actual_access:  read_only
        .address_space:  global
        .offset:         72
        .size:           8
        .value_kind:     global_buffer
      - .offset:         80
        .size:           8
        .value_kind:     by_value
      - .address_space:  global
        .offset:         88
        .size:           8
        .value_kind:     global_buffer
      - .offset:         96
        .size:           4
        .value_kind:     by_value
      - .offset:         100
        .size:           1
        .value_kind:     by_value
    .group_segment_fixed_size: 0
    .kernarg_segment_align: 8
    .kernarg_segment_size: 104
    .language:       OpenCL C
    .language_version:
      - 2
      - 0
    .max_flat_workgroup_size: 256
    .name:           _ZN9rocsparseL41csrmvn_lrb_medium_rows_warp_reduce_kernelILj256ELj32EiiaaffEEvbT1_lPT2_S3_jNS_24const_host_device_scalarIT6_EEPKS1_PKS2_PKT3_PKT4_S6_PT5_21rocsparse_index_base_b
    .private_segment_fixed_size: 0
    .sgpr_count:     16
    .sgpr_spill_count: 0
    .symbol:         _ZN9rocsparseL41csrmvn_lrb_medium_rows_warp_reduce_kernelILj256ELj32EiiaaffEEvbT1_lPT2_S3_jNS_24const_host_device_scalarIT6_EEPKS1_PKS2_PKT3_PKT4_S6_PT5_21rocsparse_index_base_b.kd
    .uniform_work_group_size: 1
    .uses_dynamic_stack: false
    .vgpr_count:     8
    .vgpr_spill_count: 0
    .wavefront_size: 32
  - .args:
      - .offset:         0
        .size:           1
        .value_kind:     by_value
      - .offset:         4
        .size:           4
        .value_kind:     by_value
      - .offset:         8
        .size:           8
        .value_kind:     by_value
      - .actual_access:  read_only
        .address_space:  global
        .offset:         16
        .size:           8
        .value_kind:     global_buffer
      - .actual_access:  read_only
        .address_space:  global
        .offset:         24
        .size:           8
        .value_kind:     global_buffer
      - .offset:         32
        .size:           4
        .value_kind:     by_value
      - .offset:         40
        .size:           8
        .value_kind:     by_value
      - .actual_access:  read_only
        .address_space:  global
        .offset:         48
        .size:           8
        .value_kind:     global_buffer
      - .actual_access:  read_only
        .address_space:  global
        .offset:         56
        .size:           8
        .value_kind:     global_buffer
      - .actual_access:  read_only
        .address_space:  global
        .offset:         64
        .size:           8
        .value_kind:     global_buffer
      - .actual_access:  read_only
        .address_space:  global
        .offset:         72
        .size:           8
        .value_kind:     global_buffer
      - .offset:         80
        .size:           8
        .value_kind:     by_value
      - .address_space:  global
        .offset:         88
        .size:           8
        .value_kind:     global_buffer
      - .offset:         96
        .size:           4
        .value_kind:     by_value
      - .offset:         100
        .size:           1
        .value_kind:     by_value
    .group_segment_fixed_size: 0
    .kernarg_segment_align: 8
    .kernarg_segment_size: 104
    .language:       OpenCL C
    .language_version:
      - 2
      - 0
    .max_flat_workgroup_size: 256
    .name:           _ZN9rocsparseL41csrmvn_lrb_medium_rows_warp_reduce_kernelILj256ELj64EiiaaffEEvbT1_lPT2_S3_jNS_24const_host_device_scalarIT6_EEPKS1_PKS2_PKT3_PKT4_S6_PT5_21rocsparse_index_base_b
    .private_segment_fixed_size: 0
    .sgpr_count:     16
    .sgpr_spill_count: 0
    .symbol:         _ZN9rocsparseL41csrmvn_lrb_medium_rows_warp_reduce_kernelILj256ELj64EiiaaffEEvbT1_lPT2_S3_jNS_24const_host_device_scalarIT6_EEPKS1_PKS2_PKT3_PKT4_S6_PT5_21rocsparse_index_base_b.kd
    .uniform_work_group_size: 1
    .uses_dynamic_stack: false
    .vgpr_count:     8
    .vgpr_spill_count: 0
    .wavefront_size: 32
  - .args:
      - .offset:         0
        .size:           1
        .value_kind:     by_value
      - .offset:         4
        .size:           4
        .value_kind:     by_value
      - .actual_access:  read_only
        .address_space:  global
        .offset:         8
        .size:           8
        .value_kind:     global_buffer
      - .actual_access:  read_only
        .address_space:  global
        .offset:         16
        .size:           8
        .value_kind:     global_buffer
      - .offset:         24
        .size:           4
        .value_kind:     by_value
      - .offset:         32
        .size:           8
        .value_kind:     by_value
      - .actual_access:  read_only
        .address_space:  global
        .offset:         40
        .size:           8
        .value_kind:     global_buffer
      - .actual_access:  read_only
        .address_space:  global
        .offset:         48
        .size:           8
        .value_kind:     global_buffer
      - .actual_access:  read_only
        .address_space:  global
        .offset:         56
        .size:           8
        .value_kind:     global_buffer
      - .actual_access:  read_only
        .address_space:  global
        .offset:         64
        .size:           8
        .value_kind:     global_buffer
      - .offset:         72
        .size:           8
        .value_kind:     by_value
      - .address_space:  global
        .offset:         80
        .size:           8
        .value_kind:     global_buffer
      - .offset:         88
        .size:           4
        .value_kind:     by_value
      - .offset:         92
        .size:           1
        .value_kind:     by_value
    .group_segment_fixed_size: 1024
    .kernarg_segment_align: 8
    .kernarg_segment_size: 96
    .language:       OpenCL C
    .language_version:
      - 2
      - 0
    .max_flat_workgroup_size: 256
    .name:           _ZN9rocsparseL29csrmvn_lrb_medium_rows_kernelILj256EiiaaffEEvbT0_PT1_S3_jNS_24const_host_device_scalarIT5_EEPKS1_PKS2_PKT2_PKT3_S6_PT4_21rocsparse_index_base_b
    .private_segment_fixed_size: 0
    .sgpr_count:     18
    .sgpr_spill_count: 0
    .symbol:         _ZN9rocsparseL29csrmvn_lrb_medium_rows_kernelILj256EiiaaffEEvbT0_PT1_S3_jNS_24const_host_device_scalarIT5_EEPKS1_PKS2_PKT2_PKT3_S6_PT4_21rocsparse_index_base_b.kd
    .uniform_work_group_size: 1
    .uses_dynamic_stack: false
    .vgpr_count:     5
    .vgpr_spill_count: 0
    .wavefront_size: 32
  - .args:
      - .offset:         0
        .size:           1
        .value_kind:     by_value
      - .offset:         4
        .size:           4
        .value_kind:     by_value
      - .address_space:  global
        .offset:         8
        .size:           8
        .value_kind:     global_buffer
      - .actual_access:  read_only
        .address_space:  global
        .offset:         16
        .size:           8
        .value_kind:     global_buffer
      - .actual_access:  read_only
        .address_space:  global
        .offset:         24
        .size:           8
        .value_kind:     global_buffer
      - .offset:         32
        .size:           4
        .value_kind:     by_value
      - .offset:         40
        .size:           8
        .value_kind:     by_value
      - .actual_access:  read_only
        .address_space:  global
        .offset:         48
        .size:           8
        .value_kind:     global_buffer
      - .actual_access:  read_only
        .address_space:  global
        .offset:         56
        .size:           8
        .value_kind:     global_buffer
      - .actual_access:  read_only
        .address_space:  global
        .offset:         64
        .size:           8
        .value_kind:     global_buffer
      - .actual_access:  read_only
        .address_space:  global
        .offset:         72
        .size:           8
        .value_kind:     global_buffer
      - .offset:         80
        .size:           8
        .value_kind:     by_value
      - .address_space:  global
        .offset:         88
        .size:           8
        .value_kind:     global_buffer
      - .offset:         96
        .size:           4
        .value_kind:     by_value
      - .offset:         100
        .size:           1
        .value_kind:     by_value
    .group_segment_fixed_size: 1024
    .kernarg_segment_align: 8
    .kernarg_segment_size: 104
    .language:       OpenCL C
    .language_version:
      - 2
      - 0
    .max_flat_workgroup_size: 256
    .name:           _ZN9rocsparseL27csrmvn_lrb_long_rows_kernelIiiaaffEEvbT_PjPT0_S4_jNS_24const_host_device_scalarIT4_EEPKS1_PKS3_PKT1_PKT2_S7_PT3_21rocsparse_index_base_b
    .private_segment_fixed_size: 0
    .sgpr_count:     25
    .sgpr_spill_count: 0
    .symbol:         _ZN9rocsparseL27csrmvn_lrb_long_rows_kernelIiiaaffEEvbT_PjPT0_S4_jNS_24const_host_device_scalarIT4_EEPKS1_PKS3_PKT1_PKT2_S7_PT3_21rocsparse_index_base_b.kd
    .uniform_work_group_size: 1
    .uses_dynamic_stack: false
    .vgpr_count:     5
    .vgpr_spill_count: 0
    .wavefront_size: 32
  - .args:
      - .offset:         0
        .size:           1
        .value_kind:     by_value
      - .offset:         8
        .size:           8
        .value_kind:     by_value
      - .actual_access:  read_only
        .address_space:  global
        .offset:         16
        .size:           8
        .value_kind:     global_buffer
      - .actual_access:  read_only
        .address_space:  global
        .offset:         24
        .size:           8
        .value_kind:     global_buffer
      - .offset:         32
        .size:           4
        .value_kind:     by_value
      - .offset:         40
        .size:           8
        .value_kind:     by_value
      - .actual_access:  read_only
        .address_space:  global
        .offset:         48
        .size:           8
        .value_kind:     global_buffer
      - .actual_access:  read_only
        .address_space:  global
        .offset:         56
        .size:           8
        .value_kind:     global_buffer
      - .actual_access:  read_only
        .address_space:  global
        .offset:         64
        .size:           8
        .value_kind:     global_buffer
      - .actual_access:  read_only
        .address_space:  global
        .offset:         72
        .size:           8
        .value_kind:     global_buffer
      - .offset:         80
        .size:           8
        .value_kind:     by_value
      - .address_space:  global
        .offset:         88
        .size:           8
        .value_kind:     global_buffer
      - .offset:         96
        .size:           4
        .value_kind:     by_value
      - .offset:         100
        .size:           1
        .value_kind:     by_value
    .group_segment_fixed_size: 0
    .kernarg_segment_align: 8
    .kernarg_segment_size: 104
    .language:       OpenCL C
    .language_version:
      - 2
      - 0
    .max_flat_workgroup_size: 256
    .name:           _ZN9rocsparseL28csrmvn_lrb_short_rows_kernelIliaaffEEvbT_PT0_S3_jNS_24const_host_device_scalarIT4_EEPKS1_PKS2_PKT1_PKT2_S6_PT3_21rocsparse_index_base_b
    .private_segment_fixed_size: 0
    .sgpr_count:     26
    .sgpr_spill_count: 0
    .symbol:         _ZN9rocsparseL28csrmvn_lrb_short_rows_kernelIliaaffEEvbT_PT0_S3_jNS_24const_host_device_scalarIT4_EEPKS1_PKS2_PKT1_PKT2_S6_PT3_21rocsparse_index_base_b.kd
    .uniform_work_group_size: 1
    .uses_dynamic_stack: false
    .vgpr_count:     8
    .vgpr_spill_count: 0
    .wavefront_size: 32
  - .args:
      - .offset:         0
        .size:           1
        .value_kind:     by_value
      - .offset:         8
        .size:           8
        .value_kind:     by_value
      - .actual_access:  read_only
        .address_space:  global
        .offset:         16
        .size:           8
        .value_kind:     global_buffer
      - .actual_access:  read_only
        .address_space:  global
        .offset:         24
        .size:           8
        .value_kind:     global_buffer
      - .offset:         32
        .size:           4
        .value_kind:     by_value
      - .offset:         40
        .size:           8
        .value_kind:     by_value
      - .actual_access:  read_only
        .address_space:  global
        .offset:         48
        .size:           8
        .value_kind:     global_buffer
      - .actual_access:  read_only
        .address_space:  global
        .offset:         56
        .size:           8
        .value_kind:     global_buffer
      - .actual_access:  read_only
        .address_space:  global
        .offset:         64
        .size:           8
        .value_kind:     global_buffer
      - .actual_access:  read_only
        .address_space:  global
        .offset:         72
        .size:           8
        .value_kind:     global_buffer
      - .offset:         80
        .size:           8
        .value_kind:     by_value
      - .address_space:  global
        .offset:         88
        .size:           8
        .value_kind:     global_buffer
      - .offset:         96
        .size:           4
        .value_kind:     by_value
      - .offset:         100
        .size:           1
        .value_kind:     by_value
    .group_segment_fixed_size: 4096
    .kernarg_segment_align: 8
    .kernarg_segment_size: 104
    .language:       OpenCL C
    .language_version:
      - 2
      - 0
    .max_flat_workgroup_size: 256
    .name:           _ZN9rocsparseL30csrmvn_lrb_short_rows_2_kernelIliaaffEEvbT_PT0_S3_jNS_24const_host_device_scalarIT4_EEPKS1_PKS2_PKT1_PKT2_S6_PT3_21rocsparse_index_base_b
    .private_segment_fixed_size: 0
    .sgpr_count:     25
    .sgpr_spill_count: 0
    .symbol:         _ZN9rocsparseL30csrmvn_lrb_short_rows_2_kernelIliaaffEEvbT_PT0_S3_jNS_24const_host_device_scalarIT4_EEPKS1_PKS2_PKT1_PKT2_S6_PT3_21rocsparse_index_base_b.kd
    .uniform_work_group_size: 1
    .uses_dynamic_stack: false
    .vgpr_count:     8
    .vgpr_spill_count: 0
    .wavefront_size: 32
  - .args:
      - .offset:         0
        .size:           1
        .value_kind:     by_value
      - .offset:         8
        .size:           8
        .value_kind:     by_value
      - .offset:         16
        .size:           8
        .value_kind:     by_value
      - .actual_access:  read_only
        .address_space:  global
        .offset:         24
        .size:           8
        .value_kind:     global_buffer
      - .actual_access:  read_only
        .address_space:  global
        .offset:         32
        .size:           8
        .value_kind:     global_buffer
      - .offset:         40
        .size:           4
        .value_kind:     by_value
      - .offset:         48
        .size:           8
        .value_kind:     by_value
      - .actual_access:  read_only
        .address_space:  global
        .offset:         56
        .size:           8
        .value_kind:     global_buffer
      - .actual_access:  read_only
        .address_space:  global
        .offset:         64
        .size:           8
        .value_kind:     global_buffer
      - .actual_access:  read_only
        .address_space:  global
        .offset:         72
        .size:           8
        .value_kind:     global_buffer
      - .actual_access:  read_only
        .address_space:  global
        .offset:         80
        .size:           8
        .value_kind:     global_buffer
      - .offset:         88
        .size:           8
        .value_kind:     by_value
      - .address_space:  global
        .offset:         96
        .size:           8
        .value_kind:     global_buffer
      - .offset:         104
        .size:           4
        .value_kind:     by_value
      - .offset:         108
        .size:           1
        .value_kind:     by_value
    .group_segment_fixed_size: 0
    .kernarg_segment_align: 8
    .kernarg_segment_size: 112
    .language:       OpenCL C
    .language_version:
      - 2
      - 0
    .max_flat_workgroup_size: 256
    .name:           _ZN9rocsparseL41csrmvn_lrb_medium_rows_warp_reduce_kernelILj256ELj32EliaaffEEvbT1_lPT2_S3_jNS_24const_host_device_scalarIT6_EEPKS1_PKS2_PKT3_PKT4_S6_PT5_21rocsparse_index_base_b
    .private_segment_fixed_size: 0
    .sgpr_count:     16
    .sgpr_spill_count: 0
    .symbol:         _ZN9rocsparseL41csrmvn_lrb_medium_rows_warp_reduce_kernelILj256ELj32EliaaffEEvbT1_lPT2_S3_jNS_24const_host_device_scalarIT6_EEPKS1_PKS2_PKT3_PKT4_S6_PT5_21rocsparse_index_base_b.kd
    .uniform_work_group_size: 1
    .uses_dynamic_stack: false
    .vgpr_count:     13
    .vgpr_spill_count: 0
    .wavefront_size: 32
  - .args:
      - .offset:         0
        .size:           1
        .value_kind:     by_value
      - .offset:         8
        .size:           8
        .value_kind:     by_value
      - .offset:         16
        .size:           8
        .value_kind:     by_value
      - .actual_access:  read_only
        .address_space:  global
        .offset:         24
        .size:           8
        .value_kind:     global_buffer
      - .actual_access:  read_only
        .address_space:  global
        .offset:         32
        .size:           8
        .value_kind:     global_buffer
      - .offset:         40
        .size:           4
        .value_kind:     by_value
      - .offset:         48
        .size:           8
        .value_kind:     by_value
      - .actual_access:  read_only
        .address_space:  global
        .offset:         56
        .size:           8
        .value_kind:     global_buffer
      - .actual_access:  read_only
        .address_space:  global
        .offset:         64
        .size:           8
        .value_kind:     global_buffer
      - .actual_access:  read_only
        .address_space:  global
        .offset:         72
        .size:           8
        .value_kind:     global_buffer
      - .actual_access:  read_only
        .address_space:  global
        .offset:         80
        .size:           8
        .value_kind:     global_buffer
      - .offset:         88
        .size:           8
        .value_kind:     by_value
      - .address_space:  global
        .offset:         96
        .size:           8
        .value_kind:     global_buffer
      - .offset:         104
        .size:           4
        .value_kind:     by_value
      - .offset:         108
        .size:           1
        .value_kind:     by_value
    .group_segment_fixed_size: 0
    .kernarg_segment_align: 8
    .kernarg_segment_size: 112
    .language:       OpenCL C
    .language_version:
      - 2
      - 0
    .max_flat_workgroup_size: 256
    .name:           _ZN9rocsparseL41csrmvn_lrb_medium_rows_warp_reduce_kernelILj256ELj64EliaaffEEvbT1_lPT2_S3_jNS_24const_host_device_scalarIT6_EEPKS1_PKS2_PKT3_PKT4_S6_PT5_21rocsparse_index_base_b
    .private_segment_fixed_size: 0
    .sgpr_count:     16
    .sgpr_spill_count: 0
    .symbol:         _ZN9rocsparseL41csrmvn_lrb_medium_rows_warp_reduce_kernelILj256ELj64EliaaffEEvbT1_lPT2_S3_jNS_24const_host_device_scalarIT6_EEPKS1_PKS2_PKT3_PKT4_S6_PT5_21rocsparse_index_base_b.kd
    .uniform_work_group_size: 1
    .uses_dynamic_stack: false
    .vgpr_count:     13
    .vgpr_spill_count: 0
    .wavefront_size: 32
  - .args:
      - .offset:         0
        .size:           1
        .value_kind:     by_value
      - .offset:         8
        .size:           8
        .value_kind:     by_value
      - .actual_access:  read_only
        .address_space:  global
        .offset:         16
        .size:           8
        .value_kind:     global_buffer
      - .actual_access:  read_only
        .address_space:  global
        .offset:         24
        .size:           8
        .value_kind:     global_buffer
      - .offset:         32
        .size:           4
        .value_kind:     by_value
      - .offset:         40
        .size:           8
        .value_kind:     by_value
      - .actual_access:  read_only
        .address_space:  global
        .offset:         48
        .size:           8
        .value_kind:     global_buffer
      - .actual_access:  read_only
        .address_space:  global
        .offset:         56
        .size:           8
        .value_kind:     global_buffer
      - .actual_access:  read_only
        .address_space:  global
        .offset:         64
        .size:           8
        .value_kind:     global_buffer
      - .actual_access:  read_only
        .address_space:  global
        .offset:         72
        .size:           8
        .value_kind:     global_buffer
      - .offset:         80
        .size:           8
        .value_kind:     by_value
      - .address_space:  global
        .offset:         88
        .size:           8
        .value_kind:     global_buffer
      - .offset:         96
        .size:           4
        .value_kind:     by_value
      - .offset:         100
        .size:           1
        .value_kind:     by_value
    .group_segment_fixed_size: 1024
    .kernarg_segment_align: 8
    .kernarg_segment_size: 104
    .language:       OpenCL C
    .language_version:
      - 2
      - 0
    .max_flat_workgroup_size: 256
    .name:           _ZN9rocsparseL29csrmvn_lrb_medium_rows_kernelILj256EliaaffEEvbT0_PT1_S3_jNS_24const_host_device_scalarIT5_EEPKS1_PKS2_PKT2_PKT3_S6_PT4_21rocsparse_index_base_b
    .private_segment_fixed_size: 0
    .sgpr_count:     20
    .sgpr_spill_count: 0
    .symbol:         _ZN9rocsparseL29csrmvn_lrb_medium_rows_kernelILj256EliaaffEEvbT0_PT1_S3_jNS_24const_host_device_scalarIT5_EEPKS1_PKS2_PKT2_PKT3_S6_PT4_21rocsparse_index_base_b.kd
    .uniform_work_group_size: 1
    .uses_dynamic_stack: false
    .vgpr_count:     9
    .vgpr_spill_count: 0
    .wavefront_size: 32
  - .args:
      - .offset:         0
        .size:           1
        .value_kind:     by_value
      - .offset:         8
        .size:           8
        .value_kind:     by_value
      - .address_space:  global
        .offset:         16
        .size:           8
        .value_kind:     global_buffer
      - .actual_access:  read_only
        .address_space:  global
        .offset:         24
        .size:           8
        .value_kind:     global_buffer
      - .actual_access:  read_only
        .address_space:  global
        .offset:         32
        .size:           8
        .value_kind:     global_buffer
      - .offset:         40
        .size:           4
        .value_kind:     by_value
      - .offset:         48
        .size:           8
        .value_kind:     by_value
      - .actual_access:  read_only
        .address_space:  global
        .offset:         56
        .size:           8
        .value_kind:     global_buffer
      - .actual_access:  read_only
        .address_space:  global
        .offset:         64
        .size:           8
        .value_kind:     global_buffer
      - .actual_access:  read_only
        .address_space:  global
        .offset:         72
        .size:           8
        .value_kind:     global_buffer
      - .actual_access:  read_only
        .address_space:  global
        .offset:         80
        .size:           8
        .value_kind:     global_buffer
      - .offset:         88
        .size:           8
        .value_kind:     by_value
      - .address_space:  global
        .offset:         96
        .size:           8
        .value_kind:     global_buffer
      - .offset:         104
        .size:           4
        .value_kind:     by_value
      - .offset:         108
        .size:           1
        .value_kind:     by_value
    .group_segment_fixed_size: 1024
    .kernarg_segment_align: 8
    .kernarg_segment_size: 112
    .language:       OpenCL C
    .language_version:
      - 2
      - 0
    .max_flat_workgroup_size: 256
    .name:           _ZN9rocsparseL27csrmvn_lrb_long_rows_kernelIliaaffEEvbT_PjPT0_S4_jNS_24const_host_device_scalarIT4_EEPKS1_PKS3_PKT1_PKT2_S7_PT3_21rocsparse_index_base_b
    .private_segment_fixed_size: 0
    .sgpr_count:     26
    .sgpr_spill_count: 0
    .symbol:         _ZN9rocsparseL27csrmvn_lrb_long_rows_kernelIliaaffEEvbT_PjPT0_S4_jNS_24const_host_device_scalarIT4_EEPKS1_PKS3_PKT1_PKT2_S7_PT3_21rocsparse_index_base_b.kd
    .uniform_work_group_size: 1
    .uses_dynamic_stack: false
    .vgpr_count:     12
    .vgpr_spill_count: 0
    .wavefront_size: 32
  - .args:
      - .offset:         0
        .size:           1
        .value_kind:     by_value
      - .offset:         8
        .size:           8
        .value_kind:     by_value
      - .actual_access:  read_only
        .address_space:  global
        .offset:         16
        .size:           8
        .value_kind:     global_buffer
      - .actual_access:  read_only
        .address_space:  global
        .offset:         24
        .size:           8
        .value_kind:     global_buffer
      - .offset:         32
        .size:           4
        .value_kind:     by_value
      - .offset:         40
        .size:           8
        .value_kind:     by_value
      - .actual_access:  read_only
        .address_space:  global
        .offset:         48
        .size:           8
        .value_kind:     global_buffer
      - .actual_access:  read_only
        .address_space:  global
        .offset:         56
        .size:           8
        .value_kind:     global_buffer
      - .actual_access:  read_only
        .address_space:  global
        .offset:         64
        .size:           8
        .value_kind:     global_buffer
      - .actual_access:  read_only
        .address_space:  global
        .offset:         72
        .size:           8
        .value_kind:     global_buffer
      - .offset:         80
        .size:           8
        .value_kind:     by_value
      - .address_space:  global
        .offset:         88
        .size:           8
        .value_kind:     global_buffer
      - .offset:         96
        .size:           4
        .value_kind:     by_value
      - .offset:         100
        .size:           1
        .value_kind:     by_value
    .group_segment_fixed_size: 0
    .kernarg_segment_align: 8
    .kernarg_segment_size: 104
    .language:       OpenCL C
    .language_version:
      - 2
      - 0
    .max_flat_workgroup_size: 256
    .name:           _ZN9rocsparseL28csrmvn_lrb_short_rows_kernelIllaaffEEvbT_PT0_S3_jNS_24const_host_device_scalarIT4_EEPKS1_PKS2_PKT1_PKT2_S6_PT3_21rocsparse_index_base_b
    .private_segment_fixed_size: 0
    .sgpr_count:     29
    .sgpr_spill_count: 0
    .symbol:         _ZN9rocsparseL28csrmvn_lrb_short_rows_kernelIllaaffEEvbT_PT0_S3_jNS_24const_host_device_scalarIT4_EEPKS1_PKS2_PKT1_PKT2_S6_PT3_21rocsparse_index_base_b.kd
    .uniform_work_group_size: 1
    .uses_dynamic_stack: false
    .vgpr_count:     10
    .vgpr_spill_count: 0
    .wavefront_size: 32
  - .args:
      - .offset:         0
        .size:           1
        .value_kind:     by_value
      - .offset:         8
        .size:           8
        .value_kind:     by_value
      - .actual_access:  read_only
        .address_space:  global
        .offset:         16
        .size:           8
        .value_kind:     global_buffer
      - .actual_access:  read_only
        .address_space:  global
        .offset:         24
        .size:           8
        .value_kind:     global_buffer
      - .offset:         32
        .size:           4
        .value_kind:     by_value
      - .offset:         40
        .size:           8
        .value_kind:     by_value
      - .actual_access:  read_only
        .address_space:  global
        .offset:         48
        .size:           8
        .value_kind:     global_buffer
      - .actual_access:  read_only
        .address_space:  global
        .offset:         56
        .size:           8
        .value_kind:     global_buffer
      - .actual_access:  read_only
        .address_space:  global
        .offset:         64
        .size:           8
        .value_kind:     global_buffer
      - .actual_access:  read_only
        .address_space:  global
        .offset:         72
        .size:           8
        .value_kind:     global_buffer
      - .offset:         80
        .size:           8
        .value_kind:     by_value
      - .address_space:  global
        .offset:         88
        .size:           8
        .value_kind:     global_buffer
      - .offset:         96
        .size:           4
        .value_kind:     by_value
      - .offset:         100
        .size:           1
        .value_kind:     by_value
    .group_segment_fixed_size: 4096
    .kernarg_segment_align: 8
    .kernarg_segment_size: 104
    .language:       OpenCL C
    .language_version:
      - 2
      - 0
    .max_flat_workgroup_size: 256
    .name:           _ZN9rocsparseL30csrmvn_lrb_short_rows_2_kernelIllaaffEEvbT_PT0_S3_jNS_24const_host_device_scalarIT4_EEPKS1_PKS2_PKT1_PKT2_S6_PT3_21rocsparse_index_base_b
    .private_segment_fixed_size: 0
    .sgpr_count:     30
    .sgpr_spill_count: 0
    .symbol:         _ZN9rocsparseL30csrmvn_lrb_short_rows_2_kernelIllaaffEEvbT_PT0_S3_jNS_24const_host_device_scalarIT4_EEPKS1_PKS2_PKT1_PKT2_S6_PT3_21rocsparse_index_base_b.kd
    .uniform_work_group_size: 1
    .uses_dynamic_stack: false
    .vgpr_count:     9
    .vgpr_spill_count: 0
    .wavefront_size: 32
  - .args:
      - .offset:         0
        .size:           1
        .value_kind:     by_value
      - .offset:         8
        .size:           8
        .value_kind:     by_value
      - .offset:         16
        .size:           8
        .value_kind:     by_value
      - .actual_access:  read_only
        .address_space:  global
        .offset:         24
        .size:           8
        .value_kind:     global_buffer
      - .actual_access:  read_only
        .address_space:  global
        .offset:         32
        .size:           8
        .value_kind:     global_buffer
      - .offset:         40
        .size:           4
        .value_kind:     by_value
      - .offset:         48
        .size:           8
        .value_kind:     by_value
      - .actual_access:  read_only
        .address_space:  global
        .offset:         56
        .size:           8
        .value_kind:     global_buffer
      - .actual_access:  read_only
        .address_space:  global
        .offset:         64
        .size:           8
        .value_kind:     global_buffer
      - .actual_access:  read_only
        .address_space:  global
        .offset:         72
        .size:           8
        .value_kind:     global_buffer
      - .actual_access:  read_only
        .address_space:  global
        .offset:         80
        .size:           8
        .value_kind:     global_buffer
      - .offset:         88
        .size:           8
        .value_kind:     by_value
      - .address_space:  global
        .offset:         96
        .size:           8
        .value_kind:     global_buffer
      - .offset:         104
        .size:           4
        .value_kind:     by_value
      - .offset:         108
        .size:           1
        .value_kind:     by_value
    .group_segment_fixed_size: 0
    .kernarg_segment_align: 8
    .kernarg_segment_size: 112
    .language:       OpenCL C
    .language_version:
      - 2
      - 0
    .max_flat_workgroup_size: 256
    .name:           _ZN9rocsparseL41csrmvn_lrb_medium_rows_warp_reduce_kernelILj256ELj32EllaaffEEvbT1_lPT2_S3_jNS_24const_host_device_scalarIT6_EEPKS1_PKS2_PKT3_PKT4_S6_PT5_21rocsparse_index_base_b
    .private_segment_fixed_size: 0
    .sgpr_count:     16
    .sgpr_spill_count: 0
    .symbol:         _ZN9rocsparseL41csrmvn_lrb_medium_rows_warp_reduce_kernelILj256ELj32EllaaffEEvbT1_lPT2_S3_jNS_24const_host_device_scalarIT6_EEPKS1_PKS2_PKT3_PKT4_S6_PT5_21rocsparse_index_base_b.kd
    .uniform_work_group_size: 1
    .uses_dynamic_stack: false
    .vgpr_count:     16
    .vgpr_spill_count: 0
    .wavefront_size: 32
  - .args:
      - .offset:         0
        .size:           1
        .value_kind:     by_value
      - .offset:         8
        .size:           8
        .value_kind:     by_value
      - .offset:         16
        .size:           8
        .value_kind:     by_value
      - .actual_access:  read_only
        .address_space:  global
        .offset:         24
        .size:           8
        .value_kind:     global_buffer
      - .actual_access:  read_only
        .address_space:  global
        .offset:         32
        .size:           8
        .value_kind:     global_buffer
      - .offset:         40
        .size:           4
        .value_kind:     by_value
      - .offset:         48
        .size:           8
        .value_kind:     by_value
      - .actual_access:  read_only
        .address_space:  global
        .offset:         56
        .size:           8
        .value_kind:     global_buffer
      - .actual_access:  read_only
        .address_space:  global
        .offset:         64
        .size:           8
        .value_kind:     global_buffer
      - .actual_access:  read_only
        .address_space:  global
        .offset:         72
        .size:           8
        .value_kind:     global_buffer
      - .actual_access:  read_only
        .address_space:  global
        .offset:         80
        .size:           8
        .value_kind:     global_buffer
      - .offset:         88
        .size:           8
        .value_kind:     by_value
      - .address_space:  global
        .offset:         96
        .size:           8
        .value_kind:     global_buffer
      - .offset:         104
        .size:           4
        .value_kind:     by_value
      - .offset:         108
        .size:           1
        .value_kind:     by_value
    .group_segment_fixed_size: 0
    .kernarg_segment_align: 8
    .kernarg_segment_size: 112
    .language:       OpenCL C
    .language_version:
      - 2
      - 0
    .max_flat_workgroup_size: 256
    .name:           _ZN9rocsparseL41csrmvn_lrb_medium_rows_warp_reduce_kernelILj256ELj64EllaaffEEvbT1_lPT2_S3_jNS_24const_host_device_scalarIT6_EEPKS1_PKS2_PKT3_PKT4_S6_PT5_21rocsparse_index_base_b
    .private_segment_fixed_size: 0
    .sgpr_count:     16
    .sgpr_spill_count: 0
    .symbol:         _ZN9rocsparseL41csrmvn_lrb_medium_rows_warp_reduce_kernelILj256ELj64EllaaffEEvbT1_lPT2_S3_jNS_24const_host_device_scalarIT6_EEPKS1_PKS2_PKT3_PKT4_S6_PT5_21rocsparse_index_base_b.kd
    .uniform_work_group_size: 1
    .uses_dynamic_stack: false
    .vgpr_count:     16
    .vgpr_spill_count: 0
    .wavefront_size: 32
  - .args:
      - .offset:         0
        .size:           1
        .value_kind:     by_value
      - .offset:         8
        .size:           8
        .value_kind:     by_value
      - .actual_access:  read_only
        .address_space:  global
        .offset:         16
        .size:           8
        .value_kind:     global_buffer
      - .actual_access:  read_only
        .address_space:  global
        .offset:         24
        .size:           8
        .value_kind:     global_buffer
      - .offset:         32
        .size:           4
        .value_kind:     by_value
      - .offset:         40
        .size:           8
        .value_kind:     by_value
      - .actual_access:  read_only
        .address_space:  global
        .offset:         48
        .size:           8
        .value_kind:     global_buffer
      - .actual_access:  read_only
        .address_space:  global
        .offset:         56
        .size:           8
        .value_kind:     global_buffer
      - .actual_access:  read_only
        .address_space:  global
        .offset:         64
        .size:           8
        .value_kind:     global_buffer
      - .actual_access:  read_only
        .address_space:  global
        .offset:         72
        .size:           8
        .value_kind:     global_buffer
      - .offset:         80
        .size:           8
        .value_kind:     by_value
      - .address_space:  global
        .offset:         88
        .size:           8
        .value_kind:     global_buffer
      - .offset:         96
        .size:           4
        .value_kind:     by_value
      - .offset:         100
        .size:           1
        .value_kind:     by_value
    .group_segment_fixed_size: 1024
    .kernarg_segment_align: 8
    .kernarg_segment_size: 104
    .language:       OpenCL C
    .language_version:
      - 2
      - 0
    .max_flat_workgroup_size: 256
    .name:           _ZN9rocsparseL29csrmvn_lrb_medium_rows_kernelILj256EllaaffEEvbT0_PT1_S3_jNS_24const_host_device_scalarIT5_EEPKS1_PKS2_PKT2_PKT3_S6_PT4_21rocsparse_index_base_b
    .private_segment_fixed_size: 0
    .sgpr_count:     20
    .sgpr_spill_count: 0
    .symbol:         _ZN9rocsparseL29csrmvn_lrb_medium_rows_kernelILj256EllaaffEEvbT0_PT1_S3_jNS_24const_host_device_scalarIT5_EEPKS1_PKS2_PKT2_PKT3_S6_PT4_21rocsparse_index_base_b.kd
    .uniform_work_group_size: 1
    .uses_dynamic_stack: false
    .vgpr_count:     12
    .vgpr_spill_count: 0
    .wavefront_size: 32
  - .args:
      - .offset:         0
        .size:           1
        .value_kind:     by_value
      - .offset:         8
        .size:           8
        .value_kind:     by_value
      - .address_space:  global
        .offset:         16
        .size:           8
        .value_kind:     global_buffer
      - .actual_access:  read_only
        .address_space:  global
        .offset:         24
        .size:           8
        .value_kind:     global_buffer
      - .actual_access:  read_only
        .address_space:  global
        .offset:         32
        .size:           8
        .value_kind:     global_buffer
      - .offset:         40
        .size:           4
        .value_kind:     by_value
      - .offset:         48
        .size:           8
        .value_kind:     by_value
      - .actual_access:  read_only
        .address_space:  global
        .offset:         56
        .size:           8
        .value_kind:     global_buffer
      - .actual_access:  read_only
        .address_space:  global
        .offset:         64
        .size:           8
        .value_kind:     global_buffer
      - .actual_access:  read_only
        .address_space:  global
        .offset:         72
        .size:           8
        .value_kind:     global_buffer
      - .actual_access:  read_only
        .address_space:  global
        .offset:         80
        .size:           8
        .value_kind:     global_buffer
      - .offset:         88
        .size:           8
        .value_kind:     by_value
      - .address_space:  global
        .offset:         96
        .size:           8
        .value_kind:     global_buffer
      - .offset:         104
        .size:           4
        .value_kind:     by_value
      - .offset:         108
        .size:           1
        .value_kind:     by_value
    .group_segment_fixed_size: 1024
    .kernarg_segment_align: 8
    .kernarg_segment_size: 112
    .language:       OpenCL C
    .language_version:
      - 2
      - 0
    .max_flat_workgroup_size: 256
    .name:           _ZN9rocsparseL27csrmvn_lrb_long_rows_kernelIllaaffEEvbT_PjPT0_S4_jNS_24const_host_device_scalarIT4_EEPKS1_PKS3_PKT1_PKT2_S7_PT3_21rocsparse_index_base_b
    .private_segment_fixed_size: 0
    .sgpr_count:     30
    .sgpr_spill_count: 0
    .symbol:         _ZN9rocsparseL27csrmvn_lrb_long_rows_kernelIllaaffEEvbT_PjPT0_S4_jNS_24const_host_device_scalarIT4_EEPKS1_PKS3_PKT1_PKT2_S7_PT3_21rocsparse_index_base_b.kd
    .uniform_work_group_size: 1
    .uses_dynamic_stack: false
    .vgpr_count:     14
    .vgpr_spill_count: 0
    .wavefront_size: 32
  - .args:
      - .offset:         0
        .size:           1
        .value_kind:     by_value
      - .offset:         4
        .size:           4
        .value_kind:     by_value
      - .actual_access:  read_only
        .address_space:  global
        .offset:         8
        .size:           8
        .value_kind:     global_buffer
      - .actual_access:  read_only
        .address_space:  global
        .offset:         16
        .size:           8
        .value_kind:     global_buffer
      - .offset:         24
        .size:           4
        .value_kind:     by_value
      - .offset:         32
        .size:           8
        .value_kind:     by_value
      - .actual_access:  read_only
        .address_space:  global
        .offset:         40
        .size:           8
        .value_kind:     global_buffer
      - .actual_access:  read_only
        .address_space:  global
        .offset:         48
        .size:           8
        .value_kind:     global_buffer
      - .actual_access:  read_only
        .address_space:  global
        .offset:         56
        .size:           8
        .value_kind:     global_buffer
      - .actual_access:  read_only
        .address_space:  global
        .offset:         64
        .size:           8
        .value_kind:     global_buffer
      - .offset:         72
        .size:           8
        .value_kind:     by_value
      - .address_space:  global
        .offset:         80
        .size:           8
        .value_kind:     global_buffer
      - .offset:         88
        .size:           4
        .value_kind:     by_value
      - .offset:         92
        .size:           1
        .value_kind:     by_value
    .group_segment_fixed_size: 0
    .kernarg_segment_align: 8
    .kernarg_segment_size: 96
    .language:       OpenCL C
    .language_version:
      - 2
      - 0
    .max_flat_workgroup_size: 256
    .name:           _ZN9rocsparseL28csrmvn_lrb_short_rows_kernelIiiDF16_DF16_ffEEvbT_PT0_S3_jNS_24const_host_device_scalarIT4_EEPKS1_PKS2_PKT1_PKT2_S6_PT3_21rocsparse_index_base_b
    .private_segment_fixed_size: 0
    .sgpr_count:     25
    .sgpr_spill_count: 0
    .symbol:         _ZN9rocsparseL28csrmvn_lrb_short_rows_kernelIiiDF16_DF16_ffEEvbT_PT0_S3_jNS_24const_host_device_scalarIT4_EEPKS1_PKS2_PKT1_PKT2_S6_PT3_21rocsparse_index_base_b.kd
    .uniform_work_group_size: 1
    .uses_dynamic_stack: false
    .vgpr_count:     7
    .vgpr_spill_count: 0
    .wavefront_size: 32
  - .args:
      - .offset:         0
        .size:           1
        .value_kind:     by_value
      - .offset:         4
        .size:           4
        .value_kind:     by_value
      - .actual_access:  read_only
        .address_space:  global
        .offset:         8
        .size:           8
        .value_kind:     global_buffer
      - .actual_access:  read_only
        .address_space:  global
        .offset:         16
        .size:           8
        .value_kind:     global_buffer
      - .offset:         24
        .size:           4
        .value_kind:     by_value
      - .offset:         32
        .size:           8
        .value_kind:     by_value
      - .actual_access:  read_only
        .address_space:  global
        .offset:         40
        .size:           8
        .value_kind:     global_buffer
      - .actual_access:  read_only
        .address_space:  global
        .offset:         48
        .size:           8
        .value_kind:     global_buffer
      - .actual_access:  read_only
        .address_space:  global
        .offset:         56
        .size:           8
        .value_kind:     global_buffer
      - .actual_access:  read_only
        .address_space:  global
        .offset:         64
        .size:           8
        .value_kind:     global_buffer
      - .offset:         72
        .size:           8
        .value_kind:     by_value
      - .address_space:  global
        .offset:         80
        .size:           8
        .value_kind:     global_buffer
      - .offset:         88
        .size:           4
        .value_kind:     by_value
      - .offset:         92
        .size:           1
        .value_kind:     by_value
    .group_segment_fixed_size: 4096
    .kernarg_segment_align: 8
    .kernarg_segment_size: 96
    .language:       OpenCL C
    .language_version:
      - 2
      - 0
    .max_flat_workgroup_size: 256
    .name:           _ZN9rocsparseL30csrmvn_lrb_short_rows_2_kernelIiiDF16_DF16_ffEEvbT_PT0_S3_jNS_24const_host_device_scalarIT4_EEPKS1_PKS2_PKT1_PKT2_S6_PT3_21rocsparse_index_base_b
    .private_segment_fixed_size: 0
    .sgpr_count:     24
    .sgpr_spill_count: 0
    .symbol:         _ZN9rocsparseL30csrmvn_lrb_short_rows_2_kernelIiiDF16_DF16_ffEEvbT_PT0_S3_jNS_24const_host_device_scalarIT4_EEPKS1_PKS2_PKT1_PKT2_S6_PT3_21rocsparse_index_base_b.kd
    .uniform_work_group_size: 1
    .uses_dynamic_stack: false
    .vgpr_count:     6
    .vgpr_spill_count: 0
    .wavefront_size: 32
  - .args:
      - .offset:         0
        .size:           1
        .value_kind:     by_value
      - .offset:         4
        .size:           4
        .value_kind:     by_value
      - .offset:         8
        .size:           8
        .value_kind:     by_value
      - .actual_access:  read_only
        .address_space:  global
        .offset:         16
        .size:           8
        .value_kind:     global_buffer
      - .actual_access:  read_only
        .address_space:  global
        .offset:         24
        .size:           8
        .value_kind:     global_buffer
      - .offset:         32
        .size:           4
        .value_kind:     by_value
      - .offset:         40
        .size:           8
        .value_kind:     by_value
      - .actual_access:  read_only
        .address_space:  global
        .offset:         48
        .size:           8
        .value_kind:     global_buffer
      - .actual_access:  read_only
        .address_space:  global
        .offset:         56
        .size:           8
        .value_kind:     global_buffer
      - .actual_access:  read_only
        .address_space:  global
        .offset:         64
        .size:           8
        .value_kind:     global_buffer
      - .actual_access:  read_only
        .address_space:  global
        .offset:         72
        .size:           8
        .value_kind:     global_buffer
      - .offset:         80
        .size:           8
        .value_kind:     by_value
      - .address_space:  global
        .offset:         88
        .size:           8
        .value_kind:     global_buffer
      - .offset:         96
        .size:           4
        .value_kind:     by_value
      - .offset:         100
        .size:           1
        .value_kind:     by_value
    .group_segment_fixed_size: 0
    .kernarg_segment_align: 8
    .kernarg_segment_size: 104
    .language:       OpenCL C
    .language_version:
      - 2
      - 0
    .max_flat_workgroup_size: 256
    .name:           _ZN9rocsparseL41csrmvn_lrb_medium_rows_warp_reduce_kernelILj256ELj32EiiDF16_DF16_ffEEvbT1_lPT2_S3_jNS_24const_host_device_scalarIT6_EEPKS1_PKS2_PKT3_PKT4_S6_PT5_21rocsparse_index_base_b
    .private_segment_fixed_size: 0
    .sgpr_count:     16
    .sgpr_spill_count: 0
    .symbol:         _ZN9rocsparseL41csrmvn_lrb_medium_rows_warp_reduce_kernelILj256ELj32EiiDF16_DF16_ffEEvbT1_lPT2_S3_jNS_24const_host_device_scalarIT6_EEPKS1_PKS2_PKT3_PKT4_S6_PT5_21rocsparse_index_base_b.kd
    .uniform_work_group_size: 1
    .uses_dynamic_stack: false
    .vgpr_count:     8
    .vgpr_spill_count: 0
    .wavefront_size: 32
  - .args:
      - .offset:         0
        .size:           1
        .value_kind:     by_value
      - .offset:         4
        .size:           4
        .value_kind:     by_value
      - .offset:         8
        .size:           8
        .value_kind:     by_value
      - .actual_access:  read_only
        .address_space:  global
        .offset:         16
        .size:           8
        .value_kind:     global_buffer
      - .actual_access:  read_only
        .address_space:  global
        .offset:         24
        .size:           8
        .value_kind:     global_buffer
      - .offset:         32
        .size:           4
        .value_kind:     by_value
      - .offset:         40
        .size:           8
        .value_kind:     by_value
      - .actual_access:  read_only
        .address_space:  global
        .offset:         48
        .size:           8
        .value_kind:     global_buffer
      - .actual_access:  read_only
        .address_space:  global
        .offset:         56
        .size:           8
        .value_kind:     global_buffer
      - .actual_access:  read_only
        .address_space:  global
        .offset:         64
        .size:           8
        .value_kind:     global_buffer
      - .actual_access:  read_only
        .address_space:  global
        .offset:         72
        .size:           8
        .value_kind:     global_buffer
      - .offset:         80
        .size:           8
        .value_kind:     by_value
      - .address_space:  global
        .offset:         88
        .size:           8
        .value_kind:     global_buffer
      - .offset:         96
        .size:           4
        .value_kind:     by_value
      - .offset:         100
        .size:           1
        .value_kind:     by_value
    .group_segment_fixed_size: 0
    .kernarg_segment_align: 8
    .kernarg_segment_size: 104
    .language:       OpenCL C
    .language_version:
      - 2
      - 0
    .max_flat_workgroup_size: 256
    .name:           _ZN9rocsparseL41csrmvn_lrb_medium_rows_warp_reduce_kernelILj256ELj64EiiDF16_DF16_ffEEvbT1_lPT2_S3_jNS_24const_host_device_scalarIT6_EEPKS1_PKS2_PKT3_PKT4_S6_PT5_21rocsparse_index_base_b
    .private_segment_fixed_size: 0
    .sgpr_count:     16
    .sgpr_spill_count: 0
    .symbol:         _ZN9rocsparseL41csrmvn_lrb_medium_rows_warp_reduce_kernelILj256ELj64EiiDF16_DF16_ffEEvbT1_lPT2_S3_jNS_24const_host_device_scalarIT6_EEPKS1_PKS2_PKT3_PKT4_S6_PT5_21rocsparse_index_base_b.kd
    .uniform_work_group_size: 1
    .uses_dynamic_stack: false
    .vgpr_count:     8
    .vgpr_spill_count: 0
    .wavefront_size: 32
  - .args:
      - .offset:         0
        .size:           1
        .value_kind:     by_value
      - .offset:         4
        .size:           4
        .value_kind:     by_value
      - .actual_access:  read_only
        .address_space:  global
        .offset:         8
        .size:           8
        .value_kind:     global_buffer
      - .actual_access:  read_only
        .address_space:  global
        .offset:         16
        .size:           8
        .value_kind:     global_buffer
      - .offset:         24
        .size:           4
        .value_kind:     by_value
      - .offset:         32
        .size:           8
        .value_kind:     by_value
      - .actual_access:  read_only
        .address_space:  global
        .offset:         40
        .size:           8
        .value_kind:     global_buffer
      - .actual_access:  read_only
        .address_space:  global
        .offset:         48
        .size:           8
        .value_kind:     global_buffer
      - .actual_access:  read_only
        .address_space:  global
        .offset:         56
        .size:           8
        .value_kind:     global_buffer
      - .actual_access:  read_only
        .address_space:  global
        .offset:         64
        .size:           8
        .value_kind:     global_buffer
      - .offset:         72
        .size:           8
        .value_kind:     by_value
      - .address_space:  global
        .offset:         80
        .size:           8
        .value_kind:     global_buffer
      - .offset:         88
        .size:           4
        .value_kind:     by_value
      - .offset:         92
        .size:           1
        .value_kind:     by_value
    .group_segment_fixed_size: 1024
    .kernarg_segment_align: 8
    .kernarg_segment_size: 96
    .language:       OpenCL C
    .language_version:
      - 2
      - 0
    .max_flat_workgroup_size: 256
    .name:           _ZN9rocsparseL29csrmvn_lrb_medium_rows_kernelILj256EiiDF16_DF16_ffEEvbT0_PT1_S3_jNS_24const_host_device_scalarIT5_EEPKS1_PKS2_PKT2_PKT3_S6_PT4_21rocsparse_index_base_b
    .private_segment_fixed_size: 0
    .sgpr_count:     18
    .sgpr_spill_count: 0
    .symbol:         _ZN9rocsparseL29csrmvn_lrb_medium_rows_kernelILj256EiiDF16_DF16_ffEEvbT0_PT1_S3_jNS_24const_host_device_scalarIT5_EEPKS1_PKS2_PKT2_PKT3_S6_PT4_21rocsparse_index_base_b.kd
    .uniform_work_group_size: 1
    .uses_dynamic_stack: false
    .vgpr_count:     5
    .vgpr_spill_count: 0
    .wavefront_size: 32
  - .args:
      - .offset:         0
        .size:           1
        .value_kind:     by_value
      - .offset:         4
        .size:           4
        .value_kind:     by_value
      - .address_space:  global
        .offset:         8
        .size:           8
        .value_kind:     global_buffer
      - .actual_access:  read_only
        .address_space:  global
        .offset:         16
        .size:           8
        .value_kind:     global_buffer
      - .actual_access:  read_only
        .address_space:  global
        .offset:         24
        .size:           8
        .value_kind:     global_buffer
      - .offset:         32
        .size:           4
        .value_kind:     by_value
      - .offset:         40
        .size:           8
        .value_kind:     by_value
      - .actual_access:  read_only
        .address_space:  global
        .offset:         48
        .size:           8
        .value_kind:     global_buffer
      - .actual_access:  read_only
        .address_space:  global
        .offset:         56
        .size:           8
        .value_kind:     global_buffer
      - .actual_access:  read_only
        .address_space:  global
        .offset:         64
        .size:           8
        .value_kind:     global_buffer
      - .actual_access:  read_only
        .address_space:  global
        .offset:         72
        .size:           8
        .value_kind:     global_buffer
      - .offset:         80
        .size:           8
        .value_kind:     by_value
      - .address_space:  global
        .offset:         88
        .size:           8
        .value_kind:     global_buffer
      - .offset:         96
        .size:           4
        .value_kind:     by_value
      - .offset:         100
        .size:           1
        .value_kind:     by_value
    .group_segment_fixed_size: 1024
    .kernarg_segment_align: 8
    .kernarg_segment_size: 104
    .language:       OpenCL C
    .language_version:
      - 2
      - 0
    .max_flat_workgroup_size: 256
    .name:           _ZN9rocsparseL27csrmvn_lrb_long_rows_kernelIiiDF16_DF16_ffEEvbT_PjPT0_S4_jNS_24const_host_device_scalarIT4_EEPKS1_PKS3_PKT1_PKT2_S7_PT3_21rocsparse_index_base_b
    .private_segment_fixed_size: 0
    .sgpr_count:     25
    .sgpr_spill_count: 0
    .symbol:         _ZN9rocsparseL27csrmvn_lrb_long_rows_kernelIiiDF16_DF16_ffEEvbT_PjPT0_S4_jNS_24const_host_device_scalarIT4_EEPKS1_PKS3_PKT1_PKT2_S7_PT3_21rocsparse_index_base_b.kd
    .uniform_work_group_size: 1
    .uses_dynamic_stack: false
    .vgpr_count:     5
    .vgpr_spill_count: 0
    .wavefront_size: 32
  - .args:
      - .offset:         0
        .size:           1
        .value_kind:     by_value
      - .offset:         8
        .size:           8
        .value_kind:     by_value
      - .actual_access:  read_only
        .address_space:  global
        .offset:         16
        .size:           8
        .value_kind:     global_buffer
      - .actual_access:  read_only
        .address_space:  global
        .offset:         24
        .size:           8
        .value_kind:     global_buffer
      - .offset:         32
        .size:           4
        .value_kind:     by_value
      - .offset:         40
        .size:           8
        .value_kind:     by_value
      - .actual_access:  read_only
        .address_space:  global
        .offset:         48
        .size:           8
        .value_kind:     global_buffer
      - .actual_access:  read_only
        .address_space:  global
        .offset:         56
        .size:           8
        .value_kind:     global_buffer
      - .actual_access:  read_only
        .address_space:  global
        .offset:         64
        .size:           8
        .value_kind:     global_buffer
      - .actual_access:  read_only
        .address_space:  global
        .offset:         72
        .size:           8
        .value_kind:     global_buffer
      - .offset:         80
        .size:           8
        .value_kind:     by_value
      - .address_space:  global
        .offset:         88
        .size:           8
        .value_kind:     global_buffer
      - .offset:         96
        .size:           4
        .value_kind:     by_value
      - .offset:         100
        .size:           1
        .value_kind:     by_value
    .group_segment_fixed_size: 0
    .kernarg_segment_align: 8
    .kernarg_segment_size: 104
    .language:       OpenCL C
    .language_version:
      - 2
      - 0
    .max_flat_workgroup_size: 256
    .name:           _ZN9rocsparseL28csrmvn_lrb_short_rows_kernelIliDF16_DF16_ffEEvbT_PT0_S3_jNS_24const_host_device_scalarIT4_EEPKS1_PKS2_PKT1_PKT2_S6_PT3_21rocsparse_index_base_b
    .private_segment_fixed_size: 0
    .sgpr_count:     26
    .sgpr_spill_count: 0
    .symbol:         _ZN9rocsparseL28csrmvn_lrb_short_rows_kernelIliDF16_DF16_ffEEvbT_PT0_S3_jNS_24const_host_device_scalarIT4_EEPKS1_PKS2_PKT1_PKT2_S6_PT3_21rocsparse_index_base_b.kd
    .uniform_work_group_size: 1
    .uses_dynamic_stack: false
    .vgpr_count:     8
    .vgpr_spill_count: 0
    .wavefront_size: 32
  - .args:
      - .offset:         0
        .size:           1
        .value_kind:     by_value
      - .offset:         8
        .size:           8
        .value_kind:     by_value
      - .actual_access:  read_only
        .address_space:  global
        .offset:         16
        .size:           8
        .value_kind:     global_buffer
      - .actual_access:  read_only
        .address_space:  global
        .offset:         24
        .size:           8
        .value_kind:     global_buffer
      - .offset:         32
        .size:           4
        .value_kind:     by_value
      - .offset:         40
        .size:           8
        .value_kind:     by_value
      - .actual_access:  read_only
        .address_space:  global
        .offset:         48
        .size:           8
        .value_kind:     global_buffer
      - .actual_access:  read_only
        .address_space:  global
        .offset:         56
        .size:           8
        .value_kind:     global_buffer
      - .actual_access:  read_only
        .address_space:  global
        .offset:         64
        .size:           8
        .value_kind:     global_buffer
      - .actual_access:  read_only
        .address_space:  global
        .offset:         72
        .size:           8
        .value_kind:     global_buffer
      - .offset:         80
        .size:           8
        .value_kind:     by_value
      - .address_space:  global
        .offset:         88
        .size:           8
        .value_kind:     global_buffer
      - .offset:         96
        .size:           4
        .value_kind:     by_value
      - .offset:         100
        .size:           1
        .value_kind:     by_value
    .group_segment_fixed_size: 4096
    .kernarg_segment_align: 8
    .kernarg_segment_size: 104
    .language:       OpenCL C
    .language_version:
      - 2
      - 0
    .max_flat_workgroup_size: 256
    .name:           _ZN9rocsparseL30csrmvn_lrb_short_rows_2_kernelIliDF16_DF16_ffEEvbT_PT0_S3_jNS_24const_host_device_scalarIT4_EEPKS1_PKS2_PKT1_PKT2_S6_PT3_21rocsparse_index_base_b
    .private_segment_fixed_size: 0
    .sgpr_count:     25
    .sgpr_spill_count: 0
    .symbol:         _ZN9rocsparseL30csrmvn_lrb_short_rows_2_kernelIliDF16_DF16_ffEEvbT_PT0_S3_jNS_24const_host_device_scalarIT4_EEPKS1_PKS2_PKT1_PKT2_S6_PT3_21rocsparse_index_base_b.kd
    .uniform_work_group_size: 1
    .uses_dynamic_stack: false
    .vgpr_count:     8
    .vgpr_spill_count: 0
    .wavefront_size: 32
  - .args:
      - .offset:         0
        .size:           1
        .value_kind:     by_value
      - .offset:         8
        .size:           8
        .value_kind:     by_value
      - .offset:         16
        .size:           8
        .value_kind:     by_value
      - .actual_access:  read_only
        .address_space:  global
        .offset:         24
        .size:           8
        .value_kind:     global_buffer
      - .actual_access:  read_only
        .address_space:  global
        .offset:         32
        .size:           8
        .value_kind:     global_buffer
      - .offset:         40
        .size:           4
        .value_kind:     by_value
      - .offset:         48
        .size:           8
        .value_kind:     by_value
      - .actual_access:  read_only
        .address_space:  global
        .offset:         56
        .size:           8
        .value_kind:     global_buffer
      - .actual_access:  read_only
        .address_space:  global
        .offset:         64
        .size:           8
        .value_kind:     global_buffer
      - .actual_access:  read_only
        .address_space:  global
        .offset:         72
        .size:           8
        .value_kind:     global_buffer
      - .actual_access:  read_only
        .address_space:  global
        .offset:         80
        .size:           8
        .value_kind:     global_buffer
      - .offset:         88
        .size:           8
        .value_kind:     by_value
      - .address_space:  global
        .offset:         96
        .size:           8
        .value_kind:     global_buffer
      - .offset:         104
        .size:           4
        .value_kind:     by_value
      - .offset:         108
        .size:           1
        .value_kind:     by_value
    .group_segment_fixed_size: 0
    .kernarg_segment_align: 8
    .kernarg_segment_size: 112
    .language:       OpenCL C
    .language_version:
      - 2
      - 0
    .max_flat_workgroup_size: 256
    .name:           _ZN9rocsparseL41csrmvn_lrb_medium_rows_warp_reduce_kernelILj256ELj32EliDF16_DF16_ffEEvbT1_lPT2_S3_jNS_24const_host_device_scalarIT6_EEPKS1_PKS2_PKT3_PKT4_S6_PT5_21rocsparse_index_base_b
    .private_segment_fixed_size: 0
    .sgpr_count:     18
    .sgpr_spill_count: 0
    .symbol:         _ZN9rocsparseL41csrmvn_lrb_medium_rows_warp_reduce_kernelILj256ELj32EliDF16_DF16_ffEEvbT1_lPT2_S3_jNS_24const_host_device_scalarIT6_EEPKS1_PKS2_PKT3_PKT4_S6_PT5_21rocsparse_index_base_b.kd
    .uniform_work_group_size: 1
    .uses_dynamic_stack: false
    .vgpr_count:     14
    .vgpr_spill_count: 0
    .wavefront_size: 32
  - .args:
      - .offset:         0
        .size:           1
        .value_kind:     by_value
      - .offset:         8
        .size:           8
        .value_kind:     by_value
      - .offset:         16
        .size:           8
        .value_kind:     by_value
      - .actual_access:  read_only
        .address_space:  global
        .offset:         24
        .size:           8
        .value_kind:     global_buffer
      - .actual_access:  read_only
        .address_space:  global
        .offset:         32
        .size:           8
        .value_kind:     global_buffer
      - .offset:         40
        .size:           4
        .value_kind:     by_value
      - .offset:         48
        .size:           8
        .value_kind:     by_value
      - .actual_access:  read_only
        .address_space:  global
        .offset:         56
        .size:           8
        .value_kind:     global_buffer
      - .actual_access:  read_only
        .address_space:  global
        .offset:         64
        .size:           8
        .value_kind:     global_buffer
      - .actual_access:  read_only
        .address_space:  global
        .offset:         72
        .size:           8
        .value_kind:     global_buffer
      - .actual_access:  read_only
        .address_space:  global
        .offset:         80
        .size:           8
        .value_kind:     global_buffer
      - .offset:         88
        .size:           8
        .value_kind:     by_value
      - .address_space:  global
        .offset:         96
        .size:           8
        .value_kind:     global_buffer
      - .offset:         104
        .size:           4
        .value_kind:     by_value
      - .offset:         108
        .size:           1
        .value_kind:     by_value
    .group_segment_fixed_size: 0
    .kernarg_segment_align: 8
    .kernarg_segment_size: 112
    .language:       OpenCL C
    .language_version:
      - 2
      - 0
    .max_flat_workgroup_size: 256
    .name:           _ZN9rocsparseL41csrmvn_lrb_medium_rows_warp_reduce_kernelILj256ELj64EliDF16_DF16_ffEEvbT1_lPT2_S3_jNS_24const_host_device_scalarIT6_EEPKS1_PKS2_PKT3_PKT4_S6_PT5_21rocsparse_index_base_b
    .private_segment_fixed_size: 0
    .sgpr_count:     18
    .sgpr_spill_count: 0
    .symbol:         _ZN9rocsparseL41csrmvn_lrb_medium_rows_warp_reduce_kernelILj256ELj64EliDF16_DF16_ffEEvbT1_lPT2_S3_jNS_24const_host_device_scalarIT6_EEPKS1_PKS2_PKT3_PKT4_S6_PT5_21rocsparse_index_base_b.kd
    .uniform_work_group_size: 1
    .uses_dynamic_stack: false
    .vgpr_count:     14
    .vgpr_spill_count: 0
    .wavefront_size: 32
  - .args:
      - .offset:         0
        .size:           1
        .value_kind:     by_value
      - .offset:         8
        .size:           8
        .value_kind:     by_value
      - .actual_access:  read_only
        .address_space:  global
        .offset:         16
        .size:           8
        .value_kind:     global_buffer
      - .actual_access:  read_only
        .address_space:  global
        .offset:         24
        .size:           8
        .value_kind:     global_buffer
      - .offset:         32
        .size:           4
        .value_kind:     by_value
      - .offset:         40
        .size:           8
        .value_kind:     by_value
      - .actual_access:  read_only
        .address_space:  global
        .offset:         48
        .size:           8
        .value_kind:     global_buffer
      - .actual_access:  read_only
        .address_space:  global
        .offset:         56
        .size:           8
        .value_kind:     global_buffer
      - .actual_access:  read_only
        .address_space:  global
        .offset:         64
        .size:           8
        .value_kind:     global_buffer
      - .actual_access:  read_only
        .address_space:  global
        .offset:         72
        .size:           8
        .value_kind:     global_buffer
      - .offset:         80
        .size:           8
        .value_kind:     by_value
      - .address_space:  global
        .offset:         88
        .size:           8
        .value_kind:     global_buffer
      - .offset:         96
        .size:           4
        .value_kind:     by_value
      - .offset:         100
        .size:           1
        .value_kind:     by_value
    .group_segment_fixed_size: 1024
    .kernarg_segment_align: 8
    .kernarg_segment_size: 104
    .language:       OpenCL C
    .language_version:
      - 2
      - 0
    .max_flat_workgroup_size: 256
    .name:           _ZN9rocsparseL29csrmvn_lrb_medium_rows_kernelILj256EliDF16_DF16_ffEEvbT0_PT1_S3_jNS_24const_host_device_scalarIT5_EEPKS1_PKS2_PKT2_PKT3_S6_PT4_21rocsparse_index_base_b
    .private_segment_fixed_size: 0
    .sgpr_count:     22
    .sgpr_spill_count: 0
    .symbol:         _ZN9rocsparseL29csrmvn_lrb_medium_rows_kernelILj256EliDF16_DF16_ffEEvbT0_PT1_S3_jNS_24const_host_device_scalarIT5_EEPKS1_PKS2_PKT2_PKT3_S6_PT4_21rocsparse_index_base_b.kd
    .uniform_work_group_size: 1
    .uses_dynamic_stack: false
    .vgpr_count:     10
    .vgpr_spill_count: 0
    .wavefront_size: 32
  - .args:
      - .offset:         0
        .size:           1
        .value_kind:     by_value
      - .offset:         8
        .size:           8
        .value_kind:     by_value
      - .address_space:  global
        .offset:         16
        .size:           8
        .value_kind:     global_buffer
      - .actual_access:  read_only
        .address_space:  global
        .offset:         24
        .size:           8
        .value_kind:     global_buffer
      - .actual_access:  read_only
        .address_space:  global
        .offset:         32
        .size:           8
        .value_kind:     global_buffer
      - .offset:         40
        .size:           4
        .value_kind:     by_value
      - .offset:         48
        .size:           8
        .value_kind:     by_value
      - .actual_access:  read_only
        .address_space:  global
        .offset:         56
        .size:           8
        .value_kind:     global_buffer
      - .actual_access:  read_only
        .address_space:  global
        .offset:         64
        .size:           8
        .value_kind:     global_buffer
      - .actual_access:  read_only
        .address_space:  global
        .offset:         72
        .size:           8
        .value_kind:     global_buffer
      - .actual_access:  read_only
        .address_space:  global
        .offset:         80
        .size:           8
        .value_kind:     global_buffer
      - .offset:         88
        .size:           8
        .value_kind:     by_value
      - .address_space:  global
        .offset:         96
        .size:           8
        .value_kind:     global_buffer
      - .offset:         104
        .size:           4
        .value_kind:     by_value
      - .offset:         108
        .size:           1
        .value_kind:     by_value
    .group_segment_fixed_size: 1024
    .kernarg_segment_align: 8
    .kernarg_segment_size: 112
    .language:       OpenCL C
    .language_version:
      - 2
      - 0
    .max_flat_workgroup_size: 256
    .name:           _ZN9rocsparseL27csrmvn_lrb_long_rows_kernelIliDF16_DF16_ffEEvbT_PjPT0_S4_jNS_24const_host_device_scalarIT4_EEPKS1_PKS3_PKT1_PKT2_S7_PT3_21rocsparse_index_base_b
    .private_segment_fixed_size: 0
    .sgpr_count:     30
    .sgpr_spill_count: 0
    .symbol:         _ZN9rocsparseL27csrmvn_lrb_long_rows_kernelIliDF16_DF16_ffEEvbT_PjPT0_S4_jNS_24const_host_device_scalarIT4_EEPKS1_PKS3_PKT1_PKT2_S7_PT3_21rocsparse_index_base_b.kd
    .uniform_work_group_size: 1
    .uses_dynamic_stack: false
    .vgpr_count:     12
    .vgpr_spill_count: 0
    .wavefront_size: 32
  - .args:
      - .offset:         0
        .size:           1
        .value_kind:     by_value
      - .offset:         8
        .size:           8
        .value_kind:     by_value
      - .actual_access:  read_only
        .address_space:  global
        .offset:         16
        .size:           8
        .value_kind:     global_buffer
      - .actual_access:  read_only
        .address_space:  global
        .offset:         24
        .size:           8
        .value_kind:     global_buffer
      - .offset:         32
        .size:           4
        .value_kind:     by_value
      - .offset:         40
        .size:           8
        .value_kind:     by_value
      - .actual_access:  read_only
        .address_space:  global
        .offset:         48
        .size:           8
        .value_kind:     global_buffer
      - .actual_access:  read_only
        .address_space:  global
        .offset:         56
        .size:           8
        .value_kind:     global_buffer
      - .actual_access:  read_only
        .address_space:  global
        .offset:         64
        .size:           8
        .value_kind:     global_buffer
      - .actual_access:  read_only
        .address_space:  global
        .offset:         72
        .size:           8
        .value_kind:     global_buffer
      - .offset:         80
        .size:           8
        .value_kind:     by_value
      - .address_space:  global
        .offset:         88
        .size:           8
        .value_kind:     global_buffer
      - .offset:         96
        .size:           4
        .value_kind:     by_value
      - .offset:         100
        .size:           1
        .value_kind:     by_value
    .group_segment_fixed_size: 0
    .kernarg_segment_align: 8
    .kernarg_segment_size: 104
    .language:       OpenCL C
    .language_version:
      - 2
      - 0
    .max_flat_workgroup_size: 256
    .name:           _ZN9rocsparseL28csrmvn_lrb_short_rows_kernelIllDF16_DF16_ffEEvbT_PT0_S3_jNS_24const_host_device_scalarIT4_EEPKS1_PKS2_PKT1_PKT2_S6_PT3_21rocsparse_index_base_b
    .private_segment_fixed_size: 0
    .sgpr_count:     29
    .sgpr_spill_count: 0
    .symbol:         _ZN9rocsparseL28csrmvn_lrb_short_rows_kernelIllDF16_DF16_ffEEvbT_PT0_S3_jNS_24const_host_device_scalarIT4_EEPKS1_PKS2_PKT1_PKT2_S6_PT3_21rocsparse_index_base_b.kd
    .uniform_work_group_size: 1
    .uses_dynamic_stack: false
    .vgpr_count:     9
    .vgpr_spill_count: 0
    .wavefront_size: 32
  - .args:
      - .offset:         0
        .size:           1
        .value_kind:     by_value
      - .offset:         8
        .size:           8
        .value_kind:     by_value
      - .actual_access:  read_only
        .address_space:  global
        .offset:         16
        .size:           8
        .value_kind:     global_buffer
      - .actual_access:  read_only
        .address_space:  global
        .offset:         24
        .size:           8
        .value_kind:     global_buffer
      - .offset:         32
        .size:           4
        .value_kind:     by_value
      - .offset:         40
        .size:           8
        .value_kind:     by_value
      - .actual_access:  read_only
        .address_space:  global
        .offset:         48
        .size:           8
        .value_kind:     global_buffer
      - .actual_access:  read_only
        .address_space:  global
        .offset:         56
        .size:           8
        .value_kind:     global_buffer
      - .actual_access:  read_only
        .address_space:  global
        .offset:         64
        .size:           8
        .value_kind:     global_buffer
      - .actual_access:  read_only
        .address_space:  global
        .offset:         72
        .size:           8
        .value_kind:     global_buffer
      - .offset:         80
        .size:           8
        .value_kind:     by_value
      - .address_space:  global
        .offset:         88
        .size:           8
        .value_kind:     global_buffer
      - .offset:         96
        .size:           4
        .value_kind:     by_value
      - .offset:         100
        .size:           1
        .value_kind:     by_value
    .group_segment_fixed_size: 4096
    .kernarg_segment_align: 8
    .kernarg_segment_size: 104
    .language:       OpenCL C
    .language_version:
      - 2
      - 0
    .max_flat_workgroup_size: 256
    .name:           _ZN9rocsparseL30csrmvn_lrb_short_rows_2_kernelIllDF16_DF16_ffEEvbT_PT0_S3_jNS_24const_host_device_scalarIT4_EEPKS1_PKS2_PKT1_PKT2_S6_PT3_21rocsparse_index_base_b
    .private_segment_fixed_size: 0
    .sgpr_count:     30
    .sgpr_spill_count: 0
    .symbol:         _ZN9rocsparseL30csrmvn_lrb_short_rows_2_kernelIllDF16_DF16_ffEEvbT_PT0_S3_jNS_24const_host_device_scalarIT4_EEPKS1_PKS2_PKT1_PKT2_S6_PT3_21rocsparse_index_base_b.kd
    .uniform_work_group_size: 1
    .uses_dynamic_stack: false
    .vgpr_count:     8
    .vgpr_spill_count: 0
    .wavefront_size: 32
  - .args:
      - .offset:         0
        .size:           1
        .value_kind:     by_value
      - .offset:         8
        .size:           8
        .value_kind:     by_value
      - .offset:         16
        .size:           8
        .value_kind:     by_value
      - .actual_access:  read_only
        .address_space:  global
        .offset:         24
        .size:           8
        .value_kind:     global_buffer
      - .actual_access:  read_only
        .address_space:  global
        .offset:         32
        .size:           8
        .value_kind:     global_buffer
      - .offset:         40
        .size:           4
        .value_kind:     by_value
      - .offset:         48
        .size:           8
        .value_kind:     by_value
      - .actual_access:  read_only
        .address_space:  global
        .offset:         56
        .size:           8
        .value_kind:     global_buffer
      - .actual_access:  read_only
        .address_space:  global
        .offset:         64
        .size:           8
        .value_kind:     global_buffer
      - .actual_access:  read_only
        .address_space:  global
        .offset:         72
        .size:           8
        .value_kind:     global_buffer
      - .actual_access:  read_only
        .address_space:  global
        .offset:         80
        .size:           8
        .value_kind:     global_buffer
      - .offset:         88
        .size:           8
        .value_kind:     by_value
      - .address_space:  global
        .offset:         96
        .size:           8
        .value_kind:     global_buffer
      - .offset:         104
        .size:           4
        .value_kind:     by_value
      - .offset:         108
        .size:           1
        .value_kind:     by_value
    .group_segment_fixed_size: 0
    .kernarg_segment_align: 8
    .kernarg_segment_size: 112
    .language:       OpenCL C
    .language_version:
      - 2
      - 0
    .max_flat_workgroup_size: 256
    .name:           _ZN9rocsparseL41csrmvn_lrb_medium_rows_warp_reduce_kernelILj256ELj32EllDF16_DF16_ffEEvbT1_lPT2_S3_jNS_24const_host_device_scalarIT6_EEPKS1_PKS2_PKT3_PKT4_S6_PT5_21rocsparse_index_base_b
    .private_segment_fixed_size: 0
    .sgpr_count:     18
    .sgpr_spill_count: 0
    .symbol:         _ZN9rocsparseL41csrmvn_lrb_medium_rows_warp_reduce_kernelILj256ELj32EllDF16_DF16_ffEEvbT1_lPT2_S3_jNS_24const_host_device_scalarIT6_EEPKS1_PKS2_PKT3_PKT4_S6_PT5_21rocsparse_index_base_b.kd
    .uniform_work_group_size: 1
    .uses_dynamic_stack: false
    .vgpr_count:     15
    .vgpr_spill_count: 0
    .wavefront_size: 32
  - .args:
      - .offset:         0
        .size:           1
        .value_kind:     by_value
      - .offset:         8
        .size:           8
        .value_kind:     by_value
      - .offset:         16
        .size:           8
        .value_kind:     by_value
      - .actual_access:  read_only
        .address_space:  global
        .offset:         24
        .size:           8
        .value_kind:     global_buffer
      - .actual_access:  read_only
        .address_space:  global
        .offset:         32
        .size:           8
        .value_kind:     global_buffer
      - .offset:         40
        .size:           4
        .value_kind:     by_value
      - .offset:         48
        .size:           8
        .value_kind:     by_value
      - .actual_access:  read_only
        .address_space:  global
        .offset:         56
        .size:           8
        .value_kind:     global_buffer
      - .actual_access:  read_only
        .address_space:  global
        .offset:         64
        .size:           8
        .value_kind:     global_buffer
      - .actual_access:  read_only
        .address_space:  global
        .offset:         72
        .size:           8
        .value_kind:     global_buffer
      - .actual_access:  read_only
        .address_space:  global
        .offset:         80
        .size:           8
        .value_kind:     global_buffer
      - .offset:         88
        .size:           8
        .value_kind:     by_value
      - .address_space:  global
        .offset:         96
        .size:           8
        .value_kind:     global_buffer
      - .offset:         104
        .size:           4
        .value_kind:     by_value
      - .offset:         108
        .size:           1
        .value_kind:     by_value
    .group_segment_fixed_size: 0
    .kernarg_segment_align: 8
    .kernarg_segment_size: 112
    .language:       OpenCL C
    .language_version:
      - 2
      - 0
    .max_flat_workgroup_size: 256
    .name:           _ZN9rocsparseL41csrmvn_lrb_medium_rows_warp_reduce_kernelILj256ELj64EllDF16_DF16_ffEEvbT1_lPT2_S3_jNS_24const_host_device_scalarIT6_EEPKS1_PKS2_PKT3_PKT4_S6_PT5_21rocsparse_index_base_b
    .private_segment_fixed_size: 0
    .sgpr_count:     18
    .sgpr_spill_count: 0
    .symbol:         _ZN9rocsparseL41csrmvn_lrb_medium_rows_warp_reduce_kernelILj256ELj64EllDF16_DF16_ffEEvbT1_lPT2_S3_jNS_24const_host_device_scalarIT6_EEPKS1_PKS2_PKT3_PKT4_S6_PT5_21rocsparse_index_base_b.kd
    .uniform_work_group_size: 1
    .uses_dynamic_stack: false
    .vgpr_count:     15
    .vgpr_spill_count: 0
    .wavefront_size: 32
  - .args:
      - .offset:         0
        .size:           1
        .value_kind:     by_value
      - .offset:         8
        .size:           8
        .value_kind:     by_value
      - .actual_access:  read_only
        .address_space:  global
        .offset:         16
        .size:           8
        .value_kind:     global_buffer
      - .actual_access:  read_only
        .address_space:  global
        .offset:         24
        .size:           8
        .value_kind:     global_buffer
      - .offset:         32
        .size:           4
        .value_kind:     by_value
      - .offset:         40
        .size:           8
        .value_kind:     by_value
      - .actual_access:  read_only
        .address_space:  global
        .offset:         48
        .size:           8
        .value_kind:     global_buffer
      - .actual_access:  read_only
        .address_space:  global
        .offset:         56
        .size:           8
        .value_kind:     global_buffer
      - .actual_access:  read_only
        .address_space:  global
        .offset:         64
        .size:           8
        .value_kind:     global_buffer
      - .actual_access:  read_only
        .address_space:  global
        .offset:         72
        .size:           8
        .value_kind:     global_buffer
      - .offset:         80
        .size:           8
        .value_kind:     by_value
      - .address_space:  global
        .offset:         88
        .size:           8
        .value_kind:     global_buffer
      - .offset:         96
        .size:           4
        .value_kind:     by_value
      - .offset:         100
        .size:           1
        .value_kind:     by_value
    .group_segment_fixed_size: 1024
    .kernarg_segment_align: 8
    .kernarg_segment_size: 104
    .language:       OpenCL C
    .language_version:
      - 2
      - 0
    .max_flat_workgroup_size: 256
    .name:           _ZN9rocsparseL29csrmvn_lrb_medium_rows_kernelILj256EllDF16_DF16_ffEEvbT0_PT1_S3_jNS_24const_host_device_scalarIT5_EEPKS1_PKS2_PKT2_PKT3_S6_PT4_21rocsparse_index_base_b
    .private_segment_fixed_size: 0
    .sgpr_count:     22
    .sgpr_spill_count: 0
    .symbol:         _ZN9rocsparseL29csrmvn_lrb_medium_rows_kernelILj256EllDF16_DF16_ffEEvbT0_PT1_S3_jNS_24const_host_device_scalarIT5_EEPKS1_PKS2_PKT2_PKT3_S6_PT4_21rocsparse_index_base_b.kd
    .uniform_work_group_size: 1
    .uses_dynamic_stack: false
    .vgpr_count:     11
    .vgpr_spill_count: 0
    .wavefront_size: 32
  - .args:
      - .offset:         0
        .size:           1
        .value_kind:     by_value
      - .offset:         8
        .size:           8
        .value_kind:     by_value
      - .address_space:  global
        .offset:         16
        .size:           8
        .value_kind:     global_buffer
      - .actual_access:  read_only
        .address_space:  global
        .offset:         24
        .size:           8
        .value_kind:     global_buffer
      - .actual_access:  read_only
        .address_space:  global
        .offset:         32
        .size:           8
        .value_kind:     global_buffer
      - .offset:         40
        .size:           4
        .value_kind:     by_value
      - .offset:         48
        .size:           8
        .value_kind:     by_value
      - .actual_access:  read_only
        .address_space:  global
        .offset:         56
        .size:           8
        .value_kind:     global_buffer
      - .actual_access:  read_only
        .address_space:  global
        .offset:         64
        .size:           8
        .value_kind:     global_buffer
      - .actual_access:  read_only
        .address_space:  global
        .offset:         72
        .size:           8
        .value_kind:     global_buffer
      - .actual_access:  read_only
        .address_space:  global
        .offset:         80
        .size:           8
        .value_kind:     global_buffer
      - .offset:         88
        .size:           8
        .value_kind:     by_value
      - .address_space:  global
        .offset:         96
        .size:           8
        .value_kind:     global_buffer
      - .offset:         104
        .size:           4
        .value_kind:     by_value
      - .offset:         108
        .size:           1
        .value_kind:     by_value
    .group_segment_fixed_size: 1024
    .kernarg_segment_align: 8
    .kernarg_segment_size: 112
    .language:       OpenCL C
    .language_version:
      - 2
      - 0
    .max_flat_workgroup_size: 256
    .name:           _ZN9rocsparseL27csrmvn_lrb_long_rows_kernelIllDF16_DF16_ffEEvbT_PjPT0_S4_jNS_24const_host_device_scalarIT4_EEPKS1_PKS3_PKT1_PKT2_S7_PT3_21rocsparse_index_base_b
    .private_segment_fixed_size: 0
    .sgpr_count:     30
    .sgpr_spill_count: 0
    .symbol:         _ZN9rocsparseL27csrmvn_lrb_long_rows_kernelIllDF16_DF16_ffEEvbT_PjPT0_S4_jNS_24const_host_device_scalarIT4_EEPKS1_PKS3_PKT1_PKT2_S7_PT3_21rocsparse_index_base_b.kd
    .uniform_work_group_size: 1
    .uses_dynamic_stack: false
    .vgpr_count:     14
    .vgpr_spill_count: 0
    .wavefront_size: 32
  - .args:
      - .offset:         0
        .size:           1
        .value_kind:     by_value
      - .offset:         4
        .size:           4
        .value_kind:     by_value
      - .actual_access:  read_only
        .address_space:  global
        .offset:         8
        .size:           8
        .value_kind:     global_buffer
      - .actual_access:  read_only
        .address_space:  global
        .offset:         16
        .size:           8
        .value_kind:     global_buffer
      - .offset:         24
        .size:           4
        .value_kind:     by_value
      - .offset:         32
        .size:           8
        .value_kind:     by_value
      - .actual_access:  read_only
        .address_space:  global
        .offset:         40
        .size:           8
        .value_kind:     global_buffer
      - .actual_access:  read_only
        .address_space:  global
        .offset:         48
        .size:           8
        .value_kind:     global_buffer
      - .actual_access:  read_only
        .address_space:  global
        .offset:         56
        .size:           8
        .value_kind:     global_buffer
      - .actual_access:  read_only
        .address_space:  global
        .offset:         64
        .size:           8
        .value_kind:     global_buffer
      - .offset:         72
        .size:           8
        .value_kind:     by_value
      - .address_space:  global
        .offset:         80
        .size:           8
        .value_kind:     global_buffer
      - .offset:         88
        .size:           4
        .value_kind:     by_value
      - .offset:         92
        .size:           1
        .value_kind:     by_value
    .group_segment_fixed_size: 0
    .kernarg_segment_align: 8
    .kernarg_segment_size: 96
    .language:       OpenCL C
    .language_version:
      - 2
      - 0
    .max_flat_workgroup_size: 256
    .name:           _ZN9rocsparseL28csrmvn_lrb_short_rows_kernelIii18rocsparse_bfloat16S1_ffEEvbT_PT0_S4_jNS_24const_host_device_scalarIT4_EEPKS2_PKS3_PKT1_PKT2_S7_PT3_21rocsparse_index_base_b
    .private_segment_fixed_size: 0
    .sgpr_count:     25
    .sgpr_spill_count: 0
    .symbol:         _ZN9rocsparseL28csrmvn_lrb_short_rows_kernelIii18rocsparse_bfloat16S1_ffEEvbT_PT0_S4_jNS_24const_host_device_scalarIT4_EEPKS2_PKS3_PKT1_PKT2_S7_PT3_21rocsparse_index_base_b.kd
    .uniform_work_group_size: 1
    .uses_dynamic_stack: false
    .vgpr_count:     7
    .vgpr_spill_count: 0
    .wavefront_size: 32
  - .args:
      - .offset:         0
        .size:           1
        .value_kind:     by_value
      - .offset:         4
        .size:           4
        .value_kind:     by_value
      - .actual_access:  read_only
        .address_space:  global
        .offset:         8
        .size:           8
        .value_kind:     global_buffer
      - .actual_access:  read_only
        .address_space:  global
        .offset:         16
        .size:           8
        .value_kind:     global_buffer
      - .offset:         24
        .size:           4
        .value_kind:     by_value
      - .offset:         32
        .size:           8
        .value_kind:     by_value
      - .actual_access:  read_only
        .address_space:  global
        .offset:         40
        .size:           8
        .value_kind:     global_buffer
      - .actual_access:  read_only
        .address_space:  global
        .offset:         48
        .size:           8
        .value_kind:     global_buffer
      - .actual_access:  read_only
        .address_space:  global
        .offset:         56
        .size:           8
        .value_kind:     global_buffer
      - .actual_access:  read_only
        .address_space:  global
        .offset:         64
        .size:           8
        .value_kind:     global_buffer
      - .offset:         72
        .size:           8
        .value_kind:     by_value
      - .address_space:  global
        .offset:         80
        .size:           8
        .value_kind:     global_buffer
      - .offset:         88
        .size:           4
        .value_kind:     by_value
      - .offset:         92
        .size:           1
        .value_kind:     by_value
    .group_segment_fixed_size: 4096
    .kernarg_segment_align: 8
    .kernarg_segment_size: 96
    .language:       OpenCL C
    .language_version:
      - 2
      - 0
    .max_flat_workgroup_size: 256
    .name:           _ZN9rocsparseL30csrmvn_lrb_short_rows_2_kernelIii18rocsparse_bfloat16S1_ffEEvbT_PT0_S4_jNS_24const_host_device_scalarIT4_EEPKS2_PKS3_PKT1_PKT2_S7_PT3_21rocsparse_index_base_b
    .private_segment_fixed_size: 0
    .sgpr_count:     24
    .sgpr_spill_count: 0
    .symbol:         _ZN9rocsparseL30csrmvn_lrb_short_rows_2_kernelIii18rocsparse_bfloat16S1_ffEEvbT_PT0_S4_jNS_24const_host_device_scalarIT4_EEPKS2_PKS3_PKT1_PKT2_S7_PT3_21rocsparse_index_base_b.kd
    .uniform_work_group_size: 1
    .uses_dynamic_stack: false
    .vgpr_count:     6
    .vgpr_spill_count: 0
    .wavefront_size: 32
  - .args:
      - .offset:         0
        .size:           1
        .value_kind:     by_value
      - .offset:         4
        .size:           4
        .value_kind:     by_value
      - .offset:         8
        .size:           8
        .value_kind:     by_value
      - .actual_access:  read_only
        .address_space:  global
        .offset:         16
        .size:           8
        .value_kind:     global_buffer
      - .actual_access:  read_only
        .address_space:  global
        .offset:         24
        .size:           8
        .value_kind:     global_buffer
      - .offset:         32
        .size:           4
        .value_kind:     by_value
      - .offset:         40
        .size:           8
        .value_kind:     by_value
      - .actual_access:  read_only
        .address_space:  global
        .offset:         48
        .size:           8
        .value_kind:     global_buffer
      - .actual_access:  read_only
        .address_space:  global
        .offset:         56
        .size:           8
        .value_kind:     global_buffer
      - .actual_access:  read_only
        .address_space:  global
        .offset:         64
        .size:           8
        .value_kind:     global_buffer
      - .actual_access:  read_only
        .address_space:  global
        .offset:         72
        .size:           8
        .value_kind:     global_buffer
      - .offset:         80
        .size:           8
        .value_kind:     by_value
      - .address_space:  global
        .offset:         88
        .size:           8
        .value_kind:     global_buffer
      - .offset:         96
        .size:           4
        .value_kind:     by_value
      - .offset:         100
        .size:           1
        .value_kind:     by_value
    .group_segment_fixed_size: 0
    .kernarg_segment_align: 8
    .kernarg_segment_size: 104
    .language:       OpenCL C
    .language_version:
      - 2
      - 0
    .max_flat_workgroup_size: 256
    .name:           _ZN9rocsparseL41csrmvn_lrb_medium_rows_warp_reduce_kernelILj256ELj32Eii18rocsparse_bfloat16S1_ffEEvbT1_lPT2_S4_jNS_24const_host_device_scalarIT6_EEPKS2_PKS3_PKT3_PKT4_S7_PT5_21rocsparse_index_base_b
    .private_segment_fixed_size: 0
    .sgpr_count:     16
    .sgpr_spill_count: 0
    .symbol:         _ZN9rocsparseL41csrmvn_lrb_medium_rows_warp_reduce_kernelILj256ELj32Eii18rocsparse_bfloat16S1_ffEEvbT1_lPT2_S4_jNS_24const_host_device_scalarIT6_EEPKS2_PKS3_PKT3_PKT4_S7_PT5_21rocsparse_index_base_b.kd
    .uniform_work_group_size: 1
    .uses_dynamic_stack: false
    .vgpr_count:     8
    .vgpr_spill_count: 0
    .wavefront_size: 32
  - .args:
      - .offset:         0
        .size:           1
        .value_kind:     by_value
      - .offset:         4
        .size:           4
        .value_kind:     by_value
      - .offset:         8
        .size:           8
        .value_kind:     by_value
      - .actual_access:  read_only
        .address_space:  global
        .offset:         16
        .size:           8
        .value_kind:     global_buffer
      - .actual_access:  read_only
        .address_space:  global
        .offset:         24
        .size:           8
        .value_kind:     global_buffer
      - .offset:         32
        .size:           4
        .value_kind:     by_value
      - .offset:         40
        .size:           8
        .value_kind:     by_value
      - .actual_access:  read_only
        .address_space:  global
        .offset:         48
        .size:           8
        .value_kind:     global_buffer
      - .actual_access:  read_only
        .address_space:  global
        .offset:         56
        .size:           8
        .value_kind:     global_buffer
      - .actual_access:  read_only
        .address_space:  global
        .offset:         64
        .size:           8
        .value_kind:     global_buffer
      - .actual_access:  read_only
        .address_space:  global
        .offset:         72
        .size:           8
        .value_kind:     global_buffer
      - .offset:         80
        .size:           8
        .value_kind:     by_value
      - .address_space:  global
        .offset:         88
        .size:           8
        .value_kind:     global_buffer
      - .offset:         96
        .size:           4
        .value_kind:     by_value
      - .offset:         100
        .size:           1
        .value_kind:     by_value
    .group_segment_fixed_size: 0
    .kernarg_segment_align: 8
    .kernarg_segment_size: 104
    .language:       OpenCL C
    .language_version:
      - 2
      - 0
    .max_flat_workgroup_size: 256
    .name:           _ZN9rocsparseL41csrmvn_lrb_medium_rows_warp_reduce_kernelILj256ELj64Eii18rocsparse_bfloat16S1_ffEEvbT1_lPT2_S4_jNS_24const_host_device_scalarIT6_EEPKS2_PKS3_PKT3_PKT4_S7_PT5_21rocsparse_index_base_b
    .private_segment_fixed_size: 0
    .sgpr_count:     16
    .sgpr_spill_count: 0
    .symbol:         _ZN9rocsparseL41csrmvn_lrb_medium_rows_warp_reduce_kernelILj256ELj64Eii18rocsparse_bfloat16S1_ffEEvbT1_lPT2_S4_jNS_24const_host_device_scalarIT6_EEPKS2_PKS3_PKT3_PKT4_S7_PT5_21rocsparse_index_base_b.kd
    .uniform_work_group_size: 1
    .uses_dynamic_stack: false
    .vgpr_count:     8
    .vgpr_spill_count: 0
    .wavefront_size: 32
  - .args:
      - .offset:         0
        .size:           1
        .value_kind:     by_value
      - .offset:         4
        .size:           4
        .value_kind:     by_value
      - .actual_access:  read_only
        .address_space:  global
        .offset:         8
        .size:           8
        .value_kind:     global_buffer
      - .actual_access:  read_only
        .address_space:  global
        .offset:         16
        .size:           8
        .value_kind:     global_buffer
      - .offset:         24
        .size:           4
        .value_kind:     by_value
      - .offset:         32
        .size:           8
        .value_kind:     by_value
      - .actual_access:  read_only
        .address_space:  global
        .offset:         40
        .size:           8
        .value_kind:     global_buffer
      - .actual_access:  read_only
        .address_space:  global
        .offset:         48
        .size:           8
        .value_kind:     global_buffer
      - .actual_access:  read_only
        .address_space:  global
        .offset:         56
        .size:           8
        .value_kind:     global_buffer
      - .actual_access:  read_only
        .address_space:  global
        .offset:         64
        .size:           8
        .value_kind:     global_buffer
      - .offset:         72
        .size:           8
        .value_kind:     by_value
      - .address_space:  global
        .offset:         80
        .size:           8
        .value_kind:     global_buffer
      - .offset:         88
        .size:           4
        .value_kind:     by_value
      - .offset:         92
        .size:           1
        .value_kind:     by_value
    .group_segment_fixed_size: 1024
    .kernarg_segment_align: 8
    .kernarg_segment_size: 96
    .language:       OpenCL C
    .language_version:
      - 2
      - 0
    .max_flat_workgroup_size: 256
    .name:           _ZN9rocsparseL29csrmvn_lrb_medium_rows_kernelILj256Eii18rocsparse_bfloat16S1_ffEEvbT0_PT1_S4_jNS_24const_host_device_scalarIT5_EEPKS2_PKS3_PKT2_PKT3_S7_PT4_21rocsparse_index_base_b
    .private_segment_fixed_size: 0
    .sgpr_count:     18
    .sgpr_spill_count: 0
    .symbol:         _ZN9rocsparseL29csrmvn_lrb_medium_rows_kernelILj256Eii18rocsparse_bfloat16S1_ffEEvbT0_PT1_S4_jNS_24const_host_device_scalarIT5_EEPKS2_PKS3_PKT2_PKT3_S7_PT4_21rocsparse_index_base_b.kd
    .uniform_work_group_size: 1
    .uses_dynamic_stack: false
    .vgpr_count:     5
    .vgpr_spill_count: 0
    .wavefront_size: 32
  - .args:
      - .offset:         0
        .size:           1
        .value_kind:     by_value
      - .offset:         4
        .size:           4
        .value_kind:     by_value
      - .address_space:  global
        .offset:         8
        .size:           8
        .value_kind:     global_buffer
      - .actual_access:  read_only
        .address_space:  global
        .offset:         16
        .size:           8
        .value_kind:     global_buffer
      - .actual_access:  read_only
        .address_space:  global
        .offset:         24
        .size:           8
        .value_kind:     global_buffer
      - .offset:         32
        .size:           4
        .value_kind:     by_value
      - .offset:         40
        .size:           8
        .value_kind:     by_value
      - .actual_access:  read_only
        .address_space:  global
        .offset:         48
        .size:           8
        .value_kind:     global_buffer
      - .actual_access:  read_only
        .address_space:  global
        .offset:         56
        .size:           8
        .value_kind:     global_buffer
      - .actual_access:  read_only
        .address_space:  global
        .offset:         64
        .size:           8
        .value_kind:     global_buffer
      - .actual_access:  read_only
        .address_space:  global
        .offset:         72
        .size:           8
        .value_kind:     global_buffer
      - .offset:         80
        .size:           8
        .value_kind:     by_value
      - .address_space:  global
        .offset:         88
        .size:           8
        .value_kind:     global_buffer
      - .offset:         96
        .size:           4
        .value_kind:     by_value
      - .offset:         100
        .size:           1
        .value_kind:     by_value
    .group_segment_fixed_size: 1024
    .kernarg_segment_align: 8
    .kernarg_segment_size: 104
    .language:       OpenCL C
    .language_version:
      - 2
      - 0
    .max_flat_workgroup_size: 256
    .name:           _ZN9rocsparseL27csrmvn_lrb_long_rows_kernelIii18rocsparse_bfloat16S1_ffEEvbT_PjPT0_S5_jNS_24const_host_device_scalarIT4_EEPKS2_PKS4_PKT1_PKT2_S8_PT3_21rocsparse_index_base_b
    .private_segment_fixed_size: 0
    .sgpr_count:     25
    .sgpr_spill_count: 0
    .symbol:         _ZN9rocsparseL27csrmvn_lrb_long_rows_kernelIii18rocsparse_bfloat16S1_ffEEvbT_PjPT0_S5_jNS_24const_host_device_scalarIT4_EEPKS2_PKS4_PKT1_PKT2_S8_PT3_21rocsparse_index_base_b.kd
    .uniform_work_group_size: 1
    .uses_dynamic_stack: false
    .vgpr_count:     5
    .vgpr_spill_count: 0
    .wavefront_size: 32
  - .args:
      - .offset:         0
        .size:           1
        .value_kind:     by_value
      - .offset:         8
        .size:           8
        .value_kind:     by_value
      - .actual_access:  read_only
        .address_space:  global
        .offset:         16
        .size:           8
        .value_kind:     global_buffer
      - .actual_access:  read_only
        .address_space:  global
        .offset:         24
        .size:           8
        .value_kind:     global_buffer
      - .offset:         32
        .size:           4
        .value_kind:     by_value
      - .offset:         40
        .size:           8
        .value_kind:     by_value
      - .actual_access:  read_only
        .address_space:  global
        .offset:         48
        .size:           8
        .value_kind:     global_buffer
      - .actual_access:  read_only
        .address_space:  global
        .offset:         56
        .size:           8
        .value_kind:     global_buffer
      - .actual_access:  read_only
        .address_space:  global
        .offset:         64
        .size:           8
        .value_kind:     global_buffer
      - .actual_access:  read_only
        .address_space:  global
        .offset:         72
        .size:           8
        .value_kind:     global_buffer
      - .offset:         80
        .size:           8
        .value_kind:     by_value
      - .address_space:  global
        .offset:         88
        .size:           8
        .value_kind:     global_buffer
      - .offset:         96
        .size:           4
        .value_kind:     by_value
      - .offset:         100
        .size:           1
        .value_kind:     by_value
    .group_segment_fixed_size: 0
    .kernarg_segment_align: 8
    .kernarg_segment_size: 104
    .language:       OpenCL C
    .language_version:
      - 2
      - 0
    .max_flat_workgroup_size: 256
    .name:           _ZN9rocsparseL28csrmvn_lrb_short_rows_kernelIli18rocsparse_bfloat16S1_ffEEvbT_PT0_S4_jNS_24const_host_device_scalarIT4_EEPKS2_PKS3_PKT1_PKT2_S7_PT3_21rocsparse_index_base_b
    .private_segment_fixed_size: 0
    .sgpr_count:     26
    .sgpr_spill_count: 0
    .symbol:         _ZN9rocsparseL28csrmvn_lrb_short_rows_kernelIli18rocsparse_bfloat16S1_ffEEvbT_PT0_S4_jNS_24const_host_device_scalarIT4_EEPKS2_PKS3_PKT1_PKT2_S7_PT3_21rocsparse_index_base_b.kd
    .uniform_work_group_size: 1
    .uses_dynamic_stack: false
    .vgpr_count:     8
    .vgpr_spill_count: 0
    .wavefront_size: 32
  - .args:
      - .offset:         0
        .size:           1
        .value_kind:     by_value
      - .offset:         8
        .size:           8
        .value_kind:     by_value
      - .actual_access:  read_only
        .address_space:  global
        .offset:         16
        .size:           8
        .value_kind:     global_buffer
      - .actual_access:  read_only
        .address_space:  global
        .offset:         24
        .size:           8
        .value_kind:     global_buffer
      - .offset:         32
        .size:           4
        .value_kind:     by_value
      - .offset:         40
        .size:           8
        .value_kind:     by_value
      - .actual_access:  read_only
        .address_space:  global
        .offset:         48
        .size:           8
        .value_kind:     global_buffer
      - .actual_access:  read_only
        .address_space:  global
        .offset:         56
        .size:           8
        .value_kind:     global_buffer
      - .actual_access:  read_only
        .address_space:  global
        .offset:         64
        .size:           8
        .value_kind:     global_buffer
      - .actual_access:  read_only
        .address_space:  global
        .offset:         72
        .size:           8
        .value_kind:     global_buffer
      - .offset:         80
        .size:           8
        .value_kind:     by_value
      - .address_space:  global
        .offset:         88
        .size:           8
        .value_kind:     global_buffer
      - .offset:         96
        .size:           4
        .value_kind:     by_value
      - .offset:         100
        .size:           1
        .value_kind:     by_value
    .group_segment_fixed_size: 4096
    .kernarg_segment_align: 8
    .kernarg_segment_size: 104
    .language:       OpenCL C
    .language_version:
      - 2
      - 0
    .max_flat_workgroup_size: 256
    .name:           _ZN9rocsparseL30csrmvn_lrb_short_rows_2_kernelIli18rocsparse_bfloat16S1_ffEEvbT_PT0_S4_jNS_24const_host_device_scalarIT4_EEPKS2_PKS3_PKT1_PKT2_S7_PT3_21rocsparse_index_base_b
    .private_segment_fixed_size: 0
    .sgpr_count:     25
    .sgpr_spill_count: 0
    .symbol:         _ZN9rocsparseL30csrmvn_lrb_short_rows_2_kernelIli18rocsparse_bfloat16S1_ffEEvbT_PT0_S4_jNS_24const_host_device_scalarIT4_EEPKS2_PKS3_PKT1_PKT2_S7_PT3_21rocsparse_index_base_b.kd
    .uniform_work_group_size: 1
    .uses_dynamic_stack: false
    .vgpr_count:     8
    .vgpr_spill_count: 0
    .wavefront_size: 32
  - .args:
      - .offset:         0
        .size:           1
        .value_kind:     by_value
      - .offset:         8
        .size:           8
        .value_kind:     by_value
      - .offset:         16
        .size:           8
        .value_kind:     by_value
      - .actual_access:  read_only
        .address_space:  global
        .offset:         24
        .size:           8
        .value_kind:     global_buffer
      - .actual_access:  read_only
        .address_space:  global
        .offset:         32
        .size:           8
        .value_kind:     global_buffer
      - .offset:         40
        .size:           4
        .value_kind:     by_value
      - .offset:         48
        .size:           8
        .value_kind:     by_value
      - .actual_access:  read_only
        .address_space:  global
        .offset:         56
        .size:           8
        .value_kind:     global_buffer
      - .actual_access:  read_only
        .address_space:  global
        .offset:         64
        .size:           8
        .value_kind:     global_buffer
      - .actual_access:  read_only
        .address_space:  global
        .offset:         72
        .size:           8
        .value_kind:     global_buffer
      - .actual_access:  read_only
        .address_space:  global
        .offset:         80
        .size:           8
        .value_kind:     global_buffer
      - .offset:         88
        .size:           8
        .value_kind:     by_value
      - .address_space:  global
        .offset:         96
        .size:           8
        .value_kind:     global_buffer
      - .offset:         104
        .size:           4
        .value_kind:     by_value
      - .offset:         108
        .size:           1
        .value_kind:     by_value
    .group_segment_fixed_size: 0
    .kernarg_segment_align: 8
    .kernarg_segment_size: 112
    .language:       OpenCL C
    .language_version:
      - 2
      - 0
    .max_flat_workgroup_size: 256
    .name:           _ZN9rocsparseL41csrmvn_lrb_medium_rows_warp_reduce_kernelILj256ELj32Eli18rocsparse_bfloat16S1_ffEEvbT1_lPT2_S4_jNS_24const_host_device_scalarIT6_EEPKS2_PKS3_PKT3_PKT4_S7_PT5_21rocsparse_index_base_b
    .private_segment_fixed_size: 0
    .sgpr_count:     18
    .sgpr_spill_count: 0
    .symbol:         _ZN9rocsparseL41csrmvn_lrb_medium_rows_warp_reduce_kernelILj256ELj32Eli18rocsparse_bfloat16S1_ffEEvbT1_lPT2_S4_jNS_24const_host_device_scalarIT6_EEPKS2_PKS3_PKT3_PKT4_S7_PT5_21rocsparse_index_base_b.kd
    .uniform_work_group_size: 1
    .uses_dynamic_stack: false
    .vgpr_count:     14
    .vgpr_spill_count: 0
    .wavefront_size: 32
  - .args:
      - .offset:         0
        .size:           1
        .value_kind:     by_value
      - .offset:         8
        .size:           8
        .value_kind:     by_value
      - .offset:         16
        .size:           8
        .value_kind:     by_value
      - .actual_access:  read_only
        .address_space:  global
        .offset:         24
        .size:           8
        .value_kind:     global_buffer
      - .actual_access:  read_only
        .address_space:  global
        .offset:         32
        .size:           8
        .value_kind:     global_buffer
      - .offset:         40
        .size:           4
        .value_kind:     by_value
      - .offset:         48
        .size:           8
        .value_kind:     by_value
      - .actual_access:  read_only
        .address_space:  global
        .offset:         56
        .size:           8
        .value_kind:     global_buffer
      - .actual_access:  read_only
        .address_space:  global
        .offset:         64
        .size:           8
        .value_kind:     global_buffer
      - .actual_access:  read_only
        .address_space:  global
        .offset:         72
        .size:           8
        .value_kind:     global_buffer
      - .actual_access:  read_only
        .address_space:  global
        .offset:         80
        .size:           8
        .value_kind:     global_buffer
      - .offset:         88
        .size:           8
        .value_kind:     by_value
      - .address_space:  global
        .offset:         96
        .size:           8
        .value_kind:     global_buffer
      - .offset:         104
        .size:           4
        .value_kind:     by_value
      - .offset:         108
        .size:           1
        .value_kind:     by_value
    .group_segment_fixed_size: 0
    .kernarg_segment_align: 8
    .kernarg_segment_size: 112
    .language:       OpenCL C
    .language_version:
      - 2
      - 0
    .max_flat_workgroup_size: 256
    .name:           _ZN9rocsparseL41csrmvn_lrb_medium_rows_warp_reduce_kernelILj256ELj64Eli18rocsparse_bfloat16S1_ffEEvbT1_lPT2_S4_jNS_24const_host_device_scalarIT6_EEPKS2_PKS3_PKT3_PKT4_S7_PT5_21rocsparse_index_base_b
    .private_segment_fixed_size: 0
    .sgpr_count:     18
    .sgpr_spill_count: 0
    .symbol:         _ZN9rocsparseL41csrmvn_lrb_medium_rows_warp_reduce_kernelILj256ELj64Eli18rocsparse_bfloat16S1_ffEEvbT1_lPT2_S4_jNS_24const_host_device_scalarIT6_EEPKS2_PKS3_PKT3_PKT4_S7_PT5_21rocsparse_index_base_b.kd
    .uniform_work_group_size: 1
    .uses_dynamic_stack: false
    .vgpr_count:     14
    .vgpr_spill_count: 0
    .wavefront_size: 32
  - .args:
      - .offset:         0
        .size:           1
        .value_kind:     by_value
      - .offset:         8
        .size:           8
        .value_kind:     by_value
      - .actual_access:  read_only
        .address_space:  global
        .offset:         16
        .size:           8
        .value_kind:     global_buffer
      - .actual_access:  read_only
        .address_space:  global
        .offset:         24
        .size:           8
        .value_kind:     global_buffer
      - .offset:         32
        .size:           4
        .value_kind:     by_value
      - .offset:         40
        .size:           8
        .value_kind:     by_value
      - .actual_access:  read_only
        .address_space:  global
        .offset:         48
        .size:           8
        .value_kind:     global_buffer
      - .actual_access:  read_only
        .address_space:  global
        .offset:         56
        .size:           8
        .value_kind:     global_buffer
      - .actual_access:  read_only
        .address_space:  global
        .offset:         64
        .size:           8
        .value_kind:     global_buffer
      - .actual_access:  read_only
        .address_space:  global
        .offset:         72
        .size:           8
        .value_kind:     global_buffer
      - .offset:         80
        .size:           8
        .value_kind:     by_value
      - .address_space:  global
        .offset:         88
        .size:           8
        .value_kind:     global_buffer
      - .offset:         96
        .size:           4
        .value_kind:     by_value
      - .offset:         100
        .size:           1
        .value_kind:     by_value
    .group_segment_fixed_size: 1024
    .kernarg_segment_align: 8
    .kernarg_segment_size: 104
    .language:       OpenCL C
    .language_version:
      - 2
      - 0
    .max_flat_workgroup_size: 256
    .name:           _ZN9rocsparseL29csrmvn_lrb_medium_rows_kernelILj256Eli18rocsparse_bfloat16S1_ffEEvbT0_PT1_S4_jNS_24const_host_device_scalarIT5_EEPKS2_PKS3_PKT2_PKT3_S7_PT4_21rocsparse_index_base_b
    .private_segment_fixed_size: 0
    .sgpr_count:     22
    .sgpr_spill_count: 0
    .symbol:         _ZN9rocsparseL29csrmvn_lrb_medium_rows_kernelILj256Eli18rocsparse_bfloat16S1_ffEEvbT0_PT1_S4_jNS_24const_host_device_scalarIT5_EEPKS2_PKS3_PKT2_PKT3_S7_PT4_21rocsparse_index_base_b.kd
    .uniform_work_group_size: 1
    .uses_dynamic_stack: false
    .vgpr_count:     10
    .vgpr_spill_count: 0
    .wavefront_size: 32
  - .args:
      - .offset:         0
        .size:           1
        .value_kind:     by_value
      - .offset:         8
        .size:           8
        .value_kind:     by_value
      - .address_space:  global
        .offset:         16
        .size:           8
        .value_kind:     global_buffer
      - .actual_access:  read_only
        .address_space:  global
        .offset:         24
        .size:           8
        .value_kind:     global_buffer
      - .actual_access:  read_only
        .address_space:  global
        .offset:         32
        .size:           8
        .value_kind:     global_buffer
      - .offset:         40
        .size:           4
        .value_kind:     by_value
      - .offset:         48
        .size:           8
        .value_kind:     by_value
      - .actual_access:  read_only
        .address_space:  global
        .offset:         56
        .size:           8
        .value_kind:     global_buffer
      - .actual_access:  read_only
        .address_space:  global
        .offset:         64
        .size:           8
        .value_kind:     global_buffer
      - .actual_access:  read_only
        .address_space:  global
        .offset:         72
        .size:           8
        .value_kind:     global_buffer
      - .actual_access:  read_only
        .address_space:  global
        .offset:         80
        .size:           8
        .value_kind:     global_buffer
      - .offset:         88
        .size:           8
        .value_kind:     by_value
      - .address_space:  global
        .offset:         96
        .size:           8
        .value_kind:     global_buffer
      - .offset:         104
        .size:           4
        .value_kind:     by_value
      - .offset:         108
        .size:           1
        .value_kind:     by_value
    .group_segment_fixed_size: 1024
    .kernarg_segment_align: 8
    .kernarg_segment_size: 112
    .language:       OpenCL C
    .language_version:
      - 2
      - 0
    .max_flat_workgroup_size: 256
    .name:           _ZN9rocsparseL27csrmvn_lrb_long_rows_kernelIli18rocsparse_bfloat16S1_ffEEvbT_PjPT0_S5_jNS_24const_host_device_scalarIT4_EEPKS2_PKS4_PKT1_PKT2_S8_PT3_21rocsparse_index_base_b
    .private_segment_fixed_size: 0
    .sgpr_count:     30
    .sgpr_spill_count: 0
    .symbol:         _ZN9rocsparseL27csrmvn_lrb_long_rows_kernelIli18rocsparse_bfloat16S1_ffEEvbT_PjPT0_S5_jNS_24const_host_device_scalarIT4_EEPKS2_PKS4_PKT1_PKT2_S8_PT3_21rocsparse_index_base_b.kd
    .uniform_work_group_size: 1
    .uses_dynamic_stack: false
    .vgpr_count:     12
    .vgpr_spill_count: 0
    .wavefront_size: 32
  - .args:
      - .offset:         0
        .size:           1
        .value_kind:     by_value
      - .offset:         8
        .size:           8
        .value_kind:     by_value
      - .actual_access:  read_only
        .address_space:  global
        .offset:         16
        .size:           8
        .value_kind:     global_buffer
      - .actual_access:  read_only
        .address_space:  global
        .offset:         24
        .size:           8
        .value_kind:     global_buffer
      - .offset:         32
        .size:           4
        .value_kind:     by_value
      - .offset:         40
        .size:           8
        .value_kind:     by_value
      - .actual_access:  read_only
        .address_space:  global
        .offset:         48
        .size:           8
        .value_kind:     global_buffer
      - .actual_access:  read_only
        .address_space:  global
        .offset:         56
        .size:           8
        .value_kind:     global_buffer
      - .actual_access:  read_only
        .address_space:  global
        .offset:         64
        .size:           8
        .value_kind:     global_buffer
      - .actual_access:  read_only
        .address_space:  global
        .offset:         72
        .size:           8
        .value_kind:     global_buffer
      - .offset:         80
        .size:           8
        .value_kind:     by_value
      - .address_space:  global
        .offset:         88
        .size:           8
        .value_kind:     global_buffer
      - .offset:         96
        .size:           4
        .value_kind:     by_value
      - .offset:         100
        .size:           1
        .value_kind:     by_value
    .group_segment_fixed_size: 0
    .kernarg_segment_align: 8
    .kernarg_segment_size: 104
    .language:       OpenCL C
    .language_version:
      - 2
      - 0
    .max_flat_workgroup_size: 256
    .name:           _ZN9rocsparseL28csrmvn_lrb_short_rows_kernelIll18rocsparse_bfloat16S1_ffEEvbT_PT0_S4_jNS_24const_host_device_scalarIT4_EEPKS2_PKS3_PKT1_PKT2_S7_PT3_21rocsparse_index_base_b
    .private_segment_fixed_size: 0
    .sgpr_count:     29
    .sgpr_spill_count: 0
    .symbol:         _ZN9rocsparseL28csrmvn_lrb_short_rows_kernelIll18rocsparse_bfloat16S1_ffEEvbT_PT0_S4_jNS_24const_host_device_scalarIT4_EEPKS2_PKS3_PKT1_PKT2_S7_PT3_21rocsparse_index_base_b.kd
    .uniform_work_group_size: 1
    .uses_dynamic_stack: false
    .vgpr_count:     9
    .vgpr_spill_count: 0
    .wavefront_size: 32
  - .args:
      - .offset:         0
        .size:           1
        .value_kind:     by_value
      - .offset:         8
        .size:           8
        .value_kind:     by_value
      - .actual_access:  read_only
        .address_space:  global
        .offset:         16
        .size:           8
        .value_kind:     global_buffer
      - .actual_access:  read_only
        .address_space:  global
        .offset:         24
        .size:           8
        .value_kind:     global_buffer
      - .offset:         32
        .size:           4
        .value_kind:     by_value
      - .offset:         40
        .size:           8
        .value_kind:     by_value
      - .actual_access:  read_only
        .address_space:  global
        .offset:         48
        .size:           8
        .value_kind:     global_buffer
      - .actual_access:  read_only
        .address_space:  global
        .offset:         56
        .size:           8
        .value_kind:     global_buffer
      - .actual_access:  read_only
        .address_space:  global
        .offset:         64
        .size:           8
        .value_kind:     global_buffer
      - .actual_access:  read_only
        .address_space:  global
        .offset:         72
        .size:           8
        .value_kind:     global_buffer
      - .offset:         80
        .size:           8
        .value_kind:     by_value
      - .address_space:  global
        .offset:         88
        .size:           8
        .value_kind:     global_buffer
      - .offset:         96
        .size:           4
        .value_kind:     by_value
      - .offset:         100
        .size:           1
        .value_kind:     by_value
    .group_segment_fixed_size: 4096
    .kernarg_segment_align: 8
    .kernarg_segment_size: 104
    .language:       OpenCL C
    .language_version:
      - 2
      - 0
    .max_flat_workgroup_size: 256
    .name:           _ZN9rocsparseL30csrmvn_lrb_short_rows_2_kernelIll18rocsparse_bfloat16S1_ffEEvbT_PT0_S4_jNS_24const_host_device_scalarIT4_EEPKS2_PKS3_PKT1_PKT2_S7_PT3_21rocsparse_index_base_b
    .private_segment_fixed_size: 0
    .sgpr_count:     30
    .sgpr_spill_count: 0
    .symbol:         _ZN9rocsparseL30csrmvn_lrb_short_rows_2_kernelIll18rocsparse_bfloat16S1_ffEEvbT_PT0_S4_jNS_24const_host_device_scalarIT4_EEPKS2_PKS3_PKT1_PKT2_S7_PT3_21rocsparse_index_base_b.kd
    .uniform_work_group_size: 1
    .uses_dynamic_stack: false
    .vgpr_count:     8
    .vgpr_spill_count: 0
    .wavefront_size: 32
  - .args:
      - .offset:         0
        .size:           1
        .value_kind:     by_value
      - .offset:         8
        .size:           8
        .value_kind:     by_value
      - .offset:         16
        .size:           8
        .value_kind:     by_value
      - .actual_access:  read_only
        .address_space:  global
        .offset:         24
        .size:           8
        .value_kind:     global_buffer
      - .actual_access:  read_only
        .address_space:  global
        .offset:         32
        .size:           8
        .value_kind:     global_buffer
      - .offset:         40
        .size:           4
        .value_kind:     by_value
      - .offset:         48
        .size:           8
        .value_kind:     by_value
      - .actual_access:  read_only
        .address_space:  global
        .offset:         56
        .size:           8
        .value_kind:     global_buffer
      - .actual_access:  read_only
        .address_space:  global
        .offset:         64
        .size:           8
        .value_kind:     global_buffer
      - .actual_access:  read_only
        .address_space:  global
        .offset:         72
        .size:           8
        .value_kind:     global_buffer
      - .actual_access:  read_only
        .address_space:  global
        .offset:         80
        .size:           8
        .value_kind:     global_buffer
      - .offset:         88
        .size:           8
        .value_kind:     by_value
      - .address_space:  global
        .offset:         96
        .size:           8
        .value_kind:     global_buffer
      - .offset:         104
        .size:           4
        .value_kind:     by_value
      - .offset:         108
        .size:           1
        .value_kind:     by_value
    .group_segment_fixed_size: 0
    .kernarg_segment_align: 8
    .kernarg_segment_size: 112
    .language:       OpenCL C
    .language_version:
      - 2
      - 0
    .max_flat_workgroup_size: 256
    .name:           _ZN9rocsparseL41csrmvn_lrb_medium_rows_warp_reduce_kernelILj256ELj32Ell18rocsparse_bfloat16S1_ffEEvbT1_lPT2_S4_jNS_24const_host_device_scalarIT6_EEPKS2_PKS3_PKT3_PKT4_S7_PT5_21rocsparse_index_base_b
    .private_segment_fixed_size: 0
    .sgpr_count:     18
    .sgpr_spill_count: 0
    .symbol:         _ZN9rocsparseL41csrmvn_lrb_medium_rows_warp_reduce_kernelILj256ELj32Ell18rocsparse_bfloat16S1_ffEEvbT1_lPT2_S4_jNS_24const_host_device_scalarIT6_EEPKS2_PKS3_PKT3_PKT4_S7_PT5_21rocsparse_index_base_b.kd
    .uniform_work_group_size: 1
    .uses_dynamic_stack: false
    .vgpr_count:     15
    .vgpr_spill_count: 0
    .wavefront_size: 32
  - .args:
      - .offset:         0
        .size:           1
        .value_kind:     by_value
      - .offset:         8
        .size:           8
        .value_kind:     by_value
      - .offset:         16
        .size:           8
        .value_kind:     by_value
      - .actual_access:  read_only
        .address_space:  global
        .offset:         24
        .size:           8
        .value_kind:     global_buffer
      - .actual_access:  read_only
        .address_space:  global
        .offset:         32
        .size:           8
        .value_kind:     global_buffer
      - .offset:         40
        .size:           4
        .value_kind:     by_value
      - .offset:         48
        .size:           8
        .value_kind:     by_value
      - .actual_access:  read_only
        .address_space:  global
        .offset:         56
        .size:           8
        .value_kind:     global_buffer
      - .actual_access:  read_only
        .address_space:  global
        .offset:         64
        .size:           8
        .value_kind:     global_buffer
      - .actual_access:  read_only
        .address_space:  global
        .offset:         72
        .size:           8
        .value_kind:     global_buffer
      - .actual_access:  read_only
        .address_space:  global
        .offset:         80
        .size:           8
        .value_kind:     global_buffer
      - .offset:         88
        .size:           8
        .value_kind:     by_value
      - .address_space:  global
        .offset:         96
        .size:           8
        .value_kind:     global_buffer
      - .offset:         104
        .size:           4
        .value_kind:     by_value
      - .offset:         108
        .size:           1
        .value_kind:     by_value
    .group_segment_fixed_size: 0
    .kernarg_segment_align: 8
    .kernarg_segment_size: 112
    .language:       OpenCL C
    .language_version:
      - 2
      - 0
    .max_flat_workgroup_size: 256
    .name:           _ZN9rocsparseL41csrmvn_lrb_medium_rows_warp_reduce_kernelILj256ELj64Ell18rocsparse_bfloat16S1_ffEEvbT1_lPT2_S4_jNS_24const_host_device_scalarIT6_EEPKS2_PKS3_PKT3_PKT4_S7_PT5_21rocsparse_index_base_b
    .private_segment_fixed_size: 0
    .sgpr_count:     18
    .sgpr_spill_count: 0
    .symbol:         _ZN9rocsparseL41csrmvn_lrb_medium_rows_warp_reduce_kernelILj256ELj64Ell18rocsparse_bfloat16S1_ffEEvbT1_lPT2_S4_jNS_24const_host_device_scalarIT6_EEPKS2_PKS3_PKT3_PKT4_S7_PT5_21rocsparse_index_base_b.kd
    .uniform_work_group_size: 1
    .uses_dynamic_stack: false
    .vgpr_count:     15
    .vgpr_spill_count: 0
    .wavefront_size: 32
  - .args:
      - .offset:         0
        .size:           1
        .value_kind:     by_value
      - .offset:         8
        .size:           8
        .value_kind:     by_value
      - .actual_access:  read_only
        .address_space:  global
        .offset:         16
        .size:           8
        .value_kind:     global_buffer
      - .actual_access:  read_only
        .address_space:  global
        .offset:         24
        .size:           8
        .value_kind:     global_buffer
      - .offset:         32
        .size:           4
        .value_kind:     by_value
      - .offset:         40
        .size:           8
        .value_kind:     by_value
      - .actual_access:  read_only
        .address_space:  global
        .offset:         48
        .size:           8
        .value_kind:     global_buffer
      - .actual_access:  read_only
        .address_space:  global
        .offset:         56
        .size:           8
        .value_kind:     global_buffer
      - .actual_access:  read_only
        .address_space:  global
        .offset:         64
        .size:           8
        .value_kind:     global_buffer
      - .actual_access:  read_only
        .address_space:  global
        .offset:         72
        .size:           8
        .value_kind:     global_buffer
      - .offset:         80
        .size:           8
        .value_kind:     by_value
      - .address_space:  global
        .offset:         88
        .size:           8
        .value_kind:     global_buffer
      - .offset:         96
        .size:           4
        .value_kind:     by_value
      - .offset:         100
        .size:           1
        .value_kind:     by_value
    .group_segment_fixed_size: 1024
    .kernarg_segment_align: 8
    .kernarg_segment_size: 104
    .language:       OpenCL C
    .language_version:
      - 2
      - 0
    .max_flat_workgroup_size: 256
    .name:           _ZN9rocsparseL29csrmvn_lrb_medium_rows_kernelILj256Ell18rocsparse_bfloat16S1_ffEEvbT0_PT1_S4_jNS_24const_host_device_scalarIT5_EEPKS2_PKS3_PKT2_PKT3_S7_PT4_21rocsparse_index_base_b
    .private_segment_fixed_size: 0
    .sgpr_count:     22
    .sgpr_spill_count: 0
    .symbol:         _ZN9rocsparseL29csrmvn_lrb_medium_rows_kernelILj256Ell18rocsparse_bfloat16S1_ffEEvbT0_PT1_S4_jNS_24const_host_device_scalarIT5_EEPKS2_PKS3_PKT2_PKT3_S7_PT4_21rocsparse_index_base_b.kd
    .uniform_work_group_size: 1
    .uses_dynamic_stack: false
    .vgpr_count:     11
    .vgpr_spill_count: 0
    .wavefront_size: 32
  - .args:
      - .offset:         0
        .size:           1
        .value_kind:     by_value
      - .offset:         8
        .size:           8
        .value_kind:     by_value
      - .address_space:  global
        .offset:         16
        .size:           8
        .value_kind:     global_buffer
      - .actual_access:  read_only
        .address_space:  global
        .offset:         24
        .size:           8
        .value_kind:     global_buffer
      - .actual_access:  read_only
        .address_space:  global
        .offset:         32
        .size:           8
        .value_kind:     global_buffer
      - .offset:         40
        .size:           4
        .value_kind:     by_value
      - .offset:         48
        .size:           8
        .value_kind:     by_value
      - .actual_access:  read_only
        .address_space:  global
        .offset:         56
        .size:           8
        .value_kind:     global_buffer
      - .actual_access:  read_only
        .address_space:  global
        .offset:         64
        .size:           8
        .value_kind:     global_buffer
      - .actual_access:  read_only
        .address_space:  global
        .offset:         72
        .size:           8
        .value_kind:     global_buffer
      - .actual_access:  read_only
        .address_space:  global
        .offset:         80
        .size:           8
        .value_kind:     global_buffer
      - .offset:         88
        .size:           8
        .value_kind:     by_value
      - .address_space:  global
        .offset:         96
        .size:           8
        .value_kind:     global_buffer
      - .offset:         104
        .size:           4
        .value_kind:     by_value
      - .offset:         108
        .size:           1
        .value_kind:     by_value
    .group_segment_fixed_size: 1024
    .kernarg_segment_align: 8
    .kernarg_segment_size: 112
    .language:       OpenCL C
    .language_version:
      - 2
      - 0
    .max_flat_workgroup_size: 256
    .name:           _ZN9rocsparseL27csrmvn_lrb_long_rows_kernelIll18rocsparse_bfloat16S1_ffEEvbT_PjPT0_S5_jNS_24const_host_device_scalarIT4_EEPKS2_PKS4_PKT1_PKT2_S8_PT3_21rocsparse_index_base_b
    .private_segment_fixed_size: 0
    .sgpr_count:     30
    .sgpr_spill_count: 0
    .symbol:         _ZN9rocsparseL27csrmvn_lrb_long_rows_kernelIll18rocsparse_bfloat16S1_ffEEvbT_PjPT0_S5_jNS_24const_host_device_scalarIT4_EEPKS2_PKS4_PKT1_PKT2_S8_PT3_21rocsparse_index_base_b.kd
    .uniform_work_group_size: 1
    .uses_dynamic_stack: false
    .vgpr_count:     14
    .vgpr_spill_count: 0
    .wavefront_size: 32
  - .args:
      - .offset:         0
        .size:           1
        .value_kind:     by_value
      - .offset:         4
        .size:           4
        .value_kind:     by_value
      - .actual_access:  read_only
        .address_space:  global
        .offset:         8
        .size:           8
        .value_kind:     global_buffer
      - .actual_access:  read_only
        .address_space:  global
        .offset:         16
        .size:           8
        .value_kind:     global_buffer
      - .offset:         24
        .size:           4
        .value_kind:     by_value
      - .offset:         32
        .size:           8
        .value_kind:     by_value
      - .actual_access:  read_only
        .address_space:  global
        .offset:         40
        .size:           8
        .value_kind:     global_buffer
      - .actual_access:  read_only
        .address_space:  global
        .offset:         48
        .size:           8
        .value_kind:     global_buffer
      - .actual_access:  read_only
        .address_space:  global
        .offset:         56
        .size:           8
        .value_kind:     global_buffer
      - .actual_access:  read_only
        .address_space:  global
        .offset:         64
        .size:           8
        .value_kind:     global_buffer
      - .offset:         72
        .size:           8
        .value_kind:     by_value
      - .address_space:  global
        .offset:         80
        .size:           8
        .value_kind:     global_buffer
      - .offset:         88
        .size:           4
        .value_kind:     by_value
      - .offset:         92
        .size:           1
        .value_kind:     by_value
    .group_segment_fixed_size: 0
    .kernarg_segment_align: 8
    .kernarg_segment_size: 96
    .language:       OpenCL C
    .language_version:
      - 2
      - 0
    .max_flat_workgroup_size: 256
    .name:           _ZN9rocsparseL28csrmvn_lrb_short_rows_kernelIiif21rocsparse_complex_numIfES2_S2_EEvbT_PT0_S5_jNS_24const_host_device_scalarIT4_EEPKS3_PKS4_PKT1_PKT2_S8_PT3_21rocsparse_index_base_b
    .private_segment_fixed_size: 0
    .sgpr_count:     24
    .sgpr_spill_count: 0
    .symbol:         _ZN9rocsparseL28csrmvn_lrb_short_rows_kernelIiif21rocsparse_complex_numIfES2_S2_EEvbT_PT0_S5_jNS_24const_host_device_scalarIT4_EEPKS3_PKS4_PKT1_PKT2_S8_PT3_21rocsparse_index_base_b.kd
    .uniform_work_group_size: 1
    .uses_dynamic_stack: false
    .vgpr_count:     18
    .vgpr_spill_count: 0
    .wavefront_size: 32
  - .args:
      - .offset:         0
        .size:           1
        .value_kind:     by_value
      - .offset:         4
        .size:           4
        .value_kind:     by_value
      - .actual_access:  read_only
        .address_space:  global
        .offset:         8
        .size:           8
        .value_kind:     global_buffer
      - .actual_access:  read_only
        .address_space:  global
        .offset:         16
        .size:           8
        .value_kind:     global_buffer
      - .offset:         24
        .size:           4
        .value_kind:     by_value
      - .offset:         32
        .size:           8
        .value_kind:     by_value
      - .actual_access:  read_only
        .address_space:  global
        .offset:         40
        .size:           8
        .value_kind:     global_buffer
      - .actual_access:  read_only
        .address_space:  global
        .offset:         48
        .size:           8
        .value_kind:     global_buffer
      - .actual_access:  read_only
        .address_space:  global
        .offset:         56
        .size:           8
        .value_kind:     global_buffer
      - .actual_access:  read_only
        .address_space:  global
        .offset:         64
        .size:           8
        .value_kind:     global_buffer
      - .offset:         72
        .size:           8
        .value_kind:     by_value
      - .address_space:  global
        .offset:         80
        .size:           8
        .value_kind:     global_buffer
      - .offset:         88
        .size:           4
        .value_kind:     by_value
      - .offset:         92
        .size:           1
        .value_kind:     by_value
    .group_segment_fixed_size: 8192
    .kernarg_segment_align: 8
    .kernarg_segment_size: 96
    .language:       OpenCL C
    .language_version:
      - 2
      - 0
    .max_flat_workgroup_size: 256
    .name:           _ZN9rocsparseL30csrmvn_lrb_short_rows_2_kernelIiif21rocsparse_complex_numIfES2_S2_EEvbT_PT0_S5_jNS_24const_host_device_scalarIT4_EEPKS3_PKS4_PKT1_PKT2_S8_PT3_21rocsparse_index_base_b
    .private_segment_fixed_size: 0
    .sgpr_count:     23
    .sgpr_spill_count: 0
    .symbol:         _ZN9rocsparseL30csrmvn_lrb_short_rows_2_kernelIiif21rocsparse_complex_numIfES2_S2_EEvbT_PT0_S5_jNS_24const_host_device_scalarIT4_EEPKS3_PKS4_PKT1_PKT2_S8_PT3_21rocsparse_index_base_b.kd
    .uniform_work_group_size: 1
    .uses_dynamic_stack: false
    .vgpr_count:     16
    .vgpr_spill_count: 0
    .wavefront_size: 32
  - .args:
      - .offset:         0
        .size:           1
        .value_kind:     by_value
      - .offset:         4
        .size:           4
        .value_kind:     by_value
      - .offset:         8
        .size:           8
        .value_kind:     by_value
      - .actual_access:  read_only
        .address_space:  global
        .offset:         16
        .size:           8
        .value_kind:     global_buffer
      - .actual_access:  read_only
        .address_space:  global
        .offset:         24
        .size:           8
        .value_kind:     global_buffer
      - .offset:         32
        .size:           4
        .value_kind:     by_value
      - .offset:         40
        .size:           8
        .value_kind:     by_value
      - .actual_access:  read_only
        .address_space:  global
        .offset:         48
        .size:           8
        .value_kind:     global_buffer
      - .actual_access:  read_only
        .address_space:  global
        .offset:         56
        .size:           8
        .value_kind:     global_buffer
      - .actual_access:  read_only
        .address_space:  global
        .offset:         64
        .size:           8
        .value_kind:     global_buffer
      - .actual_access:  read_only
        .address_space:  global
        .offset:         72
        .size:           8
        .value_kind:     global_buffer
      - .offset:         80
        .size:           8
        .value_kind:     by_value
      - .address_space:  global
        .offset:         88
        .size:           8
        .value_kind:     global_buffer
      - .offset:         96
        .size:           4
        .value_kind:     by_value
      - .offset:         100
        .size:           1
        .value_kind:     by_value
    .group_segment_fixed_size: 0
    .kernarg_segment_align: 8
    .kernarg_segment_size: 104
    .language:       OpenCL C
    .language_version:
      - 2
      - 0
    .max_flat_workgroup_size: 256
    .name:           _ZN9rocsparseL41csrmvn_lrb_medium_rows_warp_reduce_kernelILj256ELj32Eiif21rocsparse_complex_numIfES2_S2_EEvbT1_lPT2_S5_jNS_24const_host_device_scalarIT6_EEPKS3_PKS4_PKT3_PKT4_S8_PT5_21rocsparse_index_base_b
    .private_segment_fixed_size: 0
    .sgpr_count:     14
    .sgpr_spill_count: 0
    .symbol:         _ZN9rocsparseL41csrmvn_lrb_medium_rows_warp_reduce_kernelILj256ELj32Eiif21rocsparse_complex_numIfES2_S2_EEvbT1_lPT2_S5_jNS_24const_host_device_scalarIT6_EEPKS3_PKS4_PKT3_PKT4_S8_PT5_21rocsparse_index_base_b.kd
    .uniform_work_group_size: 1
    .uses_dynamic_stack: false
    .vgpr_count:     18
    .vgpr_spill_count: 0
    .wavefront_size: 32
  - .args:
      - .offset:         0
        .size:           1
        .value_kind:     by_value
      - .offset:         4
        .size:           4
        .value_kind:     by_value
      - .offset:         8
        .size:           8
        .value_kind:     by_value
      - .actual_access:  read_only
        .address_space:  global
        .offset:         16
        .size:           8
        .value_kind:     global_buffer
      - .actual_access:  read_only
        .address_space:  global
        .offset:         24
        .size:           8
        .value_kind:     global_buffer
      - .offset:         32
        .size:           4
        .value_kind:     by_value
      - .offset:         40
        .size:           8
        .value_kind:     by_value
      - .actual_access:  read_only
        .address_space:  global
        .offset:         48
        .size:           8
        .value_kind:     global_buffer
      - .actual_access:  read_only
        .address_space:  global
        .offset:         56
        .size:           8
        .value_kind:     global_buffer
      - .actual_access:  read_only
        .address_space:  global
        .offset:         64
        .size:           8
        .value_kind:     global_buffer
      - .actual_access:  read_only
        .address_space:  global
        .offset:         72
        .size:           8
        .value_kind:     global_buffer
      - .offset:         80
        .size:           8
        .value_kind:     by_value
      - .address_space:  global
        .offset:         88
        .size:           8
        .value_kind:     global_buffer
      - .offset:         96
        .size:           4
        .value_kind:     by_value
      - .offset:         100
        .size:           1
        .value_kind:     by_value
    .group_segment_fixed_size: 0
    .kernarg_segment_align: 8
    .kernarg_segment_size: 104
    .language:       OpenCL C
    .language_version:
      - 2
      - 0
    .max_flat_workgroup_size: 256
    .name:           _ZN9rocsparseL41csrmvn_lrb_medium_rows_warp_reduce_kernelILj256ELj64Eiif21rocsparse_complex_numIfES2_S2_EEvbT1_lPT2_S5_jNS_24const_host_device_scalarIT6_EEPKS3_PKS4_PKT3_PKT4_S8_PT5_21rocsparse_index_base_b
    .private_segment_fixed_size: 0
    .sgpr_count:     14
    .sgpr_spill_count: 0
    .symbol:         _ZN9rocsparseL41csrmvn_lrb_medium_rows_warp_reduce_kernelILj256ELj64Eiif21rocsparse_complex_numIfES2_S2_EEvbT1_lPT2_S5_jNS_24const_host_device_scalarIT6_EEPKS3_PKS4_PKT3_PKT4_S8_PT5_21rocsparse_index_base_b.kd
    .uniform_work_group_size: 1
    .uses_dynamic_stack: false
    .vgpr_count:     18
    .vgpr_spill_count: 0
    .wavefront_size: 32
  - .args:
      - .offset:         0
        .size:           1
        .value_kind:     by_value
      - .offset:         4
        .size:           4
        .value_kind:     by_value
      - .actual_access:  read_only
        .address_space:  global
        .offset:         8
        .size:           8
        .value_kind:     global_buffer
      - .actual_access:  read_only
        .address_space:  global
        .offset:         16
        .size:           8
        .value_kind:     global_buffer
      - .offset:         24
        .size:           4
        .value_kind:     by_value
      - .offset:         32
        .size:           8
        .value_kind:     by_value
      - .actual_access:  read_only
        .address_space:  global
        .offset:         40
        .size:           8
        .value_kind:     global_buffer
      - .actual_access:  read_only
        .address_space:  global
        .offset:         48
        .size:           8
        .value_kind:     global_buffer
      - .actual_access:  read_only
        .address_space:  global
        .offset:         56
        .size:           8
        .value_kind:     global_buffer
      - .actual_access:  read_only
        .address_space:  global
        .offset:         64
        .size:           8
        .value_kind:     global_buffer
      - .offset:         72
        .size:           8
        .value_kind:     by_value
      - .address_space:  global
        .offset:         80
        .size:           8
        .value_kind:     global_buffer
      - .offset:         88
        .size:           4
        .value_kind:     by_value
      - .offset:         92
        .size:           1
        .value_kind:     by_value
    .group_segment_fixed_size: 2048
    .kernarg_segment_align: 8
    .kernarg_segment_size: 96
    .language:       OpenCL C
    .language_version:
      - 2
      - 0
    .max_flat_workgroup_size: 256
    .name:           _ZN9rocsparseL29csrmvn_lrb_medium_rows_kernelILj256Eiif21rocsparse_complex_numIfES2_S2_EEvbT0_PT1_S5_jNS_24const_host_device_scalarIT5_EEPKS3_PKS4_PKT2_PKT3_S8_PT4_21rocsparse_index_base_b
    .private_segment_fixed_size: 0
    .sgpr_count:     17
    .sgpr_spill_count: 0
    .symbol:         _ZN9rocsparseL29csrmvn_lrb_medium_rows_kernelILj256Eiif21rocsparse_complex_numIfES2_S2_EEvbT0_PT1_S5_jNS_24const_host_device_scalarIT5_EEPKS3_PKS4_PKT2_PKT3_S8_PT4_21rocsparse_index_base_b.kd
    .uniform_work_group_size: 1
    .uses_dynamic_stack: false
    .vgpr_count:     14
    .vgpr_spill_count: 0
    .wavefront_size: 32
  - .args:
      - .offset:         0
        .size:           1
        .value_kind:     by_value
      - .offset:         4
        .size:           4
        .value_kind:     by_value
      - .address_space:  global
        .offset:         8
        .size:           8
        .value_kind:     global_buffer
      - .actual_access:  read_only
        .address_space:  global
        .offset:         16
        .size:           8
        .value_kind:     global_buffer
      - .actual_access:  read_only
        .address_space:  global
        .offset:         24
        .size:           8
        .value_kind:     global_buffer
      - .offset:         32
        .size:           4
        .value_kind:     by_value
      - .offset:         40
        .size:           8
        .value_kind:     by_value
      - .actual_access:  read_only
        .address_space:  global
        .offset:         48
        .size:           8
        .value_kind:     global_buffer
      - .actual_access:  read_only
        .address_space:  global
        .offset:         56
        .size:           8
        .value_kind:     global_buffer
      - .actual_access:  read_only
        .address_space:  global
        .offset:         64
        .size:           8
        .value_kind:     global_buffer
      - .actual_access:  read_only
        .address_space:  global
        .offset:         72
        .size:           8
        .value_kind:     global_buffer
      - .offset:         80
        .size:           8
        .value_kind:     by_value
      - .address_space:  global
        .offset:         88
        .size:           8
        .value_kind:     global_buffer
      - .offset:         96
        .size:           4
        .value_kind:     by_value
      - .offset:         100
        .size:           1
        .value_kind:     by_value
    .group_segment_fixed_size: 2048
    .kernarg_segment_align: 8
    .kernarg_segment_size: 104
    .language:       OpenCL C
    .language_version:
      - 2
      - 0
    .max_flat_workgroup_size: 256
    .name:           _ZN9rocsparseL27csrmvn_lrb_long_rows_kernelIiif21rocsparse_complex_numIfES2_S2_EEvbT_PjPT0_S6_jNS_24const_host_device_scalarIT4_EEPKS3_PKS5_PKT1_PKT2_S9_PT3_21rocsparse_index_base_b
    .private_segment_fixed_size: 0
    .sgpr_count:     24
    .sgpr_spill_count: 0
    .symbol:         _ZN9rocsparseL27csrmvn_lrb_long_rows_kernelIiif21rocsparse_complex_numIfES2_S2_EEvbT_PjPT0_S6_jNS_24const_host_device_scalarIT4_EEPKS3_PKS5_PKT1_PKT2_S9_PT3_21rocsparse_index_base_b.kd
    .uniform_work_group_size: 1
    .uses_dynamic_stack: false
    .vgpr_count:     12
    .vgpr_spill_count: 0
    .wavefront_size: 32
  - .args:
      - .offset:         0
        .size:           1
        .value_kind:     by_value
      - .offset:         8
        .size:           8
        .value_kind:     by_value
      - .actual_access:  read_only
        .address_space:  global
        .offset:         16
        .size:           8
        .value_kind:     global_buffer
      - .actual_access:  read_only
        .address_space:  global
        .offset:         24
        .size:           8
        .value_kind:     global_buffer
      - .offset:         32
        .size:           4
        .value_kind:     by_value
      - .offset:         40
        .size:           8
        .value_kind:     by_value
      - .actual_access:  read_only
        .address_space:  global
        .offset:         48
        .size:           8
        .value_kind:     global_buffer
      - .actual_access:  read_only
        .address_space:  global
        .offset:         56
        .size:           8
        .value_kind:     global_buffer
      - .actual_access:  read_only
        .address_space:  global
        .offset:         64
        .size:           8
        .value_kind:     global_buffer
      - .actual_access:  read_only
        .address_space:  global
        .offset:         72
        .size:           8
        .value_kind:     global_buffer
      - .offset:         80
        .size:           8
        .value_kind:     by_value
      - .address_space:  global
        .offset:         88
        .size:           8
        .value_kind:     global_buffer
      - .offset:         96
        .size:           4
        .value_kind:     by_value
      - .offset:         100
        .size:           1
        .value_kind:     by_value
    .group_segment_fixed_size: 0
    .kernarg_segment_align: 8
    .kernarg_segment_size: 104
    .language:       OpenCL C
    .language_version:
      - 2
      - 0
    .max_flat_workgroup_size: 256
    .name:           _ZN9rocsparseL28csrmvn_lrb_short_rows_kernelIlif21rocsparse_complex_numIfES2_S2_EEvbT_PT0_S5_jNS_24const_host_device_scalarIT4_EEPKS3_PKS4_PKT1_PKT2_S8_PT3_21rocsparse_index_base_b
    .private_segment_fixed_size: 0
    .sgpr_count:     25
    .sgpr_spill_count: 0
    .symbol:         _ZN9rocsparseL28csrmvn_lrb_short_rows_kernelIlif21rocsparse_complex_numIfES2_S2_EEvbT_PT0_S5_jNS_24const_host_device_scalarIT4_EEPKS3_PKS4_PKT1_PKT2_S8_PT3_21rocsparse_index_base_b.kd
    .uniform_work_group_size: 1
    .uses_dynamic_stack: false
    .vgpr_count:     16
    .vgpr_spill_count: 0
    .wavefront_size: 32
  - .args:
      - .offset:         0
        .size:           1
        .value_kind:     by_value
      - .offset:         8
        .size:           8
        .value_kind:     by_value
      - .actual_access:  read_only
        .address_space:  global
        .offset:         16
        .size:           8
        .value_kind:     global_buffer
      - .actual_access:  read_only
        .address_space:  global
        .offset:         24
        .size:           8
        .value_kind:     global_buffer
      - .offset:         32
        .size:           4
        .value_kind:     by_value
      - .offset:         40
        .size:           8
        .value_kind:     by_value
      - .actual_access:  read_only
        .address_space:  global
        .offset:         48
        .size:           8
        .value_kind:     global_buffer
      - .actual_access:  read_only
        .address_space:  global
        .offset:         56
        .size:           8
        .value_kind:     global_buffer
      - .actual_access:  read_only
        .address_space:  global
        .offset:         64
        .size:           8
        .value_kind:     global_buffer
      - .actual_access:  read_only
        .address_space:  global
        .offset:         72
        .size:           8
        .value_kind:     global_buffer
      - .offset:         80
        .size:           8
        .value_kind:     by_value
      - .address_space:  global
        .offset:         88
        .size:           8
        .value_kind:     global_buffer
      - .offset:         96
        .size:           4
        .value_kind:     by_value
      - .offset:         100
        .size:           1
        .value_kind:     by_value
    .group_segment_fixed_size: 8192
    .kernarg_segment_align: 8
    .kernarg_segment_size: 104
    .language:       OpenCL C
    .language_version:
      - 2
      - 0
    .max_flat_workgroup_size: 256
    .name:           _ZN9rocsparseL30csrmvn_lrb_short_rows_2_kernelIlif21rocsparse_complex_numIfES2_S2_EEvbT_PT0_S5_jNS_24const_host_device_scalarIT4_EEPKS3_PKS4_PKT1_PKT2_S8_PT3_21rocsparse_index_base_b
    .private_segment_fixed_size: 0
    .sgpr_count:     24
    .sgpr_spill_count: 0
    .symbol:         _ZN9rocsparseL30csrmvn_lrb_short_rows_2_kernelIlif21rocsparse_complex_numIfES2_S2_EEvbT_PT0_S5_jNS_24const_host_device_scalarIT4_EEPKS3_PKS4_PKT1_PKT2_S8_PT3_21rocsparse_index_base_b.kd
    .uniform_work_group_size: 1
    .uses_dynamic_stack: false
    .vgpr_count:     16
    .vgpr_spill_count: 0
    .wavefront_size: 32
  - .args:
      - .offset:         0
        .size:           1
        .value_kind:     by_value
      - .offset:         8
        .size:           8
        .value_kind:     by_value
      - .offset:         16
        .size:           8
        .value_kind:     by_value
      - .actual_access:  read_only
        .address_space:  global
        .offset:         24
        .size:           8
        .value_kind:     global_buffer
      - .actual_access:  read_only
        .address_space:  global
        .offset:         32
        .size:           8
        .value_kind:     global_buffer
      - .offset:         40
        .size:           4
        .value_kind:     by_value
      - .offset:         48
        .size:           8
        .value_kind:     by_value
      - .actual_access:  read_only
        .address_space:  global
        .offset:         56
        .size:           8
        .value_kind:     global_buffer
      - .actual_access:  read_only
        .address_space:  global
        .offset:         64
        .size:           8
        .value_kind:     global_buffer
      - .actual_access:  read_only
        .address_space:  global
        .offset:         72
        .size:           8
        .value_kind:     global_buffer
      - .actual_access:  read_only
        .address_space:  global
        .offset:         80
        .size:           8
        .value_kind:     global_buffer
      - .offset:         88
        .size:           8
        .value_kind:     by_value
      - .address_space:  global
        .offset:         96
        .size:           8
        .value_kind:     global_buffer
      - .offset:         104
        .size:           4
        .value_kind:     by_value
      - .offset:         108
        .size:           1
        .value_kind:     by_value
    .group_segment_fixed_size: 0
    .kernarg_segment_align: 8
    .kernarg_segment_size: 112
    .language:       OpenCL C
    .language_version:
      - 2
      - 0
    .max_flat_workgroup_size: 256
    .name:           _ZN9rocsparseL41csrmvn_lrb_medium_rows_warp_reduce_kernelILj256ELj32Elif21rocsparse_complex_numIfES2_S2_EEvbT1_lPT2_S5_jNS_24const_host_device_scalarIT6_EEPKS3_PKS4_PKT3_PKT4_S8_PT5_21rocsparse_index_base_b
    .private_segment_fixed_size: 0
    .sgpr_count:     14
    .sgpr_spill_count: 0
    .symbol:         _ZN9rocsparseL41csrmvn_lrb_medium_rows_warp_reduce_kernelILj256ELj32Elif21rocsparse_complex_numIfES2_S2_EEvbT1_lPT2_S5_jNS_24const_host_device_scalarIT6_EEPKS3_PKS4_PKT3_PKT4_S8_PT5_21rocsparse_index_base_b.kd
    .uniform_work_group_size: 1
    .uses_dynamic_stack: false
    .vgpr_count:     24
    .vgpr_spill_count: 0
    .wavefront_size: 32
  - .args:
      - .offset:         0
        .size:           1
        .value_kind:     by_value
      - .offset:         8
        .size:           8
        .value_kind:     by_value
      - .offset:         16
        .size:           8
        .value_kind:     by_value
      - .actual_access:  read_only
        .address_space:  global
        .offset:         24
        .size:           8
        .value_kind:     global_buffer
      - .actual_access:  read_only
        .address_space:  global
        .offset:         32
        .size:           8
        .value_kind:     global_buffer
      - .offset:         40
        .size:           4
        .value_kind:     by_value
      - .offset:         48
        .size:           8
        .value_kind:     by_value
      - .actual_access:  read_only
        .address_space:  global
        .offset:         56
        .size:           8
        .value_kind:     global_buffer
      - .actual_access:  read_only
        .address_space:  global
        .offset:         64
        .size:           8
        .value_kind:     global_buffer
      - .actual_access:  read_only
        .address_space:  global
        .offset:         72
        .size:           8
        .value_kind:     global_buffer
      - .actual_access:  read_only
        .address_space:  global
        .offset:         80
        .size:           8
        .value_kind:     global_buffer
      - .offset:         88
        .size:           8
        .value_kind:     by_value
      - .address_space:  global
        .offset:         96
        .size:           8
        .value_kind:     global_buffer
      - .offset:         104
        .size:           4
        .value_kind:     by_value
      - .offset:         108
        .size:           1
        .value_kind:     by_value
    .group_segment_fixed_size: 0
    .kernarg_segment_align: 8
    .kernarg_segment_size: 112
    .language:       OpenCL C
    .language_version:
      - 2
      - 0
    .max_flat_workgroup_size: 256
    .name:           _ZN9rocsparseL41csrmvn_lrb_medium_rows_warp_reduce_kernelILj256ELj64Elif21rocsparse_complex_numIfES2_S2_EEvbT1_lPT2_S5_jNS_24const_host_device_scalarIT6_EEPKS3_PKS4_PKT3_PKT4_S8_PT5_21rocsparse_index_base_b
    .private_segment_fixed_size: 0
    .sgpr_count:     14
    .sgpr_spill_count: 0
    .symbol:         _ZN9rocsparseL41csrmvn_lrb_medium_rows_warp_reduce_kernelILj256ELj64Elif21rocsparse_complex_numIfES2_S2_EEvbT1_lPT2_S5_jNS_24const_host_device_scalarIT6_EEPKS3_PKS4_PKT3_PKT4_S8_PT5_21rocsparse_index_base_b.kd
    .uniform_work_group_size: 1
    .uses_dynamic_stack: false
    .vgpr_count:     24
    .vgpr_spill_count: 0
    .wavefront_size: 32
  - .args:
      - .offset:         0
        .size:           1
        .value_kind:     by_value
      - .offset:         8
        .size:           8
        .value_kind:     by_value
      - .actual_access:  read_only
        .address_space:  global
        .offset:         16
        .size:           8
        .value_kind:     global_buffer
      - .actual_access:  read_only
        .address_space:  global
        .offset:         24
        .size:           8
        .value_kind:     global_buffer
      - .offset:         32
        .size:           4
        .value_kind:     by_value
      - .offset:         40
        .size:           8
        .value_kind:     by_value
      - .actual_access:  read_only
        .address_space:  global
        .offset:         48
        .size:           8
        .value_kind:     global_buffer
      - .actual_access:  read_only
        .address_space:  global
        .offset:         56
        .size:           8
        .value_kind:     global_buffer
      - .actual_access:  read_only
        .address_space:  global
        .offset:         64
        .size:           8
        .value_kind:     global_buffer
      - .actual_access:  read_only
        .address_space:  global
        .offset:         72
        .size:           8
        .value_kind:     global_buffer
      - .offset:         80
        .size:           8
        .value_kind:     by_value
      - .address_space:  global
        .offset:         88
        .size:           8
        .value_kind:     global_buffer
      - .offset:         96
        .size:           4
        .value_kind:     by_value
      - .offset:         100
        .size:           1
        .value_kind:     by_value
    .group_segment_fixed_size: 2048
    .kernarg_segment_align: 8
    .kernarg_segment_size: 104
    .language:       OpenCL C
    .language_version:
      - 2
      - 0
    .max_flat_workgroup_size: 256
    .name:           _ZN9rocsparseL29csrmvn_lrb_medium_rows_kernelILj256Elif21rocsparse_complex_numIfES2_S2_EEvbT0_PT1_S5_jNS_24const_host_device_scalarIT5_EEPKS3_PKS4_PKT2_PKT3_S8_PT4_21rocsparse_index_base_b
    .private_segment_fixed_size: 0
    .sgpr_count:     18
    .sgpr_spill_count: 0
    .symbol:         _ZN9rocsparseL29csrmvn_lrb_medium_rows_kernelILj256Elif21rocsparse_complex_numIfES2_S2_EEvbT0_PT1_S5_jNS_24const_host_device_scalarIT5_EEPKS3_PKS4_PKT2_PKT3_S8_PT4_21rocsparse_index_base_b.kd
    .uniform_work_group_size: 1
    .uses_dynamic_stack: false
    .vgpr_count:     20
    .vgpr_spill_count: 0
    .wavefront_size: 32
  - .args:
      - .offset:         0
        .size:           1
        .value_kind:     by_value
      - .offset:         8
        .size:           8
        .value_kind:     by_value
      - .address_space:  global
        .offset:         16
        .size:           8
        .value_kind:     global_buffer
      - .actual_access:  read_only
        .address_space:  global
        .offset:         24
        .size:           8
        .value_kind:     global_buffer
      - .actual_access:  read_only
        .address_space:  global
        .offset:         32
        .size:           8
        .value_kind:     global_buffer
      - .offset:         40
        .size:           4
        .value_kind:     by_value
      - .offset:         48
        .size:           8
        .value_kind:     by_value
      - .actual_access:  read_only
        .address_space:  global
        .offset:         56
        .size:           8
        .value_kind:     global_buffer
      - .actual_access:  read_only
        .address_space:  global
        .offset:         64
        .size:           8
        .value_kind:     global_buffer
      - .actual_access:  read_only
        .address_space:  global
        .offset:         72
        .size:           8
        .value_kind:     global_buffer
      - .actual_access:  read_only
        .address_space:  global
        .offset:         80
        .size:           8
        .value_kind:     global_buffer
      - .offset:         88
        .size:           8
        .value_kind:     by_value
      - .address_space:  global
        .offset:         96
        .size:           8
        .value_kind:     global_buffer
      - .offset:         104
        .size:           4
        .value_kind:     by_value
      - .offset:         108
        .size:           1
        .value_kind:     by_value
    .group_segment_fixed_size: 2048
    .kernarg_segment_align: 8
    .kernarg_segment_size: 112
    .language:       OpenCL C
    .language_version:
      - 2
      - 0
    .max_flat_workgroup_size: 256
    .name:           _ZN9rocsparseL27csrmvn_lrb_long_rows_kernelIlif21rocsparse_complex_numIfES2_S2_EEvbT_PjPT0_S6_jNS_24const_host_device_scalarIT4_EEPKS3_PKS5_PKT1_PKT2_S9_PT3_21rocsparse_index_base_b
    .private_segment_fixed_size: 0
    .sgpr_count:     30
    .sgpr_spill_count: 0
    .symbol:         _ZN9rocsparseL27csrmvn_lrb_long_rows_kernelIlif21rocsparse_complex_numIfES2_S2_EEvbT_PjPT0_S6_jNS_24const_host_device_scalarIT4_EEPKS3_PKS5_PKT1_PKT2_S9_PT3_21rocsparse_index_base_b.kd
    .uniform_work_group_size: 1
    .uses_dynamic_stack: false
    .vgpr_count:     20
    .vgpr_spill_count: 0
    .wavefront_size: 32
  - .args:
      - .offset:         0
        .size:           1
        .value_kind:     by_value
      - .offset:         8
        .size:           8
        .value_kind:     by_value
      - .actual_access:  read_only
        .address_space:  global
        .offset:         16
        .size:           8
        .value_kind:     global_buffer
      - .actual_access:  read_only
        .address_space:  global
        .offset:         24
        .size:           8
        .value_kind:     global_buffer
      - .offset:         32
        .size:           4
        .value_kind:     by_value
      - .offset:         40
        .size:           8
        .value_kind:     by_value
      - .actual_access:  read_only
        .address_space:  global
        .offset:         48
        .size:           8
        .value_kind:     global_buffer
      - .actual_access:  read_only
        .address_space:  global
        .offset:         56
        .size:           8
        .value_kind:     global_buffer
      - .actual_access:  read_only
        .address_space:  global
        .offset:         64
        .size:           8
        .value_kind:     global_buffer
      - .actual_access:  read_only
        .address_space:  global
        .offset:         72
        .size:           8
        .value_kind:     global_buffer
      - .offset:         80
        .size:           8
        .value_kind:     by_value
      - .address_space:  global
        .offset:         88
        .size:           8
        .value_kind:     global_buffer
      - .offset:         96
        .size:           4
        .value_kind:     by_value
      - .offset:         100
        .size:           1
        .value_kind:     by_value
    .group_segment_fixed_size: 0
    .kernarg_segment_align: 8
    .kernarg_segment_size: 104
    .language:       OpenCL C
    .language_version:
      - 2
      - 0
    .max_flat_workgroup_size: 256
    .name:           _ZN9rocsparseL28csrmvn_lrb_short_rows_kernelIllf21rocsparse_complex_numIfES2_S2_EEvbT_PT0_S5_jNS_24const_host_device_scalarIT4_EEPKS3_PKS4_PKT1_PKT2_S8_PT3_21rocsparse_index_base_b
    .private_segment_fixed_size: 0
    .sgpr_count:     28
    .sgpr_spill_count: 0
    .symbol:         _ZN9rocsparseL28csrmvn_lrb_short_rows_kernelIllf21rocsparse_complex_numIfES2_S2_EEvbT_PT0_S5_jNS_24const_host_device_scalarIT4_EEPKS3_PKS4_PKT1_PKT2_S8_PT3_21rocsparse_index_base_b.kd
    .uniform_work_group_size: 1
    .uses_dynamic_stack: false
    .vgpr_count:     16
    .vgpr_spill_count: 0
    .wavefront_size: 32
  - .args:
      - .offset:         0
        .size:           1
        .value_kind:     by_value
      - .offset:         8
        .size:           8
        .value_kind:     by_value
      - .actual_access:  read_only
        .address_space:  global
        .offset:         16
        .size:           8
        .value_kind:     global_buffer
      - .actual_access:  read_only
        .address_space:  global
        .offset:         24
        .size:           8
        .value_kind:     global_buffer
      - .offset:         32
        .size:           4
        .value_kind:     by_value
      - .offset:         40
        .size:           8
        .value_kind:     by_value
      - .actual_access:  read_only
        .address_space:  global
        .offset:         48
        .size:           8
        .value_kind:     global_buffer
      - .actual_access:  read_only
        .address_space:  global
        .offset:         56
        .size:           8
        .value_kind:     global_buffer
      - .actual_access:  read_only
        .address_space:  global
        .offset:         64
        .size:           8
        .value_kind:     global_buffer
      - .actual_access:  read_only
        .address_space:  global
        .offset:         72
        .size:           8
        .value_kind:     global_buffer
      - .offset:         80
        .size:           8
        .value_kind:     by_value
      - .address_space:  global
        .offset:         88
        .size:           8
        .value_kind:     global_buffer
      - .offset:         96
        .size:           4
        .value_kind:     by_value
      - .offset:         100
        .size:           1
        .value_kind:     by_value
    .group_segment_fixed_size: 8192
    .kernarg_segment_align: 8
    .kernarg_segment_size: 104
    .language:       OpenCL C
    .language_version:
      - 2
      - 0
    .max_flat_workgroup_size: 256
    .name:           _ZN9rocsparseL30csrmvn_lrb_short_rows_2_kernelIllf21rocsparse_complex_numIfES2_S2_EEvbT_PT0_S5_jNS_24const_host_device_scalarIT4_EEPKS3_PKS4_PKT1_PKT2_S8_PT3_21rocsparse_index_base_b
    .private_segment_fixed_size: 0
    .sgpr_count:     26
    .sgpr_spill_count: 0
    .symbol:         _ZN9rocsparseL30csrmvn_lrb_short_rows_2_kernelIllf21rocsparse_complex_numIfES2_S2_EEvbT_PT0_S5_jNS_24const_host_device_scalarIT4_EEPKS3_PKS4_PKT1_PKT2_S8_PT3_21rocsparse_index_base_b.kd
    .uniform_work_group_size: 1
    .uses_dynamic_stack: false
    .vgpr_count:     16
    .vgpr_spill_count: 0
    .wavefront_size: 32
  - .args:
      - .offset:         0
        .size:           1
        .value_kind:     by_value
      - .offset:         8
        .size:           8
        .value_kind:     by_value
      - .offset:         16
        .size:           8
        .value_kind:     by_value
      - .actual_access:  read_only
        .address_space:  global
        .offset:         24
        .size:           8
        .value_kind:     global_buffer
      - .actual_access:  read_only
        .address_space:  global
        .offset:         32
        .size:           8
        .value_kind:     global_buffer
      - .offset:         40
        .size:           4
        .value_kind:     by_value
      - .offset:         48
        .size:           8
        .value_kind:     by_value
      - .actual_access:  read_only
        .address_space:  global
        .offset:         56
        .size:           8
        .value_kind:     global_buffer
      - .actual_access:  read_only
        .address_space:  global
        .offset:         64
        .size:           8
        .value_kind:     global_buffer
      - .actual_access:  read_only
        .address_space:  global
        .offset:         72
        .size:           8
        .value_kind:     global_buffer
      - .actual_access:  read_only
        .address_space:  global
        .offset:         80
        .size:           8
        .value_kind:     global_buffer
      - .offset:         88
        .size:           8
        .value_kind:     by_value
      - .address_space:  global
        .offset:         96
        .size:           8
        .value_kind:     global_buffer
      - .offset:         104
        .size:           4
        .value_kind:     by_value
      - .offset:         108
        .size:           1
        .value_kind:     by_value
    .group_segment_fixed_size: 0
    .kernarg_segment_align: 8
    .kernarg_segment_size: 112
    .language:       OpenCL C
    .language_version:
      - 2
      - 0
    .max_flat_workgroup_size: 256
    .name:           _ZN9rocsparseL41csrmvn_lrb_medium_rows_warp_reduce_kernelILj256ELj32Ellf21rocsparse_complex_numIfES2_S2_EEvbT1_lPT2_S5_jNS_24const_host_device_scalarIT6_EEPKS3_PKS4_PKT3_PKT4_S8_PT5_21rocsparse_index_base_b
    .private_segment_fixed_size: 0
    .sgpr_count:     14
    .sgpr_spill_count: 0
    .symbol:         _ZN9rocsparseL41csrmvn_lrb_medium_rows_warp_reduce_kernelILj256ELj32Ellf21rocsparse_complex_numIfES2_S2_EEvbT1_lPT2_S5_jNS_24const_host_device_scalarIT6_EEPKS3_PKS4_PKT3_PKT4_S8_PT5_21rocsparse_index_base_b.kd
    .uniform_work_group_size: 1
    .uses_dynamic_stack: false
    .vgpr_count:     24
    .vgpr_spill_count: 0
    .wavefront_size: 32
  - .args:
      - .offset:         0
        .size:           1
        .value_kind:     by_value
      - .offset:         8
        .size:           8
        .value_kind:     by_value
      - .offset:         16
        .size:           8
        .value_kind:     by_value
      - .actual_access:  read_only
        .address_space:  global
        .offset:         24
        .size:           8
        .value_kind:     global_buffer
      - .actual_access:  read_only
        .address_space:  global
        .offset:         32
        .size:           8
        .value_kind:     global_buffer
      - .offset:         40
        .size:           4
        .value_kind:     by_value
      - .offset:         48
        .size:           8
        .value_kind:     by_value
      - .actual_access:  read_only
        .address_space:  global
        .offset:         56
        .size:           8
        .value_kind:     global_buffer
      - .actual_access:  read_only
        .address_space:  global
        .offset:         64
        .size:           8
        .value_kind:     global_buffer
      - .actual_access:  read_only
        .address_space:  global
        .offset:         72
        .size:           8
        .value_kind:     global_buffer
      - .actual_access:  read_only
        .address_space:  global
        .offset:         80
        .size:           8
        .value_kind:     global_buffer
      - .offset:         88
        .size:           8
        .value_kind:     by_value
      - .address_space:  global
        .offset:         96
        .size:           8
        .value_kind:     global_buffer
      - .offset:         104
        .size:           4
        .value_kind:     by_value
      - .offset:         108
        .size:           1
        .value_kind:     by_value
    .group_segment_fixed_size: 0
    .kernarg_segment_align: 8
    .kernarg_segment_size: 112
    .language:       OpenCL C
    .language_version:
      - 2
      - 0
    .max_flat_workgroup_size: 256
    .name:           _ZN9rocsparseL41csrmvn_lrb_medium_rows_warp_reduce_kernelILj256ELj64Ellf21rocsparse_complex_numIfES2_S2_EEvbT1_lPT2_S5_jNS_24const_host_device_scalarIT6_EEPKS3_PKS4_PKT3_PKT4_S8_PT5_21rocsparse_index_base_b
    .private_segment_fixed_size: 0
    .sgpr_count:     14
    .sgpr_spill_count: 0
    .symbol:         _ZN9rocsparseL41csrmvn_lrb_medium_rows_warp_reduce_kernelILj256ELj64Ellf21rocsparse_complex_numIfES2_S2_EEvbT1_lPT2_S5_jNS_24const_host_device_scalarIT6_EEPKS3_PKS4_PKT3_PKT4_S8_PT5_21rocsparse_index_base_b.kd
    .uniform_work_group_size: 1
    .uses_dynamic_stack: false
    .vgpr_count:     24
    .vgpr_spill_count: 0
    .wavefront_size: 32
  - .args:
      - .offset:         0
        .size:           1
        .value_kind:     by_value
      - .offset:         8
        .size:           8
        .value_kind:     by_value
      - .actual_access:  read_only
        .address_space:  global
        .offset:         16
        .size:           8
        .value_kind:     global_buffer
      - .actual_access:  read_only
        .address_space:  global
        .offset:         24
        .size:           8
        .value_kind:     global_buffer
      - .offset:         32
        .size:           4
        .value_kind:     by_value
      - .offset:         40
        .size:           8
        .value_kind:     by_value
      - .actual_access:  read_only
        .address_space:  global
        .offset:         48
        .size:           8
        .value_kind:     global_buffer
      - .actual_access:  read_only
        .address_space:  global
        .offset:         56
        .size:           8
        .value_kind:     global_buffer
      - .actual_access:  read_only
        .address_space:  global
        .offset:         64
        .size:           8
        .value_kind:     global_buffer
      - .actual_access:  read_only
        .address_space:  global
        .offset:         72
        .size:           8
        .value_kind:     global_buffer
      - .offset:         80
        .size:           8
        .value_kind:     by_value
      - .address_space:  global
        .offset:         88
        .size:           8
        .value_kind:     global_buffer
      - .offset:         96
        .size:           4
        .value_kind:     by_value
      - .offset:         100
        .size:           1
        .value_kind:     by_value
    .group_segment_fixed_size: 2048
    .kernarg_segment_align: 8
    .kernarg_segment_size: 104
    .language:       OpenCL C
    .language_version:
      - 2
      - 0
    .max_flat_workgroup_size: 256
    .name:           _ZN9rocsparseL29csrmvn_lrb_medium_rows_kernelILj256Ellf21rocsparse_complex_numIfES2_S2_EEvbT0_PT1_S5_jNS_24const_host_device_scalarIT5_EEPKS3_PKS4_PKT2_PKT3_S8_PT4_21rocsparse_index_base_b
    .private_segment_fixed_size: 0
    .sgpr_count:     18
    .sgpr_spill_count: 0
    .symbol:         _ZN9rocsparseL29csrmvn_lrb_medium_rows_kernelILj256Ellf21rocsparse_complex_numIfES2_S2_EEvbT0_PT1_S5_jNS_24const_host_device_scalarIT5_EEPKS3_PKS4_PKT2_PKT3_S8_PT4_21rocsparse_index_base_b.kd
    .uniform_work_group_size: 1
    .uses_dynamic_stack: false
    .vgpr_count:     20
    .vgpr_spill_count: 0
    .wavefront_size: 32
  - .args:
      - .offset:         0
        .size:           1
        .value_kind:     by_value
      - .offset:         8
        .size:           8
        .value_kind:     by_value
      - .address_space:  global
        .offset:         16
        .size:           8
        .value_kind:     global_buffer
      - .actual_access:  read_only
        .address_space:  global
        .offset:         24
        .size:           8
        .value_kind:     global_buffer
      - .actual_access:  read_only
        .address_space:  global
        .offset:         32
        .size:           8
        .value_kind:     global_buffer
      - .offset:         40
        .size:           4
        .value_kind:     by_value
      - .offset:         48
        .size:           8
        .value_kind:     by_value
      - .actual_access:  read_only
        .address_space:  global
        .offset:         56
        .size:           8
        .value_kind:     global_buffer
      - .actual_access:  read_only
        .address_space:  global
        .offset:         64
        .size:           8
        .value_kind:     global_buffer
      - .actual_access:  read_only
        .address_space:  global
        .offset:         72
        .size:           8
        .value_kind:     global_buffer
      - .actual_access:  read_only
        .address_space:  global
        .offset:         80
        .size:           8
        .value_kind:     global_buffer
      - .offset:         88
        .size:           8
        .value_kind:     by_value
      - .address_space:  global
        .offset:         96
        .size:           8
        .value_kind:     global_buffer
      - .offset:         104
        .size:           4
        .value_kind:     by_value
      - .offset:         108
        .size:           1
        .value_kind:     by_value
    .group_segment_fixed_size: 2048
    .kernarg_segment_align: 8
    .kernarg_segment_size: 112
    .language:       OpenCL C
    .language_version:
      - 2
      - 0
    .max_flat_workgroup_size: 256
    .name:           _ZN9rocsparseL27csrmvn_lrb_long_rows_kernelIllf21rocsparse_complex_numIfES2_S2_EEvbT_PjPT0_S6_jNS_24const_host_device_scalarIT4_EEPKS3_PKS5_PKT1_PKT2_S9_PT3_21rocsparse_index_base_b
    .private_segment_fixed_size: 0
    .sgpr_count:     30
    .sgpr_spill_count: 0
    .symbol:         _ZN9rocsparseL27csrmvn_lrb_long_rows_kernelIllf21rocsparse_complex_numIfES2_S2_EEvbT_PjPT0_S6_jNS_24const_host_device_scalarIT4_EEPKS3_PKS5_PKT1_PKT2_S9_PT3_21rocsparse_index_base_b.kd
    .uniform_work_group_size: 1
    .uses_dynamic_stack: false
    .vgpr_count:     20
    .vgpr_spill_count: 0
    .wavefront_size: 32
  - .args:
      - .offset:         0
        .size:           1
        .value_kind:     by_value
      - .offset:         4
        .size:           4
        .value_kind:     by_value
      - .actual_access:  read_only
        .address_space:  global
        .offset:         8
        .size:           8
        .value_kind:     global_buffer
      - .actual_access:  read_only
        .address_space:  global
        .offset:         16
        .size:           8
        .value_kind:     global_buffer
      - .offset:         24
        .size:           4
        .value_kind:     by_value
      - .offset:         32
        .size:           8
        .value_kind:     by_value
      - .actual_access:  read_only
        .address_space:  global
        .offset:         40
        .size:           8
        .value_kind:     global_buffer
      - .actual_access:  read_only
        .address_space:  global
        .offset:         48
        .size:           8
        .value_kind:     global_buffer
      - .actual_access:  read_only
        .address_space:  global
        .offset:         56
        .size:           8
        .value_kind:     global_buffer
      - .actual_access:  read_only
        .address_space:  global
        .offset:         64
        .size:           8
        .value_kind:     global_buffer
      - .offset:         72
        .size:           8
        .value_kind:     by_value
      - .address_space:  global
        .offset:         80
        .size:           8
        .value_kind:     global_buffer
      - .offset:         88
        .size:           4
        .value_kind:     by_value
      - .offset:         92
        .size:           1
        .value_kind:     by_value
    .group_segment_fixed_size: 0
    .kernarg_segment_align: 8
    .kernarg_segment_size: 96
    .language:       OpenCL C
    .language_version:
      - 2
      - 0
    .max_flat_workgroup_size: 256
    .name:           _ZN9rocsparseL28csrmvn_lrb_short_rows_kernelIiifdddEEvbT_PT0_S3_jNS_24const_host_device_scalarIT4_EEPKS1_PKS2_PKT1_PKT2_S6_PT3_21rocsparse_index_base_b
    .private_segment_fixed_size: 0
    .sgpr_count:     23
    .sgpr_spill_count: 0
    .symbol:         _ZN9rocsparseL28csrmvn_lrb_short_rows_kernelIiifdddEEvbT_PT0_S3_jNS_24const_host_device_scalarIT4_EEPKS1_PKS2_PKT1_PKT2_S6_PT3_21rocsparse_index_base_b.kd
    .uniform_work_group_size: 1
    .uses_dynamic_stack: false
    .vgpr_count:     12
    .vgpr_spill_count: 0
    .wavefront_size: 32
  - .args:
      - .offset:         0
        .size:           1
        .value_kind:     by_value
      - .offset:         4
        .size:           4
        .value_kind:     by_value
      - .actual_access:  read_only
        .address_space:  global
        .offset:         8
        .size:           8
        .value_kind:     global_buffer
      - .actual_access:  read_only
        .address_space:  global
        .offset:         16
        .size:           8
        .value_kind:     global_buffer
      - .offset:         24
        .size:           4
        .value_kind:     by_value
      - .offset:         32
        .size:           8
        .value_kind:     by_value
      - .actual_access:  read_only
        .address_space:  global
        .offset:         40
        .size:           8
        .value_kind:     global_buffer
      - .actual_access:  read_only
        .address_space:  global
        .offset:         48
        .size:           8
        .value_kind:     global_buffer
      - .actual_access:  read_only
        .address_space:  global
        .offset:         56
        .size:           8
        .value_kind:     global_buffer
      - .actual_access:  read_only
        .address_space:  global
        .offset:         64
        .size:           8
        .value_kind:     global_buffer
      - .offset:         72
        .size:           8
        .value_kind:     by_value
      - .address_space:  global
        .offset:         80
        .size:           8
        .value_kind:     global_buffer
      - .offset:         88
        .size:           4
        .value_kind:     by_value
      - .offset:         92
        .size:           1
        .value_kind:     by_value
    .group_segment_fixed_size: 8192
    .kernarg_segment_align: 8
    .kernarg_segment_size: 96
    .language:       OpenCL C
    .language_version:
      - 2
      - 0
    .max_flat_workgroup_size: 256
    .name:           _ZN9rocsparseL30csrmvn_lrb_short_rows_2_kernelIiifdddEEvbT_PT0_S3_jNS_24const_host_device_scalarIT4_EEPKS1_PKS2_PKT1_PKT2_S6_PT3_21rocsparse_index_base_b
    .private_segment_fixed_size: 0
    .sgpr_count:     22
    .sgpr_spill_count: 0
    .symbol:         _ZN9rocsparseL30csrmvn_lrb_short_rows_2_kernelIiifdddEEvbT_PT0_S3_jNS_24const_host_device_scalarIT4_EEPKS1_PKS2_PKT1_PKT2_S6_PT3_21rocsparse_index_base_b.kd
    .uniform_work_group_size: 1
    .uses_dynamic_stack: false
    .vgpr_count:     11
    .vgpr_spill_count: 0
    .wavefront_size: 32
  - .args:
      - .offset:         0
        .size:           1
        .value_kind:     by_value
      - .offset:         4
        .size:           4
        .value_kind:     by_value
      - .offset:         8
        .size:           8
        .value_kind:     by_value
      - .actual_access:  read_only
        .address_space:  global
        .offset:         16
        .size:           8
        .value_kind:     global_buffer
      - .actual_access:  read_only
        .address_space:  global
        .offset:         24
        .size:           8
        .value_kind:     global_buffer
      - .offset:         32
        .size:           4
        .value_kind:     by_value
      - .offset:         40
        .size:           8
        .value_kind:     by_value
      - .actual_access:  read_only
        .address_space:  global
        .offset:         48
        .size:           8
        .value_kind:     global_buffer
      - .actual_access:  read_only
        .address_space:  global
        .offset:         56
        .size:           8
        .value_kind:     global_buffer
      - .actual_access:  read_only
        .address_space:  global
        .offset:         64
        .size:           8
        .value_kind:     global_buffer
      - .actual_access:  read_only
        .address_space:  global
        .offset:         72
        .size:           8
        .value_kind:     global_buffer
      - .offset:         80
        .size:           8
        .value_kind:     by_value
      - .address_space:  global
        .offset:         88
        .size:           8
        .value_kind:     global_buffer
      - .offset:         96
        .size:           4
        .value_kind:     by_value
      - .offset:         100
        .size:           1
        .value_kind:     by_value
    .group_segment_fixed_size: 0
    .kernarg_segment_align: 8
    .kernarg_segment_size: 104
    .language:       OpenCL C
    .language_version:
      - 2
      - 0
    .max_flat_workgroup_size: 256
    .name:           _ZN9rocsparseL41csrmvn_lrb_medium_rows_warp_reduce_kernelILj256ELj32EiifdddEEvbT1_lPT2_S3_jNS_24const_host_device_scalarIT6_EEPKS1_PKS2_PKT3_PKT4_S6_PT5_21rocsparse_index_base_b
    .private_segment_fixed_size: 0
    .sgpr_count:     13
    .sgpr_spill_count: 0
    .symbol:         _ZN9rocsparseL41csrmvn_lrb_medium_rows_warp_reduce_kernelILj256ELj32EiifdddEEvbT1_lPT2_S3_jNS_24const_host_device_scalarIT6_EEPKS1_PKS2_PKT3_PKT4_S6_PT5_21rocsparse_index_base_b.kd
    .uniform_work_group_size: 1
    .uses_dynamic_stack: false
    .vgpr_count:     16
    .vgpr_spill_count: 0
    .wavefront_size: 32
  - .args:
      - .offset:         0
        .size:           1
        .value_kind:     by_value
      - .offset:         4
        .size:           4
        .value_kind:     by_value
      - .offset:         8
        .size:           8
        .value_kind:     by_value
      - .actual_access:  read_only
        .address_space:  global
        .offset:         16
        .size:           8
        .value_kind:     global_buffer
      - .actual_access:  read_only
        .address_space:  global
        .offset:         24
        .size:           8
        .value_kind:     global_buffer
      - .offset:         32
        .size:           4
        .value_kind:     by_value
      - .offset:         40
        .size:           8
        .value_kind:     by_value
      - .actual_access:  read_only
        .address_space:  global
        .offset:         48
        .size:           8
        .value_kind:     global_buffer
      - .actual_access:  read_only
        .address_space:  global
        .offset:         56
        .size:           8
        .value_kind:     global_buffer
      - .actual_access:  read_only
        .address_space:  global
        .offset:         64
        .size:           8
        .value_kind:     global_buffer
      - .actual_access:  read_only
        .address_space:  global
        .offset:         72
        .size:           8
        .value_kind:     global_buffer
      - .offset:         80
        .size:           8
        .value_kind:     by_value
      - .address_space:  global
        .offset:         88
        .size:           8
        .value_kind:     global_buffer
      - .offset:         96
        .size:           4
        .value_kind:     by_value
      - .offset:         100
        .size:           1
        .value_kind:     by_value
    .group_segment_fixed_size: 0
    .kernarg_segment_align: 8
    .kernarg_segment_size: 104
    .language:       OpenCL C
    .language_version:
      - 2
      - 0
    .max_flat_workgroup_size: 256
    .name:           _ZN9rocsparseL41csrmvn_lrb_medium_rows_warp_reduce_kernelILj256ELj64EiifdddEEvbT1_lPT2_S3_jNS_24const_host_device_scalarIT6_EEPKS1_PKS2_PKT3_PKT4_S6_PT5_21rocsparse_index_base_b
    .private_segment_fixed_size: 0
    .sgpr_count:     13
    .sgpr_spill_count: 0
    .symbol:         _ZN9rocsparseL41csrmvn_lrb_medium_rows_warp_reduce_kernelILj256ELj64EiifdddEEvbT1_lPT2_S3_jNS_24const_host_device_scalarIT6_EEPKS1_PKS2_PKT3_PKT4_S6_PT5_21rocsparse_index_base_b.kd
    .uniform_work_group_size: 1
    .uses_dynamic_stack: false
    .vgpr_count:     16
    .vgpr_spill_count: 0
    .wavefront_size: 32
  - .args:
      - .offset:         0
        .size:           1
        .value_kind:     by_value
      - .offset:         4
        .size:           4
        .value_kind:     by_value
      - .actual_access:  read_only
        .address_space:  global
        .offset:         8
        .size:           8
        .value_kind:     global_buffer
      - .actual_access:  read_only
        .address_space:  global
        .offset:         16
        .size:           8
        .value_kind:     global_buffer
      - .offset:         24
        .size:           4
        .value_kind:     by_value
      - .offset:         32
        .size:           8
        .value_kind:     by_value
      - .actual_access:  read_only
        .address_space:  global
        .offset:         40
        .size:           8
        .value_kind:     global_buffer
      - .actual_access:  read_only
        .address_space:  global
        .offset:         48
        .size:           8
        .value_kind:     global_buffer
      - .actual_access:  read_only
        .address_space:  global
        .offset:         56
        .size:           8
        .value_kind:     global_buffer
      - .actual_access:  read_only
        .address_space:  global
        .offset:         64
        .size:           8
        .value_kind:     global_buffer
      - .offset:         72
        .size:           8
        .value_kind:     by_value
      - .address_space:  global
        .offset:         80
        .size:           8
        .value_kind:     global_buffer
      - .offset:         88
        .size:           4
        .value_kind:     by_value
      - .offset:         92
        .size:           1
        .value_kind:     by_value
    .group_segment_fixed_size: 2048
    .kernarg_segment_align: 8
    .kernarg_segment_size: 96
    .language:       OpenCL C
    .language_version:
      - 2
      - 0
    .max_flat_workgroup_size: 256
    .name:           _ZN9rocsparseL29csrmvn_lrb_medium_rows_kernelILj256EiifdddEEvbT0_PT1_S3_jNS_24const_host_device_scalarIT5_EEPKS1_PKS2_PKT2_PKT3_S6_PT4_21rocsparse_index_base_b
    .private_segment_fixed_size: 0
    .sgpr_count:     16
    .sgpr_spill_count: 0
    .symbol:         _ZN9rocsparseL29csrmvn_lrb_medium_rows_kernelILj256EiifdddEEvbT0_PT1_S3_jNS_24const_host_device_scalarIT5_EEPKS1_PKS2_PKT2_PKT3_S6_PT4_21rocsparse_index_base_b.kd
    .uniform_work_group_size: 1
    .uses_dynamic_stack: false
    .vgpr_count:     12
    .vgpr_spill_count: 0
    .wavefront_size: 32
  - .args:
      - .offset:         0
        .size:           1
        .value_kind:     by_value
      - .offset:         4
        .size:           4
        .value_kind:     by_value
      - .address_space:  global
        .offset:         8
        .size:           8
        .value_kind:     global_buffer
      - .actual_access:  read_only
        .address_space:  global
        .offset:         16
        .size:           8
        .value_kind:     global_buffer
      - .actual_access:  read_only
        .address_space:  global
        .offset:         24
        .size:           8
        .value_kind:     global_buffer
      - .offset:         32
        .size:           4
        .value_kind:     by_value
      - .offset:         40
        .size:           8
        .value_kind:     by_value
      - .actual_access:  read_only
        .address_space:  global
        .offset:         48
        .size:           8
        .value_kind:     global_buffer
      - .actual_access:  read_only
        .address_space:  global
        .offset:         56
        .size:           8
        .value_kind:     global_buffer
      - .actual_access:  read_only
        .address_space:  global
        .offset:         64
        .size:           8
        .value_kind:     global_buffer
      - .actual_access:  read_only
        .address_space:  global
        .offset:         72
        .size:           8
        .value_kind:     global_buffer
      - .offset:         80
        .size:           8
        .value_kind:     by_value
      - .address_space:  global
        .offset:         88
        .size:           8
        .value_kind:     global_buffer
      - .offset:         96
        .size:           4
        .value_kind:     by_value
      - .offset:         100
        .size:           1
        .value_kind:     by_value
    .group_segment_fixed_size: 2048
    .kernarg_segment_align: 8
    .kernarg_segment_size: 104
    .language:       OpenCL C
    .language_version:
      - 2
      - 0
    .max_flat_workgroup_size: 256
    .name:           _ZN9rocsparseL27csrmvn_lrb_long_rows_kernelIiifdddEEvbT_PjPT0_S4_jNS_24const_host_device_scalarIT4_EEPKS1_PKS3_PKT1_PKT2_S7_PT3_21rocsparse_index_base_b
    .private_segment_fixed_size: 0
    .sgpr_count:     24
    .sgpr_spill_count: 0
    .symbol:         _ZN9rocsparseL27csrmvn_lrb_long_rows_kernelIiifdddEEvbT_PjPT0_S4_jNS_24const_host_device_scalarIT4_EEPKS1_PKS3_PKT1_PKT2_S7_PT3_21rocsparse_index_base_b.kd
    .uniform_work_group_size: 1
    .uses_dynamic_stack: false
    .vgpr_count:     10
    .vgpr_spill_count: 0
    .wavefront_size: 32
  - .args:
      - .offset:         0
        .size:           1
        .value_kind:     by_value
      - .offset:         8
        .size:           8
        .value_kind:     by_value
      - .actual_access:  read_only
        .address_space:  global
        .offset:         16
        .size:           8
        .value_kind:     global_buffer
      - .actual_access:  read_only
        .address_space:  global
        .offset:         24
        .size:           8
        .value_kind:     global_buffer
      - .offset:         32
        .size:           4
        .value_kind:     by_value
      - .offset:         40
        .size:           8
        .value_kind:     by_value
      - .actual_access:  read_only
        .address_space:  global
        .offset:         48
        .size:           8
        .value_kind:     global_buffer
      - .actual_access:  read_only
        .address_space:  global
        .offset:         56
        .size:           8
        .value_kind:     global_buffer
      - .actual_access:  read_only
        .address_space:  global
        .offset:         64
        .size:           8
        .value_kind:     global_buffer
      - .actual_access:  read_only
        .address_space:  global
        .offset:         72
        .size:           8
        .value_kind:     global_buffer
      - .offset:         80
        .size:           8
        .value_kind:     by_value
      - .address_space:  global
        .offset:         88
        .size:           8
        .value_kind:     global_buffer
      - .offset:         96
        .size:           4
        .value_kind:     by_value
      - .offset:         100
        .size:           1
        .value_kind:     by_value
    .group_segment_fixed_size: 0
    .kernarg_segment_align: 8
    .kernarg_segment_size: 104
    .language:       OpenCL C
    .language_version:
      - 2
      - 0
    .max_flat_workgroup_size: 256
    .name:           _ZN9rocsparseL28csrmvn_lrb_short_rows_kernelIlifdddEEvbT_PT0_S3_jNS_24const_host_device_scalarIT4_EEPKS1_PKS2_PKT1_PKT2_S6_PT3_21rocsparse_index_base_b
    .private_segment_fixed_size: 0
    .sgpr_count:     24
    .sgpr_spill_count: 0
    .symbol:         _ZN9rocsparseL28csrmvn_lrb_short_rows_kernelIlifdddEEvbT_PT0_S3_jNS_24const_host_device_scalarIT4_EEPKS1_PKS2_PKT1_PKT2_S6_PT3_21rocsparse_index_base_b.kd
    .uniform_work_group_size: 1
    .uses_dynamic_stack: false
    .vgpr_count:     12
    .vgpr_spill_count: 0
    .wavefront_size: 32
  - .args:
      - .offset:         0
        .size:           1
        .value_kind:     by_value
      - .offset:         8
        .size:           8
        .value_kind:     by_value
      - .actual_access:  read_only
        .address_space:  global
        .offset:         16
        .size:           8
        .value_kind:     global_buffer
      - .actual_access:  read_only
        .address_space:  global
        .offset:         24
        .size:           8
        .value_kind:     global_buffer
      - .offset:         32
        .size:           4
        .value_kind:     by_value
      - .offset:         40
        .size:           8
        .value_kind:     by_value
      - .actual_access:  read_only
        .address_space:  global
        .offset:         48
        .size:           8
        .value_kind:     global_buffer
      - .actual_access:  read_only
        .address_space:  global
        .offset:         56
        .size:           8
        .value_kind:     global_buffer
      - .actual_access:  read_only
        .address_space:  global
        .offset:         64
        .size:           8
        .value_kind:     global_buffer
      - .actual_access:  read_only
        .address_space:  global
        .offset:         72
        .size:           8
        .value_kind:     global_buffer
      - .offset:         80
        .size:           8
        .value_kind:     by_value
      - .address_space:  global
        .offset:         88
        .size:           8
        .value_kind:     global_buffer
      - .offset:         96
        .size:           4
        .value_kind:     by_value
      - .offset:         100
        .size:           1
        .value_kind:     by_value
    .group_segment_fixed_size: 8192
    .kernarg_segment_align: 8
    .kernarg_segment_size: 104
    .language:       OpenCL C
    .language_version:
      - 2
      - 0
    .max_flat_workgroup_size: 256
    .name:           _ZN9rocsparseL30csrmvn_lrb_short_rows_2_kernelIlifdddEEvbT_PT0_S3_jNS_24const_host_device_scalarIT4_EEPKS1_PKS2_PKT1_PKT2_S6_PT3_21rocsparse_index_base_b
    .private_segment_fixed_size: 0
    .sgpr_count:     23
    .sgpr_spill_count: 0
    .symbol:         _ZN9rocsparseL30csrmvn_lrb_short_rows_2_kernelIlifdddEEvbT_PT0_S3_jNS_24const_host_device_scalarIT4_EEPKS1_PKS2_PKT1_PKT2_S6_PT3_21rocsparse_index_base_b.kd
    .uniform_work_group_size: 1
    .uses_dynamic_stack: false
    .vgpr_count:     12
    .vgpr_spill_count: 0
    .wavefront_size: 32
  - .args:
      - .offset:         0
        .size:           1
        .value_kind:     by_value
      - .offset:         8
        .size:           8
        .value_kind:     by_value
      - .offset:         16
        .size:           8
        .value_kind:     by_value
      - .actual_access:  read_only
        .address_space:  global
        .offset:         24
        .size:           8
        .value_kind:     global_buffer
      - .actual_access:  read_only
        .address_space:  global
        .offset:         32
        .size:           8
        .value_kind:     global_buffer
      - .offset:         40
        .size:           4
        .value_kind:     by_value
      - .offset:         48
        .size:           8
        .value_kind:     by_value
      - .actual_access:  read_only
        .address_space:  global
        .offset:         56
        .size:           8
        .value_kind:     global_buffer
      - .actual_access:  read_only
        .address_space:  global
        .offset:         64
        .size:           8
        .value_kind:     global_buffer
      - .actual_access:  read_only
        .address_space:  global
        .offset:         72
        .size:           8
        .value_kind:     global_buffer
      - .actual_access:  read_only
        .address_space:  global
        .offset:         80
        .size:           8
        .value_kind:     global_buffer
      - .offset:         88
        .size:           8
        .value_kind:     by_value
      - .address_space:  global
        .offset:         96
        .size:           8
        .value_kind:     global_buffer
      - .offset:         104
        .size:           4
        .value_kind:     by_value
      - .offset:         108
        .size:           1
        .value_kind:     by_value
    .group_segment_fixed_size: 0
    .kernarg_segment_align: 8
    .kernarg_segment_size: 112
    .language:       OpenCL C
    .language_version:
      - 2
      - 0
    .max_flat_workgroup_size: 256
    .name:           _ZN9rocsparseL41csrmvn_lrb_medium_rows_warp_reduce_kernelILj256ELj32ElifdddEEvbT1_lPT2_S3_jNS_24const_host_device_scalarIT6_EEPKS1_PKS2_PKT3_PKT4_S6_PT5_21rocsparse_index_base_b
    .private_segment_fixed_size: 0
    .sgpr_count:     14
    .sgpr_spill_count: 0
    .symbol:         _ZN9rocsparseL41csrmvn_lrb_medium_rows_warp_reduce_kernelILj256ELj32ElifdddEEvbT1_lPT2_S3_jNS_24const_host_device_scalarIT6_EEPKS1_PKS2_PKT3_PKT4_S6_PT5_21rocsparse_index_base_b.kd
    .uniform_work_group_size: 1
    .uses_dynamic_stack: false
    .vgpr_count:     22
    .vgpr_spill_count: 0
    .wavefront_size: 32
  - .args:
      - .offset:         0
        .size:           1
        .value_kind:     by_value
      - .offset:         8
        .size:           8
        .value_kind:     by_value
      - .offset:         16
        .size:           8
        .value_kind:     by_value
      - .actual_access:  read_only
        .address_space:  global
        .offset:         24
        .size:           8
        .value_kind:     global_buffer
      - .actual_access:  read_only
        .address_space:  global
        .offset:         32
        .size:           8
        .value_kind:     global_buffer
      - .offset:         40
        .size:           4
        .value_kind:     by_value
      - .offset:         48
        .size:           8
        .value_kind:     by_value
      - .actual_access:  read_only
        .address_space:  global
        .offset:         56
        .size:           8
        .value_kind:     global_buffer
      - .actual_access:  read_only
        .address_space:  global
        .offset:         64
        .size:           8
        .value_kind:     global_buffer
      - .actual_access:  read_only
        .address_space:  global
        .offset:         72
        .size:           8
        .value_kind:     global_buffer
      - .actual_access:  read_only
        .address_space:  global
        .offset:         80
        .size:           8
        .value_kind:     global_buffer
      - .offset:         88
        .size:           8
        .value_kind:     by_value
      - .address_space:  global
        .offset:         96
        .size:           8
        .value_kind:     global_buffer
      - .offset:         104
        .size:           4
        .value_kind:     by_value
      - .offset:         108
        .size:           1
        .value_kind:     by_value
    .group_segment_fixed_size: 0
    .kernarg_segment_align: 8
    .kernarg_segment_size: 112
    .language:       OpenCL C
    .language_version:
      - 2
      - 0
    .max_flat_workgroup_size: 256
    .name:           _ZN9rocsparseL41csrmvn_lrb_medium_rows_warp_reduce_kernelILj256ELj64ElifdddEEvbT1_lPT2_S3_jNS_24const_host_device_scalarIT6_EEPKS1_PKS2_PKT3_PKT4_S6_PT5_21rocsparse_index_base_b
    .private_segment_fixed_size: 0
    .sgpr_count:     14
    .sgpr_spill_count: 0
    .symbol:         _ZN9rocsparseL41csrmvn_lrb_medium_rows_warp_reduce_kernelILj256ELj64ElifdddEEvbT1_lPT2_S3_jNS_24const_host_device_scalarIT6_EEPKS1_PKS2_PKT3_PKT4_S6_PT5_21rocsparse_index_base_b.kd
    .uniform_work_group_size: 1
    .uses_dynamic_stack: false
    .vgpr_count:     22
    .vgpr_spill_count: 0
    .wavefront_size: 32
  - .args:
      - .offset:         0
        .size:           1
        .value_kind:     by_value
      - .offset:         8
        .size:           8
        .value_kind:     by_value
      - .actual_access:  read_only
        .address_space:  global
        .offset:         16
        .size:           8
        .value_kind:     global_buffer
      - .actual_access:  read_only
        .address_space:  global
        .offset:         24
        .size:           8
        .value_kind:     global_buffer
      - .offset:         32
        .size:           4
        .value_kind:     by_value
      - .offset:         40
        .size:           8
        .value_kind:     by_value
      - .actual_access:  read_only
        .address_space:  global
        .offset:         48
        .size:           8
        .value_kind:     global_buffer
      - .actual_access:  read_only
        .address_space:  global
        .offset:         56
        .size:           8
        .value_kind:     global_buffer
      - .actual_access:  read_only
        .address_space:  global
        .offset:         64
        .size:           8
        .value_kind:     global_buffer
      - .actual_access:  read_only
        .address_space:  global
        .offset:         72
        .size:           8
        .value_kind:     global_buffer
      - .offset:         80
        .size:           8
        .value_kind:     by_value
      - .address_space:  global
        .offset:         88
        .size:           8
        .value_kind:     global_buffer
      - .offset:         96
        .size:           4
        .value_kind:     by_value
      - .offset:         100
        .size:           1
        .value_kind:     by_value
    .group_segment_fixed_size: 2048
    .kernarg_segment_align: 8
    .kernarg_segment_size: 104
    .language:       OpenCL C
    .language_version:
      - 2
      - 0
    .max_flat_workgroup_size: 256
    .name:           _ZN9rocsparseL29csrmvn_lrb_medium_rows_kernelILj256ElifdddEEvbT0_PT1_S3_jNS_24const_host_device_scalarIT5_EEPKS1_PKS2_PKT2_PKT3_S6_PT4_21rocsparse_index_base_b
    .private_segment_fixed_size: 0
    .sgpr_count:     18
    .sgpr_spill_count: 0
    .symbol:         _ZN9rocsparseL29csrmvn_lrb_medium_rows_kernelILj256ElifdddEEvbT0_PT1_S3_jNS_24const_host_device_scalarIT5_EEPKS1_PKS2_PKT2_PKT3_S6_PT4_21rocsparse_index_base_b.kd
    .uniform_work_group_size: 1
    .uses_dynamic_stack: false
    .vgpr_count:     18
    .vgpr_spill_count: 0
    .wavefront_size: 32
  - .args:
      - .offset:         0
        .size:           1
        .value_kind:     by_value
      - .offset:         8
        .size:           8
        .value_kind:     by_value
      - .address_space:  global
        .offset:         16
        .size:           8
        .value_kind:     global_buffer
      - .actual_access:  read_only
        .address_space:  global
        .offset:         24
        .size:           8
        .value_kind:     global_buffer
      - .actual_access:  read_only
        .address_space:  global
        .offset:         32
        .size:           8
        .value_kind:     global_buffer
      - .offset:         40
        .size:           4
        .value_kind:     by_value
      - .offset:         48
        .size:           8
        .value_kind:     by_value
      - .actual_access:  read_only
        .address_space:  global
        .offset:         56
        .size:           8
        .value_kind:     global_buffer
      - .actual_access:  read_only
        .address_space:  global
        .offset:         64
        .size:           8
        .value_kind:     global_buffer
      - .actual_access:  read_only
        .address_space:  global
        .offset:         72
        .size:           8
        .value_kind:     global_buffer
      - .actual_access:  read_only
        .address_space:  global
        .offset:         80
        .size:           8
        .value_kind:     global_buffer
      - .offset:         88
        .size:           8
        .value_kind:     by_value
      - .address_space:  global
        .offset:         96
        .size:           8
        .value_kind:     global_buffer
      - .offset:         104
        .size:           4
        .value_kind:     by_value
      - .offset:         108
        .size:           1
        .value_kind:     by_value
    .group_segment_fixed_size: 2048
    .kernarg_segment_align: 8
    .kernarg_segment_size: 112
    .language:       OpenCL C
    .language_version:
      - 2
      - 0
    .max_flat_workgroup_size: 256
    .name:           _ZN9rocsparseL27csrmvn_lrb_long_rows_kernelIlifdddEEvbT_PjPT0_S4_jNS_24const_host_device_scalarIT4_EEPKS1_PKS3_PKT1_PKT2_S7_PT3_21rocsparse_index_base_b
    .private_segment_fixed_size: 0
    .sgpr_count:     30
    .sgpr_spill_count: 0
    .symbol:         _ZN9rocsparseL27csrmvn_lrb_long_rows_kernelIlifdddEEvbT_PjPT0_S4_jNS_24const_host_device_scalarIT4_EEPKS1_PKS3_PKT1_PKT2_S7_PT3_21rocsparse_index_base_b.kd
    .uniform_work_group_size: 1
    .uses_dynamic_stack: false
    .vgpr_count:     18
    .vgpr_spill_count: 0
    .wavefront_size: 32
  - .args:
      - .offset:         0
        .size:           1
        .value_kind:     by_value
      - .offset:         8
        .size:           8
        .value_kind:     by_value
      - .actual_access:  read_only
        .address_space:  global
        .offset:         16
        .size:           8
        .value_kind:     global_buffer
      - .actual_access:  read_only
        .address_space:  global
        .offset:         24
        .size:           8
        .value_kind:     global_buffer
      - .offset:         32
        .size:           4
        .value_kind:     by_value
      - .offset:         40
        .size:           8
        .value_kind:     by_value
      - .actual_access:  read_only
        .address_space:  global
        .offset:         48
        .size:           8
        .value_kind:     global_buffer
      - .actual_access:  read_only
        .address_space:  global
        .offset:         56
        .size:           8
        .value_kind:     global_buffer
      - .actual_access:  read_only
        .address_space:  global
        .offset:         64
        .size:           8
        .value_kind:     global_buffer
      - .actual_access:  read_only
        .address_space:  global
        .offset:         72
        .size:           8
        .value_kind:     global_buffer
      - .offset:         80
        .size:           8
        .value_kind:     by_value
      - .address_space:  global
        .offset:         88
        .size:           8
        .value_kind:     global_buffer
      - .offset:         96
        .size:           4
        .value_kind:     by_value
      - .offset:         100
        .size:           1
        .value_kind:     by_value
    .group_segment_fixed_size: 0
    .kernarg_segment_align: 8
    .kernarg_segment_size: 104
    .language:       OpenCL C
    .language_version:
      - 2
      - 0
    .max_flat_workgroup_size: 256
    .name:           _ZN9rocsparseL28csrmvn_lrb_short_rows_kernelIllfdddEEvbT_PT0_S3_jNS_24const_host_device_scalarIT4_EEPKS1_PKS2_PKT1_PKT2_S6_PT3_21rocsparse_index_base_b
    .private_segment_fixed_size: 0
    .sgpr_count:     27
    .sgpr_spill_count: 0
    .symbol:         _ZN9rocsparseL28csrmvn_lrb_short_rows_kernelIllfdddEEvbT_PT0_S3_jNS_24const_host_device_scalarIT4_EEPKS1_PKS2_PKT1_PKT2_S6_PT3_21rocsparse_index_base_b.kd
    .uniform_work_group_size: 1
    .uses_dynamic_stack: false
    .vgpr_count:     13
    .vgpr_spill_count: 0
    .wavefront_size: 32
  - .args:
      - .offset:         0
        .size:           1
        .value_kind:     by_value
      - .offset:         8
        .size:           8
        .value_kind:     by_value
      - .actual_access:  read_only
        .address_space:  global
        .offset:         16
        .size:           8
        .value_kind:     global_buffer
      - .actual_access:  read_only
        .address_space:  global
        .offset:         24
        .size:           8
        .value_kind:     global_buffer
      - .offset:         32
        .size:           4
        .value_kind:     by_value
      - .offset:         40
        .size:           8
        .value_kind:     by_value
      - .actual_access:  read_only
        .address_space:  global
        .offset:         48
        .size:           8
        .value_kind:     global_buffer
      - .actual_access:  read_only
        .address_space:  global
        .offset:         56
        .size:           8
        .value_kind:     global_buffer
      - .actual_access:  read_only
        .address_space:  global
        .offset:         64
        .size:           8
        .value_kind:     global_buffer
      - .actual_access:  read_only
        .address_space:  global
        .offset:         72
        .size:           8
        .value_kind:     global_buffer
      - .offset:         80
        .size:           8
        .value_kind:     by_value
      - .address_space:  global
        .offset:         88
        .size:           8
        .value_kind:     global_buffer
      - .offset:         96
        .size:           4
        .value_kind:     by_value
      - .offset:         100
        .size:           1
        .value_kind:     by_value
    .group_segment_fixed_size: 8192
    .kernarg_segment_align: 8
    .kernarg_segment_size: 104
    .language:       OpenCL C
    .language_version:
      - 2
      - 0
    .max_flat_workgroup_size: 256
    .name:           _ZN9rocsparseL30csrmvn_lrb_short_rows_2_kernelIllfdddEEvbT_PT0_S3_jNS_24const_host_device_scalarIT4_EEPKS1_PKS2_PKT1_PKT2_S6_PT3_21rocsparse_index_base_b
    .private_segment_fixed_size: 0
    .sgpr_count:     30
    .sgpr_spill_count: 0
    .symbol:         _ZN9rocsparseL30csrmvn_lrb_short_rows_2_kernelIllfdddEEvbT_PT0_S3_jNS_24const_host_device_scalarIT4_EEPKS1_PKS2_PKT1_PKT2_S6_PT3_21rocsparse_index_base_b.kd
    .uniform_work_group_size: 1
    .uses_dynamic_stack: false
    .vgpr_count:     12
    .vgpr_spill_count: 0
    .wavefront_size: 32
  - .args:
      - .offset:         0
        .size:           1
        .value_kind:     by_value
      - .offset:         8
        .size:           8
        .value_kind:     by_value
      - .offset:         16
        .size:           8
        .value_kind:     by_value
      - .actual_access:  read_only
        .address_space:  global
        .offset:         24
        .size:           8
        .value_kind:     global_buffer
      - .actual_access:  read_only
        .address_space:  global
        .offset:         32
        .size:           8
        .value_kind:     global_buffer
      - .offset:         40
        .size:           4
        .value_kind:     by_value
      - .offset:         48
        .size:           8
        .value_kind:     by_value
      - .actual_access:  read_only
        .address_space:  global
        .offset:         56
        .size:           8
        .value_kind:     global_buffer
      - .actual_access:  read_only
        .address_space:  global
        .offset:         64
        .size:           8
        .value_kind:     global_buffer
      - .actual_access:  read_only
        .address_space:  global
        .offset:         72
        .size:           8
        .value_kind:     global_buffer
      - .actual_access:  read_only
        .address_space:  global
        .offset:         80
        .size:           8
        .value_kind:     global_buffer
      - .offset:         88
        .size:           8
        .value_kind:     by_value
      - .address_space:  global
        .offset:         96
        .size:           8
        .value_kind:     global_buffer
      - .offset:         104
        .size:           4
        .value_kind:     by_value
      - .offset:         108
        .size:           1
        .value_kind:     by_value
    .group_segment_fixed_size: 0
    .kernarg_segment_align: 8
    .kernarg_segment_size: 112
    .language:       OpenCL C
    .language_version:
      - 2
      - 0
    .max_flat_workgroup_size: 256
    .name:           _ZN9rocsparseL41csrmvn_lrb_medium_rows_warp_reduce_kernelILj256ELj32EllfdddEEvbT1_lPT2_S3_jNS_24const_host_device_scalarIT6_EEPKS1_PKS2_PKT3_PKT4_S6_PT5_21rocsparse_index_base_b
    .private_segment_fixed_size: 0
    .sgpr_count:     14
    .sgpr_spill_count: 0
    .symbol:         _ZN9rocsparseL41csrmvn_lrb_medium_rows_warp_reduce_kernelILj256ELj32EllfdddEEvbT1_lPT2_S3_jNS_24const_host_device_scalarIT6_EEPKS1_PKS2_PKT3_PKT4_S6_PT5_21rocsparse_index_base_b.kd
    .uniform_work_group_size: 1
    .uses_dynamic_stack: false
    .vgpr_count:     22
    .vgpr_spill_count: 0
    .wavefront_size: 32
  - .args:
      - .offset:         0
        .size:           1
        .value_kind:     by_value
      - .offset:         8
        .size:           8
        .value_kind:     by_value
      - .offset:         16
        .size:           8
        .value_kind:     by_value
      - .actual_access:  read_only
        .address_space:  global
        .offset:         24
        .size:           8
        .value_kind:     global_buffer
      - .actual_access:  read_only
        .address_space:  global
        .offset:         32
        .size:           8
        .value_kind:     global_buffer
      - .offset:         40
        .size:           4
        .value_kind:     by_value
      - .offset:         48
        .size:           8
        .value_kind:     by_value
      - .actual_access:  read_only
        .address_space:  global
        .offset:         56
        .size:           8
        .value_kind:     global_buffer
      - .actual_access:  read_only
        .address_space:  global
        .offset:         64
        .size:           8
        .value_kind:     global_buffer
      - .actual_access:  read_only
        .address_space:  global
        .offset:         72
        .size:           8
        .value_kind:     global_buffer
      - .actual_access:  read_only
        .address_space:  global
        .offset:         80
        .size:           8
        .value_kind:     global_buffer
      - .offset:         88
        .size:           8
        .value_kind:     by_value
      - .address_space:  global
        .offset:         96
        .size:           8
        .value_kind:     global_buffer
      - .offset:         104
        .size:           4
        .value_kind:     by_value
      - .offset:         108
        .size:           1
        .value_kind:     by_value
    .group_segment_fixed_size: 0
    .kernarg_segment_align: 8
    .kernarg_segment_size: 112
    .language:       OpenCL C
    .language_version:
      - 2
      - 0
    .max_flat_workgroup_size: 256
    .name:           _ZN9rocsparseL41csrmvn_lrb_medium_rows_warp_reduce_kernelILj256ELj64EllfdddEEvbT1_lPT2_S3_jNS_24const_host_device_scalarIT6_EEPKS1_PKS2_PKT3_PKT4_S6_PT5_21rocsparse_index_base_b
    .private_segment_fixed_size: 0
    .sgpr_count:     14
    .sgpr_spill_count: 0
    .symbol:         _ZN9rocsparseL41csrmvn_lrb_medium_rows_warp_reduce_kernelILj256ELj64EllfdddEEvbT1_lPT2_S3_jNS_24const_host_device_scalarIT6_EEPKS1_PKS2_PKT3_PKT4_S6_PT5_21rocsparse_index_base_b.kd
    .uniform_work_group_size: 1
    .uses_dynamic_stack: false
    .vgpr_count:     22
    .vgpr_spill_count: 0
    .wavefront_size: 32
  - .args:
      - .offset:         0
        .size:           1
        .value_kind:     by_value
      - .offset:         8
        .size:           8
        .value_kind:     by_value
      - .actual_access:  read_only
        .address_space:  global
        .offset:         16
        .size:           8
        .value_kind:     global_buffer
      - .actual_access:  read_only
        .address_space:  global
        .offset:         24
        .size:           8
        .value_kind:     global_buffer
      - .offset:         32
        .size:           4
        .value_kind:     by_value
      - .offset:         40
        .size:           8
        .value_kind:     by_value
      - .actual_access:  read_only
        .address_space:  global
        .offset:         48
        .size:           8
        .value_kind:     global_buffer
      - .actual_access:  read_only
        .address_space:  global
        .offset:         56
        .size:           8
        .value_kind:     global_buffer
      - .actual_access:  read_only
        .address_space:  global
        .offset:         64
        .size:           8
        .value_kind:     global_buffer
      - .actual_access:  read_only
        .address_space:  global
        .offset:         72
        .size:           8
        .value_kind:     global_buffer
      - .offset:         80
        .size:           8
        .value_kind:     by_value
      - .address_space:  global
        .offset:         88
        .size:           8
        .value_kind:     global_buffer
      - .offset:         96
        .size:           4
        .value_kind:     by_value
      - .offset:         100
        .size:           1
        .value_kind:     by_value
    .group_segment_fixed_size: 2048
    .kernarg_segment_align: 8
    .kernarg_segment_size: 104
    .language:       OpenCL C
    .language_version:
      - 2
      - 0
    .max_flat_workgroup_size: 256
    .name:           _ZN9rocsparseL29csrmvn_lrb_medium_rows_kernelILj256EllfdddEEvbT0_PT1_S3_jNS_24const_host_device_scalarIT5_EEPKS1_PKS2_PKT2_PKT3_S6_PT4_21rocsparse_index_base_b
    .private_segment_fixed_size: 0
    .sgpr_count:     18
    .sgpr_spill_count: 0
    .symbol:         _ZN9rocsparseL29csrmvn_lrb_medium_rows_kernelILj256EllfdddEEvbT0_PT1_S3_jNS_24const_host_device_scalarIT5_EEPKS1_PKS2_PKT2_PKT3_S6_PT4_21rocsparse_index_base_b.kd
    .uniform_work_group_size: 1
    .uses_dynamic_stack: false
    .vgpr_count:     18
    .vgpr_spill_count: 0
    .wavefront_size: 32
  - .args:
      - .offset:         0
        .size:           1
        .value_kind:     by_value
      - .offset:         8
        .size:           8
        .value_kind:     by_value
      - .address_space:  global
        .offset:         16
        .size:           8
        .value_kind:     global_buffer
      - .actual_access:  read_only
        .address_space:  global
        .offset:         24
        .size:           8
        .value_kind:     global_buffer
      - .actual_access:  read_only
        .address_space:  global
        .offset:         32
        .size:           8
        .value_kind:     global_buffer
      - .offset:         40
        .size:           4
        .value_kind:     by_value
      - .offset:         48
        .size:           8
        .value_kind:     by_value
      - .actual_access:  read_only
        .address_space:  global
        .offset:         56
        .size:           8
        .value_kind:     global_buffer
      - .actual_access:  read_only
        .address_space:  global
        .offset:         64
        .size:           8
        .value_kind:     global_buffer
      - .actual_access:  read_only
        .address_space:  global
        .offset:         72
        .size:           8
        .value_kind:     global_buffer
      - .actual_access:  read_only
        .address_space:  global
        .offset:         80
        .size:           8
        .value_kind:     global_buffer
      - .offset:         88
        .size:           8
        .value_kind:     by_value
      - .address_space:  global
        .offset:         96
        .size:           8
        .value_kind:     global_buffer
      - .offset:         104
        .size:           4
        .value_kind:     by_value
      - .offset:         108
        .size:           1
        .value_kind:     by_value
    .group_segment_fixed_size: 2048
    .kernarg_segment_align: 8
    .kernarg_segment_size: 112
    .language:       OpenCL C
    .language_version:
      - 2
      - 0
    .max_flat_workgroup_size: 256
    .name:           _ZN9rocsparseL27csrmvn_lrb_long_rows_kernelIllfdddEEvbT_PjPT0_S4_jNS_24const_host_device_scalarIT4_EEPKS1_PKS3_PKT1_PKT2_S7_PT3_21rocsparse_index_base_b
    .private_segment_fixed_size: 0
    .sgpr_count:     30
    .sgpr_spill_count: 0
    .symbol:         _ZN9rocsparseL27csrmvn_lrb_long_rows_kernelIllfdddEEvbT_PjPT0_S4_jNS_24const_host_device_scalarIT4_EEPKS1_PKS3_PKT1_PKT2_S7_PT3_21rocsparse_index_base_b.kd
    .uniform_work_group_size: 1
    .uses_dynamic_stack: false
    .vgpr_count:     18
    .vgpr_spill_count: 0
    .wavefront_size: 32
  - .args:
      - .offset:         0
        .size:           1
        .value_kind:     by_value
      - .offset:         4
        .size:           4
        .value_kind:     by_value
      - .actual_access:  read_only
        .address_space:  global
        .offset:         8
        .size:           8
        .value_kind:     global_buffer
      - .actual_access:  read_only
        .address_space:  global
        .offset:         16
        .size:           8
        .value_kind:     global_buffer
      - .offset:         24
        .size:           4
        .value_kind:     by_value
      - .offset:         32
        .size:           16
        .value_kind:     by_value
      - .actual_access:  read_only
        .address_space:  global
        .offset:         48
        .size:           8
        .value_kind:     global_buffer
      - .actual_access:  read_only
        .address_space:  global
        .offset:         56
        .size:           8
        .value_kind:     global_buffer
      - .actual_access:  read_only
        .address_space:  global
        .offset:         64
        .size:           8
        .value_kind:     global_buffer
      - .actual_access:  read_only
        .address_space:  global
        .offset:         72
        .size:           8
        .value_kind:     global_buffer
      - .offset:         80
        .size:           16
        .value_kind:     by_value
      - .address_space:  global
        .offset:         96
        .size:           8
        .value_kind:     global_buffer
      - .offset:         104
        .size:           4
        .value_kind:     by_value
      - .offset:         108
        .size:           1
        .value_kind:     by_value
    .group_segment_fixed_size: 0
    .kernarg_segment_align: 8
    .kernarg_segment_size: 112
    .language:       OpenCL C
    .language_version:
      - 2
      - 0
    .max_flat_workgroup_size: 256
    .name:           _ZN9rocsparseL28csrmvn_lrb_short_rows_kernelIiid21rocsparse_complex_numIdES2_S2_EEvbT_PT0_S5_jNS_24const_host_device_scalarIT4_EEPKS3_PKS4_PKT1_PKT2_S8_PT3_21rocsparse_index_base_b
    .private_segment_fixed_size: 0
    .sgpr_count:     23
    .sgpr_spill_count: 0
    .symbol:         _ZN9rocsparseL28csrmvn_lrb_short_rows_kernelIiid21rocsparse_complex_numIdES2_S2_EEvbT_PT0_S5_jNS_24const_host_device_scalarIT4_EEPKS3_PKS4_PKT1_PKT2_S8_PT3_21rocsparse_index_base_b.kd
    .uniform_work_group_size: 1
    .uses_dynamic_stack: false
    .vgpr_count:     28
    .vgpr_spill_count: 0
    .wavefront_size: 32
  - .args:
      - .offset:         0
        .size:           1
        .value_kind:     by_value
      - .offset:         4
        .size:           4
        .value_kind:     by_value
      - .actual_access:  read_only
        .address_space:  global
        .offset:         8
        .size:           8
        .value_kind:     global_buffer
      - .actual_access:  read_only
        .address_space:  global
        .offset:         16
        .size:           8
        .value_kind:     global_buffer
      - .offset:         24
        .size:           4
        .value_kind:     by_value
      - .offset:         32
        .size:           16
        .value_kind:     by_value
      - .actual_access:  read_only
        .address_space:  global
        .offset:         48
        .size:           8
        .value_kind:     global_buffer
      - .actual_access:  read_only
        .address_space:  global
        .offset:         56
        .size:           8
        .value_kind:     global_buffer
      - .actual_access:  read_only
        .address_space:  global
        .offset:         64
        .size:           8
        .value_kind:     global_buffer
      - .actual_access:  read_only
        .address_space:  global
        .offset:         72
        .size:           8
        .value_kind:     global_buffer
      - .offset:         80
        .size:           16
        .value_kind:     by_value
      - .address_space:  global
        .offset:         96
        .size:           8
        .value_kind:     global_buffer
      - .offset:         104
        .size:           4
        .value_kind:     by_value
      - .offset:         108
        .size:           1
        .value_kind:     by_value
    .group_segment_fixed_size: 16384
    .kernarg_segment_align: 8
    .kernarg_segment_size: 112
    .language:       OpenCL C
    .language_version:
      - 2
      - 0
    .max_flat_workgroup_size: 256
    .name:           _ZN9rocsparseL30csrmvn_lrb_short_rows_2_kernelIiid21rocsparse_complex_numIdES2_S2_EEvbT_PT0_S5_jNS_24const_host_device_scalarIT4_EEPKS3_PKS4_PKT1_PKT2_S8_PT3_21rocsparse_index_base_b
    .private_segment_fixed_size: 0
    .sgpr_count:     22
    .sgpr_spill_count: 0
    .symbol:         _ZN9rocsparseL30csrmvn_lrb_short_rows_2_kernelIiid21rocsparse_complex_numIdES2_S2_EEvbT_PT0_S5_jNS_24const_host_device_scalarIT4_EEPKS3_PKS4_PKT1_PKT2_S8_PT3_21rocsparse_index_base_b.kd
    .uniform_work_group_size: 1
    .uses_dynamic_stack: false
    .vgpr_count:     28
    .vgpr_spill_count: 0
    .wavefront_size: 32
  - .args:
      - .offset:         0
        .size:           1
        .value_kind:     by_value
      - .offset:         4
        .size:           4
        .value_kind:     by_value
      - .offset:         8
        .size:           8
        .value_kind:     by_value
      - .actual_access:  read_only
        .address_space:  global
        .offset:         16
        .size:           8
        .value_kind:     global_buffer
      - .actual_access:  read_only
        .address_space:  global
        .offset:         24
        .size:           8
        .value_kind:     global_buffer
      - .offset:         32
        .size:           4
        .value_kind:     by_value
      - .offset:         40
        .size:           16
        .value_kind:     by_value
      - .actual_access:  read_only
        .address_space:  global
        .offset:         56
        .size:           8
        .value_kind:     global_buffer
      - .actual_access:  read_only
        .address_space:  global
        .offset:         64
        .size:           8
        .value_kind:     global_buffer
      - .actual_access:  read_only
        .address_space:  global
        .offset:         72
        .size:           8
        .value_kind:     global_buffer
      - .actual_access:  read_only
        .address_space:  global
        .offset:         80
        .size:           8
        .value_kind:     global_buffer
      - .offset:         88
        .size:           16
        .value_kind:     by_value
      - .address_space:  global
        .offset:         104
        .size:           8
        .value_kind:     global_buffer
      - .offset:         112
        .size:           4
        .value_kind:     by_value
      - .offset:         116
        .size:           1
        .value_kind:     by_value
    .group_segment_fixed_size: 0
    .kernarg_segment_align: 8
    .kernarg_segment_size: 120
    .language:       OpenCL C
    .language_version:
      - 2
      - 0
    .max_flat_workgroup_size: 256
    .name:           _ZN9rocsparseL41csrmvn_lrb_medium_rows_warp_reduce_kernelILj256ELj32Eiid21rocsparse_complex_numIdES2_S2_EEvbT1_lPT2_S5_jNS_24const_host_device_scalarIT6_EEPKS3_PKS4_PKT3_PKT4_S8_PT5_21rocsparse_index_base_b
    .private_segment_fixed_size: 0
    .sgpr_count:     13
    .sgpr_spill_count: 0
    .symbol:         _ZN9rocsparseL41csrmvn_lrb_medium_rows_warp_reduce_kernelILj256ELj32Eiid21rocsparse_complex_numIdES2_S2_EEvbT1_lPT2_S5_jNS_24const_host_device_scalarIT6_EEPKS3_PKS4_PKT3_PKT4_S8_PT5_21rocsparse_index_base_b.kd
    .uniform_work_group_size: 1
    .uses_dynamic_stack: false
    .vgpr_count:     30
    .vgpr_spill_count: 0
    .wavefront_size: 32
  - .args:
      - .offset:         0
        .size:           1
        .value_kind:     by_value
      - .offset:         4
        .size:           4
        .value_kind:     by_value
      - .offset:         8
        .size:           8
        .value_kind:     by_value
      - .actual_access:  read_only
        .address_space:  global
        .offset:         16
        .size:           8
        .value_kind:     global_buffer
      - .actual_access:  read_only
        .address_space:  global
        .offset:         24
        .size:           8
        .value_kind:     global_buffer
      - .offset:         32
        .size:           4
        .value_kind:     by_value
      - .offset:         40
        .size:           16
        .value_kind:     by_value
      - .actual_access:  read_only
        .address_space:  global
        .offset:         56
        .size:           8
        .value_kind:     global_buffer
      - .actual_access:  read_only
        .address_space:  global
        .offset:         64
        .size:           8
        .value_kind:     global_buffer
      - .actual_access:  read_only
        .address_space:  global
        .offset:         72
        .size:           8
        .value_kind:     global_buffer
      - .actual_access:  read_only
        .address_space:  global
        .offset:         80
        .size:           8
        .value_kind:     global_buffer
      - .offset:         88
        .size:           16
        .value_kind:     by_value
      - .address_space:  global
        .offset:         104
        .size:           8
        .value_kind:     global_buffer
      - .offset:         112
        .size:           4
        .value_kind:     by_value
      - .offset:         116
        .size:           1
        .value_kind:     by_value
    .group_segment_fixed_size: 0
    .kernarg_segment_align: 8
    .kernarg_segment_size: 120
    .language:       OpenCL C
    .language_version:
      - 2
      - 0
    .max_flat_workgroup_size: 256
    .name:           _ZN9rocsparseL41csrmvn_lrb_medium_rows_warp_reduce_kernelILj256ELj64Eiid21rocsparse_complex_numIdES2_S2_EEvbT1_lPT2_S5_jNS_24const_host_device_scalarIT6_EEPKS3_PKS4_PKT3_PKT4_S8_PT5_21rocsparse_index_base_b
    .private_segment_fixed_size: 0
    .sgpr_count:     13
    .sgpr_spill_count: 0
    .symbol:         _ZN9rocsparseL41csrmvn_lrb_medium_rows_warp_reduce_kernelILj256ELj64Eiid21rocsparse_complex_numIdES2_S2_EEvbT1_lPT2_S5_jNS_24const_host_device_scalarIT6_EEPKS3_PKS4_PKT3_PKT4_S8_PT5_21rocsparse_index_base_b.kd
    .uniform_work_group_size: 1
    .uses_dynamic_stack: false
    .vgpr_count:     30
    .vgpr_spill_count: 0
    .wavefront_size: 32
  - .args:
      - .offset:         0
        .size:           1
        .value_kind:     by_value
      - .offset:         4
        .size:           4
        .value_kind:     by_value
      - .actual_access:  read_only
        .address_space:  global
        .offset:         8
        .size:           8
        .value_kind:     global_buffer
      - .actual_access:  read_only
        .address_space:  global
        .offset:         16
        .size:           8
        .value_kind:     global_buffer
      - .offset:         24
        .size:           4
        .value_kind:     by_value
      - .offset:         32
        .size:           16
        .value_kind:     by_value
      - .actual_access:  read_only
        .address_space:  global
        .offset:         48
        .size:           8
        .value_kind:     global_buffer
      - .actual_access:  read_only
        .address_space:  global
        .offset:         56
        .size:           8
        .value_kind:     global_buffer
      - .actual_access:  read_only
        .address_space:  global
        .offset:         64
        .size:           8
        .value_kind:     global_buffer
      - .actual_access:  read_only
        .address_space:  global
        .offset:         72
        .size:           8
        .value_kind:     global_buffer
      - .offset:         80
        .size:           16
        .value_kind:     by_value
      - .address_space:  global
        .offset:         96
        .size:           8
        .value_kind:     global_buffer
      - .offset:         104
        .size:           4
        .value_kind:     by_value
      - .offset:         108
        .size:           1
        .value_kind:     by_value
    .group_segment_fixed_size: 4096
    .kernarg_segment_align: 8
    .kernarg_segment_size: 112
    .language:       OpenCL C
    .language_version:
      - 2
      - 0
    .max_flat_workgroup_size: 256
    .name:           _ZN9rocsparseL29csrmvn_lrb_medium_rows_kernelILj256Eiid21rocsparse_complex_numIdES2_S2_EEvbT0_PT1_S5_jNS_24const_host_device_scalarIT5_EEPKS3_PKS4_PKT2_PKT3_S8_PT4_21rocsparse_index_base_b
    .private_segment_fixed_size: 0
    .sgpr_count:     16
    .sgpr_spill_count: 0
    .symbol:         _ZN9rocsparseL29csrmvn_lrb_medium_rows_kernelILj256Eiid21rocsparse_complex_numIdES2_S2_EEvbT0_PT1_S5_jNS_24const_host_device_scalarIT5_EEPKS3_PKS4_PKT2_PKT3_S8_PT4_21rocsparse_index_base_b.kd
    .uniform_work_group_size: 1
    .uses_dynamic_stack: false
    .vgpr_count:     26
    .vgpr_spill_count: 0
    .wavefront_size: 32
  - .args:
      - .offset:         0
        .size:           1
        .value_kind:     by_value
      - .offset:         4
        .size:           4
        .value_kind:     by_value
      - .address_space:  global
        .offset:         8
        .size:           8
        .value_kind:     global_buffer
      - .actual_access:  read_only
        .address_space:  global
        .offset:         16
        .size:           8
        .value_kind:     global_buffer
      - .actual_access:  read_only
        .address_space:  global
        .offset:         24
        .size:           8
        .value_kind:     global_buffer
      - .offset:         32
        .size:           4
        .value_kind:     by_value
      - .offset:         40
        .size:           16
        .value_kind:     by_value
      - .actual_access:  read_only
        .address_space:  global
        .offset:         56
        .size:           8
        .value_kind:     global_buffer
      - .actual_access:  read_only
        .address_space:  global
        .offset:         64
        .size:           8
        .value_kind:     global_buffer
      - .actual_access:  read_only
        .address_space:  global
        .offset:         72
        .size:           8
        .value_kind:     global_buffer
      - .actual_access:  read_only
        .address_space:  global
        .offset:         80
        .size:           8
        .value_kind:     global_buffer
      - .offset:         88
        .size:           16
        .value_kind:     by_value
      - .address_space:  global
        .offset:         104
        .size:           8
        .value_kind:     global_buffer
      - .offset:         112
        .size:           4
        .value_kind:     by_value
      - .offset:         116
        .size:           1
        .value_kind:     by_value
    .group_segment_fixed_size: 4096
    .kernarg_segment_align: 8
    .kernarg_segment_size: 120
    .language:       OpenCL C
    .language_version:
      - 2
      - 0
    .max_flat_workgroup_size: 256
    .name:           _ZN9rocsparseL27csrmvn_lrb_long_rows_kernelIiid21rocsparse_complex_numIdES2_S2_EEvbT_PjPT0_S6_jNS_24const_host_device_scalarIT4_EEPKS3_PKS5_PKT1_PKT2_S9_PT3_21rocsparse_index_base_b
    .private_segment_fixed_size: 0
    .sgpr_count:     26
    .sgpr_spill_count: 0
    .symbol:         _ZN9rocsparseL27csrmvn_lrb_long_rows_kernelIiid21rocsparse_complex_numIdES2_S2_EEvbT_PjPT0_S6_jNS_24const_host_device_scalarIT4_EEPKS3_PKS5_PKT1_PKT2_S9_PT3_21rocsparse_index_base_b.kd
    .uniform_work_group_size: 1
    .uses_dynamic_stack: false
    .vgpr_count:     22
    .vgpr_spill_count: 0
    .wavefront_size: 32
  - .args:
      - .offset:         0
        .size:           1
        .value_kind:     by_value
      - .offset:         8
        .size:           8
        .value_kind:     by_value
      - .actual_access:  read_only
        .address_space:  global
        .offset:         16
        .size:           8
        .value_kind:     global_buffer
      - .actual_access:  read_only
        .address_space:  global
        .offset:         24
        .size:           8
        .value_kind:     global_buffer
      - .offset:         32
        .size:           4
        .value_kind:     by_value
      - .offset:         40
        .size:           16
        .value_kind:     by_value
      - .actual_access:  read_only
        .address_space:  global
        .offset:         56
        .size:           8
        .value_kind:     global_buffer
      - .actual_access:  read_only
        .address_space:  global
        .offset:         64
        .size:           8
        .value_kind:     global_buffer
      - .actual_access:  read_only
        .address_space:  global
        .offset:         72
        .size:           8
        .value_kind:     global_buffer
      - .actual_access:  read_only
        .address_space:  global
        .offset:         80
        .size:           8
        .value_kind:     global_buffer
      - .offset:         88
        .size:           16
        .value_kind:     by_value
      - .address_space:  global
        .offset:         104
        .size:           8
        .value_kind:     global_buffer
      - .offset:         112
        .size:           4
        .value_kind:     by_value
      - .offset:         116
        .size:           1
        .value_kind:     by_value
    .group_segment_fixed_size: 0
    .kernarg_segment_align: 8
    .kernarg_segment_size: 120
    .language:       OpenCL C
    .language_version:
      - 2
      - 0
    .max_flat_workgroup_size: 256
    .name:           _ZN9rocsparseL28csrmvn_lrb_short_rows_kernelIlid21rocsparse_complex_numIdES2_S2_EEvbT_PT0_S5_jNS_24const_host_device_scalarIT4_EEPKS3_PKS4_PKT1_PKT2_S8_PT3_21rocsparse_index_base_b
    .private_segment_fixed_size: 0
    .sgpr_count:     24
    .sgpr_spill_count: 0
    .symbol:         _ZN9rocsparseL28csrmvn_lrb_short_rows_kernelIlid21rocsparse_complex_numIdES2_S2_EEvbT_PT0_S5_jNS_24const_host_device_scalarIT4_EEPKS3_PKS4_PKT1_PKT2_S8_PT3_21rocsparse_index_base_b.kd
    .uniform_work_group_size: 1
    .uses_dynamic_stack: false
    .vgpr_count:     28
    .vgpr_spill_count: 0
    .wavefront_size: 32
  - .args:
      - .offset:         0
        .size:           1
        .value_kind:     by_value
      - .offset:         8
        .size:           8
        .value_kind:     by_value
      - .actual_access:  read_only
        .address_space:  global
        .offset:         16
        .size:           8
        .value_kind:     global_buffer
      - .actual_access:  read_only
        .address_space:  global
        .offset:         24
        .size:           8
        .value_kind:     global_buffer
      - .offset:         32
        .size:           4
        .value_kind:     by_value
      - .offset:         40
        .size:           16
        .value_kind:     by_value
      - .actual_access:  read_only
        .address_space:  global
        .offset:         56
        .size:           8
        .value_kind:     global_buffer
      - .actual_access:  read_only
        .address_space:  global
        .offset:         64
        .size:           8
        .value_kind:     global_buffer
      - .actual_access:  read_only
        .address_space:  global
        .offset:         72
        .size:           8
        .value_kind:     global_buffer
      - .actual_access:  read_only
        .address_space:  global
        .offset:         80
        .size:           8
        .value_kind:     global_buffer
      - .offset:         88
        .size:           16
        .value_kind:     by_value
      - .address_space:  global
        .offset:         104
        .size:           8
        .value_kind:     global_buffer
      - .offset:         112
        .size:           4
        .value_kind:     by_value
      - .offset:         116
        .size:           1
        .value_kind:     by_value
    .group_segment_fixed_size: 16384
    .kernarg_segment_align: 8
    .kernarg_segment_size: 120
    .language:       OpenCL C
    .language_version:
      - 2
      - 0
    .max_flat_workgroup_size: 256
    .name:           _ZN9rocsparseL30csrmvn_lrb_short_rows_2_kernelIlid21rocsparse_complex_numIdES2_S2_EEvbT_PT0_S5_jNS_24const_host_device_scalarIT4_EEPKS3_PKS4_PKT1_PKT2_S8_PT3_21rocsparse_index_base_b
    .private_segment_fixed_size: 0
    .sgpr_count:     23
    .sgpr_spill_count: 0
    .symbol:         _ZN9rocsparseL30csrmvn_lrb_short_rows_2_kernelIlid21rocsparse_complex_numIdES2_S2_EEvbT_PT0_S5_jNS_24const_host_device_scalarIT4_EEPKS3_PKS4_PKT1_PKT2_S8_PT3_21rocsparse_index_base_b.kd
    .uniform_work_group_size: 1
    .uses_dynamic_stack: false
    .vgpr_count:     28
    .vgpr_spill_count: 0
    .wavefront_size: 32
  - .args:
      - .offset:         0
        .size:           1
        .value_kind:     by_value
      - .offset:         8
        .size:           8
        .value_kind:     by_value
      - .offset:         16
        .size:           8
        .value_kind:     by_value
      - .actual_access:  read_only
        .address_space:  global
        .offset:         24
        .size:           8
        .value_kind:     global_buffer
      - .actual_access:  read_only
        .address_space:  global
        .offset:         32
        .size:           8
        .value_kind:     global_buffer
      - .offset:         40
        .size:           4
        .value_kind:     by_value
      - .offset:         48
        .size:           16
        .value_kind:     by_value
      - .actual_access:  read_only
        .address_space:  global
        .offset:         64
        .size:           8
        .value_kind:     global_buffer
      - .actual_access:  read_only
        .address_space:  global
        .offset:         72
        .size:           8
        .value_kind:     global_buffer
      - .actual_access:  read_only
        .address_space:  global
        .offset:         80
        .size:           8
        .value_kind:     global_buffer
      - .actual_access:  read_only
        .address_space:  global
        .offset:         88
        .size:           8
        .value_kind:     global_buffer
      - .offset:         96
        .size:           16
        .value_kind:     by_value
      - .address_space:  global
        .offset:         112
        .size:           8
        .value_kind:     global_buffer
      - .offset:         120
        .size:           4
        .value_kind:     by_value
      - .offset:         124
        .size:           1
        .value_kind:     by_value
    .group_segment_fixed_size: 0
    .kernarg_segment_align: 8
    .kernarg_segment_size: 128
    .language:       OpenCL C
    .language_version:
      - 2
      - 0
    .max_flat_workgroup_size: 256
    .name:           _ZN9rocsparseL41csrmvn_lrb_medium_rows_warp_reduce_kernelILj256ELj32Elid21rocsparse_complex_numIdES2_S2_EEvbT1_lPT2_S5_jNS_24const_host_device_scalarIT6_EEPKS3_PKS4_PKT3_PKT4_S8_PT5_21rocsparse_index_base_b
    .private_segment_fixed_size: 0
    .sgpr_count:     14
    .sgpr_spill_count: 0
    .symbol:         _ZN9rocsparseL41csrmvn_lrb_medium_rows_warp_reduce_kernelILj256ELj32Elid21rocsparse_complex_numIdES2_S2_EEvbT1_lPT2_S5_jNS_24const_host_device_scalarIT6_EEPKS3_PKS4_PKT3_PKT4_S8_PT5_21rocsparse_index_base_b.kd
    .uniform_work_group_size: 1
    .uses_dynamic_stack: false
    .vgpr_count:     36
    .vgpr_spill_count: 0
    .wavefront_size: 32
  - .args:
      - .offset:         0
        .size:           1
        .value_kind:     by_value
      - .offset:         8
        .size:           8
        .value_kind:     by_value
      - .offset:         16
        .size:           8
        .value_kind:     by_value
      - .actual_access:  read_only
        .address_space:  global
        .offset:         24
        .size:           8
        .value_kind:     global_buffer
      - .actual_access:  read_only
        .address_space:  global
        .offset:         32
        .size:           8
        .value_kind:     global_buffer
      - .offset:         40
        .size:           4
        .value_kind:     by_value
      - .offset:         48
        .size:           16
        .value_kind:     by_value
      - .actual_access:  read_only
        .address_space:  global
        .offset:         64
        .size:           8
        .value_kind:     global_buffer
      - .actual_access:  read_only
        .address_space:  global
        .offset:         72
        .size:           8
        .value_kind:     global_buffer
      - .actual_access:  read_only
        .address_space:  global
        .offset:         80
        .size:           8
        .value_kind:     global_buffer
      - .actual_access:  read_only
        .address_space:  global
        .offset:         88
        .size:           8
        .value_kind:     global_buffer
      - .offset:         96
        .size:           16
        .value_kind:     by_value
      - .address_space:  global
        .offset:         112
        .size:           8
        .value_kind:     global_buffer
      - .offset:         120
        .size:           4
        .value_kind:     by_value
      - .offset:         124
        .size:           1
        .value_kind:     by_value
    .group_segment_fixed_size: 0
    .kernarg_segment_align: 8
    .kernarg_segment_size: 128
    .language:       OpenCL C
    .language_version:
      - 2
      - 0
    .max_flat_workgroup_size: 256
    .name:           _ZN9rocsparseL41csrmvn_lrb_medium_rows_warp_reduce_kernelILj256ELj64Elid21rocsparse_complex_numIdES2_S2_EEvbT1_lPT2_S5_jNS_24const_host_device_scalarIT6_EEPKS3_PKS4_PKT3_PKT4_S8_PT5_21rocsparse_index_base_b
    .private_segment_fixed_size: 0
    .sgpr_count:     14
    .sgpr_spill_count: 0
    .symbol:         _ZN9rocsparseL41csrmvn_lrb_medium_rows_warp_reduce_kernelILj256ELj64Elid21rocsparse_complex_numIdES2_S2_EEvbT1_lPT2_S5_jNS_24const_host_device_scalarIT6_EEPKS3_PKS4_PKT3_PKT4_S8_PT5_21rocsparse_index_base_b.kd
    .uniform_work_group_size: 1
    .uses_dynamic_stack: false
    .vgpr_count:     36
    .vgpr_spill_count: 0
    .wavefront_size: 32
  - .args:
      - .offset:         0
        .size:           1
        .value_kind:     by_value
      - .offset:         8
        .size:           8
        .value_kind:     by_value
      - .actual_access:  read_only
        .address_space:  global
        .offset:         16
        .size:           8
        .value_kind:     global_buffer
      - .actual_access:  read_only
        .address_space:  global
        .offset:         24
        .size:           8
        .value_kind:     global_buffer
      - .offset:         32
        .size:           4
        .value_kind:     by_value
      - .offset:         40
        .size:           16
        .value_kind:     by_value
      - .actual_access:  read_only
        .address_space:  global
        .offset:         56
        .size:           8
        .value_kind:     global_buffer
      - .actual_access:  read_only
        .address_space:  global
        .offset:         64
        .size:           8
        .value_kind:     global_buffer
      - .actual_access:  read_only
        .address_space:  global
        .offset:         72
        .size:           8
        .value_kind:     global_buffer
      - .actual_access:  read_only
        .address_space:  global
        .offset:         80
        .size:           8
        .value_kind:     global_buffer
      - .offset:         88
        .size:           16
        .value_kind:     by_value
      - .address_space:  global
        .offset:         104
        .size:           8
        .value_kind:     global_buffer
      - .offset:         112
        .size:           4
        .value_kind:     by_value
      - .offset:         116
        .size:           1
        .value_kind:     by_value
    .group_segment_fixed_size: 4096
    .kernarg_segment_align: 8
    .kernarg_segment_size: 120
    .language:       OpenCL C
    .language_version:
      - 2
      - 0
    .max_flat_workgroup_size: 256
    .name:           _ZN9rocsparseL29csrmvn_lrb_medium_rows_kernelILj256Elid21rocsparse_complex_numIdES2_S2_EEvbT0_PT1_S5_jNS_24const_host_device_scalarIT5_EEPKS3_PKS4_PKT2_PKT3_S8_PT4_21rocsparse_index_base_b
    .private_segment_fixed_size: 0
    .sgpr_count:     18
    .sgpr_spill_count: 0
    .symbol:         _ZN9rocsparseL29csrmvn_lrb_medium_rows_kernelILj256Elid21rocsparse_complex_numIdES2_S2_EEvbT0_PT1_S5_jNS_24const_host_device_scalarIT5_EEPKS3_PKS4_PKT2_PKT3_S8_PT4_21rocsparse_index_base_b.kd
    .uniform_work_group_size: 1
    .uses_dynamic_stack: false
    .vgpr_count:     32
    .vgpr_spill_count: 0
    .wavefront_size: 32
  - .args:
      - .offset:         0
        .size:           1
        .value_kind:     by_value
      - .offset:         8
        .size:           8
        .value_kind:     by_value
      - .address_space:  global
        .offset:         16
        .size:           8
        .value_kind:     global_buffer
      - .actual_access:  read_only
        .address_space:  global
        .offset:         24
        .size:           8
        .value_kind:     global_buffer
      - .actual_access:  read_only
        .address_space:  global
        .offset:         32
        .size:           8
        .value_kind:     global_buffer
      - .offset:         40
        .size:           4
        .value_kind:     by_value
      - .offset:         48
        .size:           16
        .value_kind:     by_value
      - .actual_access:  read_only
        .address_space:  global
        .offset:         64
        .size:           8
        .value_kind:     global_buffer
      - .actual_access:  read_only
        .address_space:  global
        .offset:         72
        .size:           8
        .value_kind:     global_buffer
      - .actual_access:  read_only
        .address_space:  global
        .offset:         80
        .size:           8
        .value_kind:     global_buffer
      - .actual_access:  read_only
        .address_space:  global
        .offset:         88
        .size:           8
        .value_kind:     global_buffer
      - .offset:         96
        .size:           16
        .value_kind:     by_value
      - .address_space:  global
        .offset:         112
        .size:           8
        .value_kind:     global_buffer
      - .offset:         120
        .size:           4
        .value_kind:     by_value
      - .offset:         124
        .size:           1
        .value_kind:     by_value
    .group_segment_fixed_size: 4096
    .kernarg_segment_align: 8
    .kernarg_segment_size: 128
    .language:       OpenCL C
    .language_version:
      - 2
      - 0
    .max_flat_workgroup_size: 256
    .name:           _ZN9rocsparseL27csrmvn_lrb_long_rows_kernelIlid21rocsparse_complex_numIdES2_S2_EEvbT_PjPT0_S6_jNS_24const_host_device_scalarIT4_EEPKS3_PKS5_PKT1_PKT2_S9_PT3_21rocsparse_index_base_b
    .private_segment_fixed_size: 0
    .sgpr_count:     30
    .sgpr_spill_count: 0
    .symbol:         _ZN9rocsparseL27csrmvn_lrb_long_rows_kernelIlid21rocsparse_complex_numIdES2_S2_EEvbT_PjPT0_S6_jNS_24const_host_device_scalarIT4_EEPKS3_PKS5_PKT1_PKT2_S9_PT3_21rocsparse_index_base_b.kd
    .uniform_work_group_size: 1
    .uses_dynamic_stack: false
    .vgpr_count:     30
    .vgpr_spill_count: 0
    .wavefront_size: 32
  - .args:
      - .offset:         0
        .size:           1
        .value_kind:     by_value
      - .offset:         8
        .size:           8
        .value_kind:     by_value
      - .actual_access:  read_only
        .address_space:  global
        .offset:         16
        .size:           8
        .value_kind:     global_buffer
      - .actual_access:  read_only
        .address_space:  global
        .offset:         24
        .size:           8
        .value_kind:     global_buffer
      - .offset:         32
        .size:           4
        .value_kind:     by_value
      - .offset:         40
        .size:           16
        .value_kind:     by_value
      - .actual_access:  read_only
        .address_space:  global
        .offset:         56
        .size:           8
        .value_kind:     global_buffer
      - .actual_access:  read_only
        .address_space:  global
        .offset:         64
        .size:           8
        .value_kind:     global_buffer
      - .actual_access:  read_only
        .address_space:  global
        .offset:         72
        .size:           8
        .value_kind:     global_buffer
      - .actual_access:  read_only
        .address_space:  global
        .offset:         80
        .size:           8
        .value_kind:     global_buffer
      - .offset:         88
        .size:           16
        .value_kind:     by_value
      - .address_space:  global
        .offset:         104
        .size:           8
        .value_kind:     global_buffer
      - .offset:         112
        .size:           4
        .value_kind:     by_value
      - .offset:         116
        .size:           1
        .value_kind:     by_value
    .group_segment_fixed_size: 0
    .kernarg_segment_align: 8
    .kernarg_segment_size: 120
    .language:       OpenCL C
    .language_version:
      - 2
      - 0
    .max_flat_workgroup_size: 256
    .name:           _ZN9rocsparseL28csrmvn_lrb_short_rows_kernelIlld21rocsparse_complex_numIdES2_S2_EEvbT_PT0_S5_jNS_24const_host_device_scalarIT4_EEPKS3_PKS4_PKT1_PKT2_S8_PT3_21rocsparse_index_base_b
    .private_segment_fixed_size: 0
    .sgpr_count:     27
    .sgpr_spill_count: 0
    .symbol:         _ZN9rocsparseL28csrmvn_lrb_short_rows_kernelIlld21rocsparse_complex_numIdES2_S2_EEvbT_PT0_S5_jNS_24const_host_device_scalarIT4_EEPKS3_PKS4_PKT1_PKT2_S8_PT3_21rocsparse_index_base_b.kd
    .uniform_work_group_size: 1
    .uses_dynamic_stack: false
    .vgpr_count:     28
    .vgpr_spill_count: 0
    .wavefront_size: 32
  - .args:
      - .offset:         0
        .size:           1
        .value_kind:     by_value
      - .offset:         8
        .size:           8
        .value_kind:     by_value
      - .actual_access:  read_only
        .address_space:  global
        .offset:         16
        .size:           8
        .value_kind:     global_buffer
      - .actual_access:  read_only
        .address_space:  global
        .offset:         24
        .size:           8
        .value_kind:     global_buffer
      - .offset:         32
        .size:           4
        .value_kind:     by_value
      - .offset:         40
        .size:           16
        .value_kind:     by_value
      - .actual_access:  read_only
        .address_space:  global
        .offset:         56
        .size:           8
        .value_kind:     global_buffer
      - .actual_access:  read_only
        .address_space:  global
        .offset:         64
        .size:           8
        .value_kind:     global_buffer
      - .actual_access:  read_only
        .address_space:  global
        .offset:         72
        .size:           8
        .value_kind:     global_buffer
      - .actual_access:  read_only
        .address_space:  global
        .offset:         80
        .size:           8
        .value_kind:     global_buffer
      - .offset:         88
        .size:           16
        .value_kind:     by_value
      - .address_space:  global
        .offset:         104
        .size:           8
        .value_kind:     global_buffer
      - .offset:         112
        .size:           4
        .value_kind:     by_value
      - .offset:         116
        .size:           1
        .value_kind:     by_value
    .group_segment_fixed_size: 16384
    .kernarg_segment_align: 8
    .kernarg_segment_size: 120
    .language:       OpenCL C
    .language_version:
      - 2
      - 0
    .max_flat_workgroup_size: 256
    .name:           _ZN9rocsparseL30csrmvn_lrb_short_rows_2_kernelIlld21rocsparse_complex_numIdES2_S2_EEvbT_PT0_S5_jNS_24const_host_device_scalarIT4_EEPKS3_PKS4_PKT1_PKT2_S8_PT3_21rocsparse_index_base_b
    .private_segment_fixed_size: 0
    .sgpr_count:     26
    .sgpr_spill_count: 0
    .symbol:         _ZN9rocsparseL30csrmvn_lrb_short_rows_2_kernelIlld21rocsparse_complex_numIdES2_S2_EEvbT_PT0_S5_jNS_24const_host_device_scalarIT4_EEPKS3_PKS4_PKT1_PKT2_S8_PT3_21rocsparse_index_base_b.kd
    .uniform_work_group_size: 1
    .uses_dynamic_stack: false
    .vgpr_count:     28
    .vgpr_spill_count: 0
    .wavefront_size: 32
  - .args:
      - .offset:         0
        .size:           1
        .value_kind:     by_value
      - .offset:         8
        .size:           8
        .value_kind:     by_value
      - .offset:         16
        .size:           8
        .value_kind:     by_value
      - .actual_access:  read_only
        .address_space:  global
        .offset:         24
        .size:           8
        .value_kind:     global_buffer
      - .actual_access:  read_only
        .address_space:  global
        .offset:         32
        .size:           8
        .value_kind:     global_buffer
      - .offset:         40
        .size:           4
        .value_kind:     by_value
      - .offset:         48
        .size:           16
        .value_kind:     by_value
      - .actual_access:  read_only
        .address_space:  global
        .offset:         64
        .size:           8
        .value_kind:     global_buffer
      - .actual_access:  read_only
        .address_space:  global
        .offset:         72
        .size:           8
        .value_kind:     global_buffer
      - .actual_access:  read_only
        .address_space:  global
        .offset:         80
        .size:           8
        .value_kind:     global_buffer
      - .actual_access:  read_only
        .address_space:  global
        .offset:         88
        .size:           8
        .value_kind:     global_buffer
      - .offset:         96
        .size:           16
        .value_kind:     by_value
      - .address_space:  global
        .offset:         112
        .size:           8
        .value_kind:     global_buffer
      - .offset:         120
        .size:           4
        .value_kind:     by_value
      - .offset:         124
        .size:           1
        .value_kind:     by_value
    .group_segment_fixed_size: 0
    .kernarg_segment_align: 8
    .kernarg_segment_size: 128
    .language:       OpenCL C
    .language_version:
      - 2
      - 0
    .max_flat_workgroup_size: 256
    .name:           _ZN9rocsparseL41csrmvn_lrb_medium_rows_warp_reduce_kernelILj256ELj32Elld21rocsparse_complex_numIdES2_S2_EEvbT1_lPT2_S5_jNS_24const_host_device_scalarIT6_EEPKS3_PKS4_PKT3_PKT4_S8_PT5_21rocsparse_index_base_b
    .private_segment_fixed_size: 0
    .sgpr_count:     14
    .sgpr_spill_count: 0
    .symbol:         _ZN9rocsparseL41csrmvn_lrb_medium_rows_warp_reduce_kernelILj256ELj32Elld21rocsparse_complex_numIdES2_S2_EEvbT1_lPT2_S5_jNS_24const_host_device_scalarIT6_EEPKS3_PKS4_PKT3_PKT4_S8_PT5_21rocsparse_index_base_b.kd
    .uniform_work_group_size: 1
    .uses_dynamic_stack: false
    .vgpr_count:     36
    .vgpr_spill_count: 0
    .wavefront_size: 32
  - .args:
      - .offset:         0
        .size:           1
        .value_kind:     by_value
      - .offset:         8
        .size:           8
        .value_kind:     by_value
      - .offset:         16
        .size:           8
        .value_kind:     by_value
      - .actual_access:  read_only
        .address_space:  global
        .offset:         24
        .size:           8
        .value_kind:     global_buffer
      - .actual_access:  read_only
        .address_space:  global
        .offset:         32
        .size:           8
        .value_kind:     global_buffer
      - .offset:         40
        .size:           4
        .value_kind:     by_value
      - .offset:         48
        .size:           16
        .value_kind:     by_value
      - .actual_access:  read_only
        .address_space:  global
        .offset:         64
        .size:           8
        .value_kind:     global_buffer
      - .actual_access:  read_only
        .address_space:  global
        .offset:         72
        .size:           8
        .value_kind:     global_buffer
      - .actual_access:  read_only
        .address_space:  global
        .offset:         80
        .size:           8
        .value_kind:     global_buffer
      - .actual_access:  read_only
        .address_space:  global
        .offset:         88
        .size:           8
        .value_kind:     global_buffer
      - .offset:         96
        .size:           16
        .value_kind:     by_value
      - .address_space:  global
        .offset:         112
        .size:           8
        .value_kind:     global_buffer
      - .offset:         120
        .size:           4
        .value_kind:     by_value
      - .offset:         124
        .size:           1
        .value_kind:     by_value
    .group_segment_fixed_size: 0
    .kernarg_segment_align: 8
    .kernarg_segment_size: 128
    .language:       OpenCL C
    .language_version:
      - 2
      - 0
    .max_flat_workgroup_size: 256
    .name:           _ZN9rocsparseL41csrmvn_lrb_medium_rows_warp_reduce_kernelILj256ELj64Elld21rocsparse_complex_numIdES2_S2_EEvbT1_lPT2_S5_jNS_24const_host_device_scalarIT6_EEPKS3_PKS4_PKT3_PKT4_S8_PT5_21rocsparse_index_base_b
    .private_segment_fixed_size: 0
    .sgpr_count:     14
    .sgpr_spill_count: 0
    .symbol:         _ZN9rocsparseL41csrmvn_lrb_medium_rows_warp_reduce_kernelILj256ELj64Elld21rocsparse_complex_numIdES2_S2_EEvbT1_lPT2_S5_jNS_24const_host_device_scalarIT6_EEPKS3_PKS4_PKT3_PKT4_S8_PT5_21rocsparse_index_base_b.kd
    .uniform_work_group_size: 1
    .uses_dynamic_stack: false
    .vgpr_count:     36
    .vgpr_spill_count: 0
    .wavefront_size: 32
  - .args:
      - .offset:         0
        .size:           1
        .value_kind:     by_value
      - .offset:         8
        .size:           8
        .value_kind:     by_value
      - .actual_access:  read_only
        .address_space:  global
        .offset:         16
        .size:           8
        .value_kind:     global_buffer
      - .actual_access:  read_only
        .address_space:  global
        .offset:         24
        .size:           8
        .value_kind:     global_buffer
      - .offset:         32
        .size:           4
        .value_kind:     by_value
      - .offset:         40
        .size:           16
        .value_kind:     by_value
      - .actual_access:  read_only
        .address_space:  global
        .offset:         56
        .size:           8
        .value_kind:     global_buffer
      - .actual_access:  read_only
        .address_space:  global
        .offset:         64
        .size:           8
        .value_kind:     global_buffer
      - .actual_access:  read_only
        .address_space:  global
        .offset:         72
        .size:           8
        .value_kind:     global_buffer
      - .actual_access:  read_only
        .address_space:  global
        .offset:         80
        .size:           8
        .value_kind:     global_buffer
      - .offset:         88
        .size:           16
        .value_kind:     by_value
      - .address_space:  global
        .offset:         104
        .size:           8
        .value_kind:     global_buffer
      - .offset:         112
        .size:           4
        .value_kind:     by_value
      - .offset:         116
        .size:           1
        .value_kind:     by_value
    .group_segment_fixed_size: 4096
    .kernarg_segment_align: 8
    .kernarg_segment_size: 120
    .language:       OpenCL C
    .language_version:
      - 2
      - 0
    .max_flat_workgroup_size: 256
    .name:           _ZN9rocsparseL29csrmvn_lrb_medium_rows_kernelILj256Elld21rocsparse_complex_numIdES2_S2_EEvbT0_PT1_S5_jNS_24const_host_device_scalarIT5_EEPKS3_PKS4_PKT2_PKT3_S8_PT4_21rocsparse_index_base_b
    .private_segment_fixed_size: 0
    .sgpr_count:     18
    .sgpr_spill_count: 0
    .symbol:         _ZN9rocsparseL29csrmvn_lrb_medium_rows_kernelILj256Elld21rocsparse_complex_numIdES2_S2_EEvbT0_PT1_S5_jNS_24const_host_device_scalarIT5_EEPKS3_PKS4_PKT2_PKT3_S8_PT4_21rocsparse_index_base_b.kd
    .uniform_work_group_size: 1
    .uses_dynamic_stack: false
    .vgpr_count:     32
    .vgpr_spill_count: 0
    .wavefront_size: 32
  - .args:
      - .offset:         0
        .size:           1
        .value_kind:     by_value
      - .offset:         8
        .size:           8
        .value_kind:     by_value
      - .address_space:  global
        .offset:         16
        .size:           8
        .value_kind:     global_buffer
      - .actual_access:  read_only
        .address_space:  global
        .offset:         24
        .size:           8
        .value_kind:     global_buffer
      - .actual_access:  read_only
        .address_space:  global
        .offset:         32
        .size:           8
        .value_kind:     global_buffer
      - .offset:         40
        .size:           4
        .value_kind:     by_value
      - .offset:         48
        .size:           16
        .value_kind:     by_value
      - .actual_access:  read_only
        .address_space:  global
        .offset:         64
        .size:           8
        .value_kind:     global_buffer
      - .actual_access:  read_only
        .address_space:  global
        .offset:         72
        .size:           8
        .value_kind:     global_buffer
      - .actual_access:  read_only
        .address_space:  global
        .offset:         80
        .size:           8
        .value_kind:     global_buffer
      - .actual_access:  read_only
        .address_space:  global
        .offset:         88
        .size:           8
        .value_kind:     global_buffer
      - .offset:         96
        .size:           16
        .value_kind:     by_value
      - .address_space:  global
        .offset:         112
        .size:           8
        .value_kind:     global_buffer
      - .offset:         120
        .size:           4
        .value_kind:     by_value
      - .offset:         124
        .size:           1
        .value_kind:     by_value
    .group_segment_fixed_size: 4096
    .kernarg_segment_align: 8
    .kernarg_segment_size: 128
    .language:       OpenCL C
    .language_version:
      - 2
      - 0
    .max_flat_workgroup_size: 256
    .name:           _ZN9rocsparseL27csrmvn_lrb_long_rows_kernelIlld21rocsparse_complex_numIdES2_S2_EEvbT_PjPT0_S6_jNS_24const_host_device_scalarIT4_EEPKS3_PKS5_PKT1_PKT2_S9_PT3_21rocsparse_index_base_b
    .private_segment_fixed_size: 0
    .sgpr_count:     32
    .sgpr_spill_count: 0
    .symbol:         _ZN9rocsparseL27csrmvn_lrb_long_rows_kernelIlld21rocsparse_complex_numIdES2_S2_EEvbT_PjPT0_S6_jNS_24const_host_device_scalarIT4_EEPKS3_PKS5_PKT1_PKT2_S9_PT3_21rocsparse_index_base_b.kd
    .uniform_work_group_size: 1
    .uses_dynamic_stack: false
    .vgpr_count:     30
    .vgpr_spill_count: 0
    .wavefront_size: 32
  - .args:
      - .offset:         0
        .size:           1
        .value_kind:     by_value
      - .offset:         4
        .size:           4
        .value_kind:     by_value
      - .actual_access:  read_only
        .address_space:  global
        .offset:         8
        .size:           8
        .value_kind:     global_buffer
      - .actual_access:  read_only
        .address_space:  global
        .offset:         16
        .size:           8
        .value_kind:     global_buffer
      - .offset:         24
        .size:           4
        .value_kind:     by_value
      - .offset:         32
        .size:           16
        .value_kind:     by_value
      - .actual_access:  read_only
        .address_space:  global
        .offset:         48
        .size:           8
        .value_kind:     global_buffer
      - .actual_access:  read_only
        .address_space:  global
        .offset:         56
        .size:           8
        .value_kind:     global_buffer
      - .actual_access:  read_only
        .address_space:  global
        .offset:         64
        .size:           8
        .value_kind:     global_buffer
      - .actual_access:  read_only
        .address_space:  global
        .offset:         72
        .size:           8
        .value_kind:     global_buffer
      - .offset:         80
        .size:           16
        .value_kind:     by_value
      - .address_space:  global
        .offset:         96
        .size:           8
        .value_kind:     global_buffer
      - .offset:         104
        .size:           4
        .value_kind:     by_value
      - .offset:         108
        .size:           1
        .value_kind:     by_value
    .group_segment_fixed_size: 0
    .kernarg_segment_align: 8
    .kernarg_segment_size: 112
    .language:       OpenCL C
    .language_version:
      - 2
      - 0
    .max_flat_workgroup_size: 256
    .name:           _ZN9rocsparseL28csrmvn_lrb_short_rows_kernelIii21rocsparse_complex_numIfES1_IdES3_S3_EEvbT_PT0_S6_jNS_24const_host_device_scalarIT4_EEPKS4_PKS5_PKT1_PKT2_S9_PT3_21rocsparse_index_base_b
    .private_segment_fixed_size: 0
    .sgpr_count:     24
    .sgpr_spill_count: 0
    .symbol:         _ZN9rocsparseL28csrmvn_lrb_short_rows_kernelIii21rocsparse_complex_numIfES1_IdES3_S3_EEvbT_PT0_S6_jNS_24const_host_device_scalarIT4_EEPKS4_PKS5_PKT1_PKT2_S9_PT3_21rocsparse_index_base_b.kd
    .uniform_work_group_size: 1
    .uses_dynamic_stack: false
    .vgpr_count:     24
    .vgpr_spill_count: 0
    .wavefront_size: 32
  - .args:
      - .offset:         0
        .size:           1
        .value_kind:     by_value
      - .offset:         4
        .size:           4
        .value_kind:     by_value
      - .actual_access:  read_only
        .address_space:  global
        .offset:         8
        .size:           8
        .value_kind:     global_buffer
      - .actual_access:  read_only
        .address_space:  global
        .offset:         16
        .size:           8
        .value_kind:     global_buffer
      - .offset:         24
        .size:           4
        .value_kind:     by_value
      - .offset:         32
        .size:           16
        .value_kind:     by_value
      - .actual_access:  read_only
        .address_space:  global
        .offset:         48
        .size:           8
        .value_kind:     global_buffer
      - .actual_access:  read_only
        .address_space:  global
        .offset:         56
        .size:           8
        .value_kind:     global_buffer
      - .actual_access:  read_only
        .address_space:  global
        .offset:         64
        .size:           8
        .value_kind:     global_buffer
      - .actual_access:  read_only
        .address_space:  global
        .offset:         72
        .size:           8
        .value_kind:     global_buffer
      - .offset:         80
        .size:           16
        .value_kind:     by_value
      - .address_space:  global
        .offset:         96
        .size:           8
        .value_kind:     global_buffer
      - .offset:         104
        .size:           4
        .value_kind:     by_value
      - .offset:         108
        .size:           1
        .value_kind:     by_value
    .group_segment_fixed_size: 16384
    .kernarg_segment_align: 8
    .kernarg_segment_size: 112
    .language:       OpenCL C
    .language_version:
      - 2
      - 0
    .max_flat_workgroup_size: 256
    .name:           _ZN9rocsparseL30csrmvn_lrb_short_rows_2_kernelIii21rocsparse_complex_numIfES1_IdES3_S3_EEvbT_PT0_S6_jNS_24const_host_device_scalarIT4_EEPKS4_PKS5_PKT1_PKT2_S9_PT3_21rocsparse_index_base_b
    .private_segment_fixed_size: 0
    .sgpr_count:     23
    .sgpr_spill_count: 0
    .symbol:         _ZN9rocsparseL30csrmvn_lrb_short_rows_2_kernelIii21rocsparse_complex_numIfES1_IdES3_S3_EEvbT_PT0_S6_jNS_24const_host_device_scalarIT4_EEPKS4_PKS5_PKT1_PKT2_S9_PT3_21rocsparse_index_base_b.kd
    .uniform_work_group_size: 1
    .uses_dynamic_stack: false
    .vgpr_count:     24
    .vgpr_spill_count: 0
    .wavefront_size: 32
  - .args:
      - .offset:         0
        .size:           1
        .value_kind:     by_value
      - .offset:         4
        .size:           4
        .value_kind:     by_value
      - .offset:         8
        .size:           8
        .value_kind:     by_value
      - .actual_access:  read_only
        .address_space:  global
        .offset:         16
        .size:           8
        .value_kind:     global_buffer
      - .actual_access:  read_only
        .address_space:  global
        .offset:         24
        .size:           8
        .value_kind:     global_buffer
      - .offset:         32
        .size:           4
        .value_kind:     by_value
      - .offset:         40
        .size:           16
        .value_kind:     by_value
      - .actual_access:  read_only
        .address_space:  global
        .offset:         56
        .size:           8
        .value_kind:     global_buffer
      - .actual_access:  read_only
        .address_space:  global
        .offset:         64
        .size:           8
        .value_kind:     global_buffer
      - .actual_access:  read_only
        .address_space:  global
        .offset:         72
        .size:           8
        .value_kind:     global_buffer
      - .actual_access:  read_only
        .address_space:  global
        .offset:         80
        .size:           8
        .value_kind:     global_buffer
      - .offset:         88
        .size:           16
        .value_kind:     by_value
      - .address_space:  global
        .offset:         104
        .size:           8
        .value_kind:     global_buffer
      - .offset:         112
        .size:           4
        .value_kind:     by_value
      - .offset:         116
        .size:           1
        .value_kind:     by_value
    .group_segment_fixed_size: 0
    .kernarg_segment_align: 8
    .kernarg_segment_size: 120
    .language:       OpenCL C
    .language_version:
      - 2
      - 0
    .max_flat_workgroup_size: 256
    .name:           _ZN9rocsparseL41csrmvn_lrb_medium_rows_warp_reduce_kernelILj256ELj32Eii21rocsparse_complex_numIfES1_IdES3_S3_EEvbT1_lPT2_S6_jNS_24const_host_device_scalarIT6_EEPKS4_PKS5_PKT3_PKT4_S9_PT5_21rocsparse_index_base_b
    .private_segment_fixed_size: 0
    .sgpr_count:     14
    .sgpr_spill_count: 0
    .symbol:         _ZN9rocsparseL41csrmvn_lrb_medium_rows_warp_reduce_kernelILj256ELj32Eii21rocsparse_complex_numIfES1_IdES3_S3_EEvbT1_lPT2_S6_jNS_24const_host_device_scalarIT6_EEPKS4_PKS5_PKT3_PKT4_S9_PT5_21rocsparse_index_base_b.kd
    .uniform_work_group_size: 1
    .uses_dynamic_stack: false
    .vgpr_count:     28
    .vgpr_spill_count: 0
    .wavefront_size: 32
  - .args:
      - .offset:         0
        .size:           1
        .value_kind:     by_value
      - .offset:         4
        .size:           4
        .value_kind:     by_value
      - .offset:         8
        .size:           8
        .value_kind:     by_value
      - .actual_access:  read_only
        .address_space:  global
        .offset:         16
        .size:           8
        .value_kind:     global_buffer
      - .actual_access:  read_only
        .address_space:  global
        .offset:         24
        .size:           8
        .value_kind:     global_buffer
      - .offset:         32
        .size:           4
        .value_kind:     by_value
      - .offset:         40
        .size:           16
        .value_kind:     by_value
      - .actual_access:  read_only
        .address_space:  global
        .offset:         56
        .size:           8
        .value_kind:     global_buffer
      - .actual_access:  read_only
        .address_space:  global
        .offset:         64
        .size:           8
        .value_kind:     global_buffer
      - .actual_access:  read_only
        .address_space:  global
        .offset:         72
        .size:           8
        .value_kind:     global_buffer
      - .actual_access:  read_only
        .address_space:  global
        .offset:         80
        .size:           8
        .value_kind:     global_buffer
      - .offset:         88
        .size:           16
        .value_kind:     by_value
      - .address_space:  global
        .offset:         104
        .size:           8
        .value_kind:     global_buffer
      - .offset:         112
        .size:           4
        .value_kind:     by_value
      - .offset:         116
        .size:           1
        .value_kind:     by_value
    .group_segment_fixed_size: 0
    .kernarg_segment_align: 8
    .kernarg_segment_size: 120
    .language:       OpenCL C
    .language_version:
      - 2
      - 0
    .max_flat_workgroup_size: 256
    .name:           _ZN9rocsparseL41csrmvn_lrb_medium_rows_warp_reduce_kernelILj256ELj64Eii21rocsparse_complex_numIfES1_IdES3_S3_EEvbT1_lPT2_S6_jNS_24const_host_device_scalarIT6_EEPKS4_PKS5_PKT3_PKT4_S9_PT5_21rocsparse_index_base_b
    .private_segment_fixed_size: 0
    .sgpr_count:     14
    .sgpr_spill_count: 0
    .symbol:         _ZN9rocsparseL41csrmvn_lrb_medium_rows_warp_reduce_kernelILj256ELj64Eii21rocsparse_complex_numIfES1_IdES3_S3_EEvbT1_lPT2_S6_jNS_24const_host_device_scalarIT6_EEPKS4_PKS5_PKT3_PKT4_S9_PT5_21rocsparse_index_base_b.kd
    .uniform_work_group_size: 1
    .uses_dynamic_stack: false
    .vgpr_count:     28
    .vgpr_spill_count: 0
    .wavefront_size: 32
  - .args:
      - .offset:         0
        .size:           1
        .value_kind:     by_value
      - .offset:         4
        .size:           4
        .value_kind:     by_value
      - .actual_access:  read_only
        .address_space:  global
        .offset:         8
        .size:           8
        .value_kind:     global_buffer
      - .actual_access:  read_only
        .address_space:  global
        .offset:         16
        .size:           8
        .value_kind:     global_buffer
      - .offset:         24
        .size:           4
        .value_kind:     by_value
      - .offset:         32
        .size:           16
        .value_kind:     by_value
      - .actual_access:  read_only
        .address_space:  global
        .offset:         48
        .size:           8
        .value_kind:     global_buffer
      - .actual_access:  read_only
        .address_space:  global
        .offset:         56
        .size:           8
        .value_kind:     global_buffer
      - .actual_access:  read_only
        .address_space:  global
        .offset:         64
        .size:           8
        .value_kind:     global_buffer
      - .actual_access:  read_only
        .address_space:  global
        .offset:         72
        .size:           8
        .value_kind:     global_buffer
      - .offset:         80
        .size:           16
        .value_kind:     by_value
      - .address_space:  global
        .offset:         96
        .size:           8
        .value_kind:     global_buffer
      - .offset:         104
        .size:           4
        .value_kind:     by_value
      - .offset:         108
        .size:           1
        .value_kind:     by_value
    .group_segment_fixed_size: 4096
    .kernarg_segment_align: 8
    .kernarg_segment_size: 112
    .language:       OpenCL C
    .language_version:
      - 2
      - 0
    .max_flat_workgroup_size: 256
    .name:           _ZN9rocsparseL29csrmvn_lrb_medium_rows_kernelILj256Eii21rocsparse_complex_numIfES1_IdES3_S3_EEvbT0_PT1_S6_jNS_24const_host_device_scalarIT5_EEPKS4_PKS5_PKT2_PKT3_S9_PT4_21rocsparse_index_base_b
    .private_segment_fixed_size: 0
    .sgpr_count:     17
    .sgpr_spill_count: 0
    .symbol:         _ZN9rocsparseL29csrmvn_lrb_medium_rows_kernelILj256Eii21rocsparse_complex_numIfES1_IdES3_S3_EEvbT0_PT1_S6_jNS_24const_host_device_scalarIT5_EEPKS4_PKS5_PKT2_PKT3_S9_PT4_21rocsparse_index_base_b.kd
    .uniform_work_group_size: 1
    .uses_dynamic_stack: false
    .vgpr_count:     24
    .vgpr_spill_count: 0
    .wavefront_size: 32
  - .args:
      - .offset:         0
        .size:           1
        .value_kind:     by_value
      - .offset:         4
        .size:           4
        .value_kind:     by_value
      - .address_space:  global
        .offset:         8
        .size:           8
        .value_kind:     global_buffer
      - .actual_access:  read_only
        .address_space:  global
        .offset:         16
        .size:           8
        .value_kind:     global_buffer
      - .actual_access:  read_only
        .address_space:  global
        .offset:         24
        .size:           8
        .value_kind:     global_buffer
      - .offset:         32
        .size:           4
        .value_kind:     by_value
      - .offset:         40
        .size:           16
        .value_kind:     by_value
      - .actual_access:  read_only
        .address_space:  global
        .offset:         56
        .size:           8
        .value_kind:     global_buffer
      - .actual_access:  read_only
        .address_space:  global
        .offset:         64
        .size:           8
        .value_kind:     global_buffer
      - .actual_access:  read_only
        .address_space:  global
        .offset:         72
        .size:           8
        .value_kind:     global_buffer
      - .actual_access:  read_only
        .address_space:  global
        .offset:         80
        .size:           8
        .value_kind:     global_buffer
      - .offset:         88
        .size:           16
        .value_kind:     by_value
      - .address_space:  global
        .offset:         104
        .size:           8
        .value_kind:     global_buffer
      - .offset:         112
        .size:           4
        .value_kind:     by_value
      - .offset:         116
        .size:           1
        .value_kind:     by_value
    .group_segment_fixed_size: 4096
    .kernarg_segment_align: 8
    .kernarg_segment_size: 120
    .language:       OpenCL C
    .language_version:
      - 2
      - 0
    .max_flat_workgroup_size: 256
    .name:           _ZN9rocsparseL27csrmvn_lrb_long_rows_kernelIii21rocsparse_complex_numIfES1_IdES3_S3_EEvbT_PjPT0_S7_jNS_24const_host_device_scalarIT4_EEPKS4_PKS6_PKT1_PKT2_SA_PT3_21rocsparse_index_base_b
    .private_segment_fixed_size: 0
    .sgpr_count:     26
    .sgpr_spill_count: 0
    .symbol:         _ZN9rocsparseL27csrmvn_lrb_long_rows_kernelIii21rocsparse_complex_numIfES1_IdES3_S3_EEvbT_PjPT0_S7_jNS_24const_host_device_scalarIT4_EEPKS4_PKS6_PKT1_PKT2_SA_PT3_21rocsparse_index_base_b.kd
    .uniform_work_group_size: 1
    .uses_dynamic_stack: false
    .vgpr_count:     20
    .vgpr_spill_count: 0
    .wavefront_size: 32
  - .args:
      - .offset:         0
        .size:           1
        .value_kind:     by_value
      - .offset:         8
        .size:           8
        .value_kind:     by_value
      - .actual_access:  read_only
        .address_space:  global
        .offset:         16
        .size:           8
        .value_kind:     global_buffer
      - .actual_access:  read_only
        .address_space:  global
        .offset:         24
        .size:           8
        .value_kind:     global_buffer
      - .offset:         32
        .size:           4
        .value_kind:     by_value
      - .offset:         40
        .size:           16
        .value_kind:     by_value
      - .actual_access:  read_only
        .address_space:  global
        .offset:         56
        .size:           8
        .value_kind:     global_buffer
      - .actual_access:  read_only
        .address_space:  global
        .offset:         64
        .size:           8
        .value_kind:     global_buffer
      - .actual_access:  read_only
        .address_space:  global
        .offset:         72
        .size:           8
        .value_kind:     global_buffer
      - .actual_access:  read_only
        .address_space:  global
        .offset:         80
        .size:           8
        .value_kind:     global_buffer
      - .offset:         88
        .size:           16
        .value_kind:     by_value
      - .address_space:  global
        .offset:         104
        .size:           8
        .value_kind:     global_buffer
      - .offset:         112
        .size:           4
        .value_kind:     by_value
      - .offset:         116
        .size:           1
        .value_kind:     by_value
    .group_segment_fixed_size: 0
    .kernarg_segment_align: 8
    .kernarg_segment_size: 120
    .language:       OpenCL C
    .language_version:
      - 2
      - 0
    .max_flat_workgroup_size: 256
    .name:           _ZN9rocsparseL28csrmvn_lrb_short_rows_kernelIli21rocsparse_complex_numIfES1_IdES3_S3_EEvbT_PT0_S6_jNS_24const_host_device_scalarIT4_EEPKS4_PKS5_PKT1_PKT2_S9_PT3_21rocsparse_index_base_b
    .private_segment_fixed_size: 0
    .sgpr_count:     25
    .sgpr_spill_count: 0
    .symbol:         _ZN9rocsparseL28csrmvn_lrb_short_rows_kernelIli21rocsparse_complex_numIfES1_IdES3_S3_EEvbT_PT0_S6_jNS_24const_host_device_scalarIT4_EEPKS4_PKS5_PKT1_PKT2_S9_PT3_21rocsparse_index_base_b.kd
    .uniform_work_group_size: 1
    .uses_dynamic_stack: false
    .vgpr_count:     26
    .vgpr_spill_count: 0
    .wavefront_size: 32
  - .args:
      - .offset:         0
        .size:           1
        .value_kind:     by_value
      - .offset:         8
        .size:           8
        .value_kind:     by_value
      - .actual_access:  read_only
        .address_space:  global
        .offset:         16
        .size:           8
        .value_kind:     global_buffer
      - .actual_access:  read_only
        .address_space:  global
        .offset:         24
        .size:           8
        .value_kind:     global_buffer
      - .offset:         32
        .size:           4
        .value_kind:     by_value
      - .offset:         40
        .size:           16
        .value_kind:     by_value
      - .actual_access:  read_only
        .address_space:  global
        .offset:         56
        .size:           8
        .value_kind:     global_buffer
      - .actual_access:  read_only
        .address_space:  global
        .offset:         64
        .size:           8
        .value_kind:     global_buffer
      - .actual_access:  read_only
        .address_space:  global
        .offset:         72
        .size:           8
        .value_kind:     global_buffer
      - .actual_access:  read_only
        .address_space:  global
        .offset:         80
        .size:           8
        .value_kind:     global_buffer
      - .offset:         88
        .size:           16
        .value_kind:     by_value
      - .address_space:  global
        .offset:         104
        .size:           8
        .value_kind:     global_buffer
      - .offset:         112
        .size:           4
        .value_kind:     by_value
      - .offset:         116
        .size:           1
        .value_kind:     by_value
    .group_segment_fixed_size: 16384
    .kernarg_segment_align: 8
    .kernarg_segment_size: 120
    .language:       OpenCL C
    .language_version:
      - 2
      - 0
    .max_flat_workgroup_size: 256
    .name:           _ZN9rocsparseL30csrmvn_lrb_short_rows_2_kernelIli21rocsparse_complex_numIfES1_IdES3_S3_EEvbT_PT0_S6_jNS_24const_host_device_scalarIT4_EEPKS4_PKS5_PKT1_PKT2_S9_PT3_21rocsparse_index_base_b
    .private_segment_fixed_size: 0
    .sgpr_count:     24
    .sgpr_spill_count: 0
    .symbol:         _ZN9rocsparseL30csrmvn_lrb_short_rows_2_kernelIli21rocsparse_complex_numIfES1_IdES3_S3_EEvbT_PT0_S6_jNS_24const_host_device_scalarIT4_EEPKS4_PKS5_PKT1_PKT2_S9_PT3_21rocsparse_index_base_b.kd
    .uniform_work_group_size: 1
    .uses_dynamic_stack: false
    .vgpr_count:     24
    .vgpr_spill_count: 0
    .wavefront_size: 32
  - .args:
      - .offset:         0
        .size:           1
        .value_kind:     by_value
      - .offset:         8
        .size:           8
        .value_kind:     by_value
      - .offset:         16
        .size:           8
        .value_kind:     by_value
      - .actual_access:  read_only
        .address_space:  global
        .offset:         24
        .size:           8
        .value_kind:     global_buffer
      - .actual_access:  read_only
        .address_space:  global
        .offset:         32
        .size:           8
        .value_kind:     global_buffer
      - .offset:         40
        .size:           4
        .value_kind:     by_value
      - .offset:         48
        .size:           16
        .value_kind:     by_value
      - .actual_access:  read_only
        .address_space:  global
        .offset:         64
        .size:           8
        .value_kind:     global_buffer
      - .actual_access:  read_only
        .address_space:  global
        .offset:         72
        .size:           8
        .value_kind:     global_buffer
      - .actual_access:  read_only
        .address_space:  global
        .offset:         80
        .size:           8
        .value_kind:     global_buffer
      - .actual_access:  read_only
        .address_space:  global
        .offset:         88
        .size:           8
        .value_kind:     global_buffer
      - .offset:         96
        .size:           16
        .value_kind:     by_value
      - .address_space:  global
        .offset:         112
        .size:           8
        .value_kind:     global_buffer
      - .offset:         120
        .size:           4
        .value_kind:     by_value
      - .offset:         124
        .size:           1
        .value_kind:     by_value
    .group_segment_fixed_size: 0
    .kernarg_segment_align: 8
    .kernarg_segment_size: 128
    .language:       OpenCL C
    .language_version:
      - 2
      - 0
    .max_flat_workgroup_size: 256
    .name:           _ZN9rocsparseL41csrmvn_lrb_medium_rows_warp_reduce_kernelILj256ELj32Eli21rocsparse_complex_numIfES1_IdES3_S3_EEvbT1_lPT2_S6_jNS_24const_host_device_scalarIT6_EEPKS4_PKS5_PKT3_PKT4_S9_PT5_21rocsparse_index_base_b
    .private_segment_fixed_size: 0
    .sgpr_count:     14
    .sgpr_spill_count: 0
    .symbol:         _ZN9rocsparseL41csrmvn_lrb_medium_rows_warp_reduce_kernelILj256ELj32Eli21rocsparse_complex_numIfES1_IdES3_S3_EEvbT1_lPT2_S6_jNS_24const_host_device_scalarIT6_EEPKS4_PKS5_PKT3_PKT4_S9_PT5_21rocsparse_index_base_b.kd
    .uniform_work_group_size: 1
    .uses_dynamic_stack: false
    .vgpr_count:     34
    .vgpr_spill_count: 0
    .wavefront_size: 32
  - .args:
      - .offset:         0
        .size:           1
        .value_kind:     by_value
      - .offset:         8
        .size:           8
        .value_kind:     by_value
      - .offset:         16
        .size:           8
        .value_kind:     by_value
      - .actual_access:  read_only
        .address_space:  global
        .offset:         24
        .size:           8
        .value_kind:     global_buffer
      - .actual_access:  read_only
        .address_space:  global
        .offset:         32
        .size:           8
        .value_kind:     global_buffer
      - .offset:         40
        .size:           4
        .value_kind:     by_value
      - .offset:         48
        .size:           16
        .value_kind:     by_value
      - .actual_access:  read_only
        .address_space:  global
        .offset:         64
        .size:           8
        .value_kind:     global_buffer
      - .actual_access:  read_only
        .address_space:  global
        .offset:         72
        .size:           8
        .value_kind:     global_buffer
      - .actual_access:  read_only
        .address_space:  global
        .offset:         80
        .size:           8
        .value_kind:     global_buffer
      - .actual_access:  read_only
        .address_space:  global
        .offset:         88
        .size:           8
        .value_kind:     global_buffer
      - .offset:         96
        .size:           16
        .value_kind:     by_value
      - .address_space:  global
        .offset:         112
        .size:           8
        .value_kind:     global_buffer
      - .offset:         120
        .size:           4
        .value_kind:     by_value
      - .offset:         124
        .size:           1
        .value_kind:     by_value
    .group_segment_fixed_size: 0
    .kernarg_segment_align: 8
    .kernarg_segment_size: 128
    .language:       OpenCL C
    .language_version:
      - 2
      - 0
    .max_flat_workgroup_size: 256
    .name:           _ZN9rocsparseL41csrmvn_lrb_medium_rows_warp_reduce_kernelILj256ELj64Eli21rocsparse_complex_numIfES1_IdES3_S3_EEvbT1_lPT2_S6_jNS_24const_host_device_scalarIT6_EEPKS4_PKS5_PKT3_PKT4_S9_PT5_21rocsparse_index_base_b
    .private_segment_fixed_size: 0
    .sgpr_count:     14
    .sgpr_spill_count: 0
    .symbol:         _ZN9rocsparseL41csrmvn_lrb_medium_rows_warp_reduce_kernelILj256ELj64Eli21rocsparse_complex_numIfES1_IdES3_S3_EEvbT1_lPT2_S6_jNS_24const_host_device_scalarIT6_EEPKS4_PKS5_PKT3_PKT4_S9_PT5_21rocsparse_index_base_b.kd
    .uniform_work_group_size: 1
    .uses_dynamic_stack: false
    .vgpr_count:     34
    .vgpr_spill_count: 0
    .wavefront_size: 32
  - .args:
      - .offset:         0
        .size:           1
        .value_kind:     by_value
      - .offset:         8
        .size:           8
        .value_kind:     by_value
      - .actual_access:  read_only
        .address_space:  global
        .offset:         16
        .size:           8
        .value_kind:     global_buffer
      - .actual_access:  read_only
        .address_space:  global
        .offset:         24
        .size:           8
        .value_kind:     global_buffer
      - .offset:         32
        .size:           4
        .value_kind:     by_value
      - .offset:         40
        .size:           16
        .value_kind:     by_value
      - .actual_access:  read_only
        .address_space:  global
        .offset:         56
        .size:           8
        .value_kind:     global_buffer
      - .actual_access:  read_only
        .address_space:  global
        .offset:         64
        .size:           8
        .value_kind:     global_buffer
      - .actual_access:  read_only
        .address_space:  global
        .offset:         72
        .size:           8
        .value_kind:     global_buffer
      - .actual_access:  read_only
        .address_space:  global
        .offset:         80
        .size:           8
        .value_kind:     global_buffer
      - .offset:         88
        .size:           16
        .value_kind:     by_value
      - .address_space:  global
        .offset:         104
        .size:           8
        .value_kind:     global_buffer
      - .offset:         112
        .size:           4
        .value_kind:     by_value
      - .offset:         116
        .size:           1
        .value_kind:     by_value
    .group_segment_fixed_size: 4096
    .kernarg_segment_align: 8
    .kernarg_segment_size: 120
    .language:       OpenCL C
    .language_version:
      - 2
      - 0
    .max_flat_workgroup_size: 256
    .name:           _ZN9rocsparseL29csrmvn_lrb_medium_rows_kernelILj256Eli21rocsparse_complex_numIfES1_IdES3_S3_EEvbT0_PT1_S6_jNS_24const_host_device_scalarIT5_EEPKS4_PKS5_PKT2_PKT3_S9_PT4_21rocsparse_index_base_b
    .private_segment_fixed_size: 0
    .sgpr_count:     18
    .sgpr_spill_count: 0
    .symbol:         _ZN9rocsparseL29csrmvn_lrb_medium_rows_kernelILj256Eli21rocsparse_complex_numIfES1_IdES3_S3_EEvbT0_PT1_S6_jNS_24const_host_device_scalarIT5_EEPKS4_PKS5_PKT2_PKT3_S9_PT4_21rocsparse_index_base_b.kd
    .uniform_work_group_size: 1
    .uses_dynamic_stack: false
    .vgpr_count:     30
    .vgpr_spill_count: 0
    .wavefront_size: 32
  - .args:
      - .offset:         0
        .size:           1
        .value_kind:     by_value
      - .offset:         8
        .size:           8
        .value_kind:     by_value
      - .address_space:  global
        .offset:         16
        .size:           8
        .value_kind:     global_buffer
      - .actual_access:  read_only
        .address_space:  global
        .offset:         24
        .size:           8
        .value_kind:     global_buffer
      - .actual_access:  read_only
        .address_space:  global
        .offset:         32
        .size:           8
        .value_kind:     global_buffer
      - .offset:         40
        .size:           4
        .value_kind:     by_value
      - .offset:         48
        .size:           16
        .value_kind:     by_value
      - .actual_access:  read_only
        .address_space:  global
        .offset:         64
        .size:           8
        .value_kind:     global_buffer
      - .actual_access:  read_only
        .address_space:  global
        .offset:         72
        .size:           8
        .value_kind:     global_buffer
      - .actual_access:  read_only
        .address_space:  global
        .offset:         80
        .size:           8
        .value_kind:     global_buffer
      - .actual_access:  read_only
        .address_space:  global
        .offset:         88
        .size:           8
        .value_kind:     global_buffer
      - .offset:         96
        .size:           16
        .value_kind:     by_value
      - .address_space:  global
        .offset:         112
        .size:           8
        .value_kind:     global_buffer
      - .offset:         120
        .size:           4
        .value_kind:     by_value
      - .offset:         124
        .size:           1
        .value_kind:     by_value
    .group_segment_fixed_size: 4096
    .kernarg_segment_align: 8
    .kernarg_segment_size: 128
    .language:       OpenCL C
    .language_version:
      - 2
      - 0
    .max_flat_workgroup_size: 256
    .name:           _ZN9rocsparseL27csrmvn_lrb_long_rows_kernelIli21rocsparse_complex_numIfES1_IdES3_S3_EEvbT_PjPT0_S7_jNS_24const_host_device_scalarIT4_EEPKS4_PKS6_PKT1_PKT2_SA_PT3_21rocsparse_index_base_b
    .private_segment_fixed_size: 0
    .sgpr_count:     30
    .sgpr_spill_count: 0
    .symbol:         _ZN9rocsparseL27csrmvn_lrb_long_rows_kernelIli21rocsparse_complex_numIfES1_IdES3_S3_EEvbT_PjPT0_S7_jNS_24const_host_device_scalarIT4_EEPKS4_PKS6_PKT1_PKT2_SA_PT3_21rocsparse_index_base_b.kd
    .uniform_work_group_size: 1
    .uses_dynamic_stack: false
    .vgpr_count:     28
    .vgpr_spill_count: 0
    .wavefront_size: 32
  - .args:
      - .offset:         0
        .size:           1
        .value_kind:     by_value
      - .offset:         8
        .size:           8
        .value_kind:     by_value
      - .actual_access:  read_only
        .address_space:  global
        .offset:         16
        .size:           8
        .value_kind:     global_buffer
      - .actual_access:  read_only
        .address_space:  global
        .offset:         24
        .size:           8
        .value_kind:     global_buffer
      - .offset:         32
        .size:           4
        .value_kind:     by_value
      - .offset:         40
        .size:           16
        .value_kind:     by_value
      - .actual_access:  read_only
        .address_space:  global
        .offset:         56
        .size:           8
        .value_kind:     global_buffer
      - .actual_access:  read_only
        .address_space:  global
        .offset:         64
        .size:           8
        .value_kind:     global_buffer
      - .actual_access:  read_only
        .address_space:  global
        .offset:         72
        .size:           8
        .value_kind:     global_buffer
      - .actual_access:  read_only
        .address_space:  global
        .offset:         80
        .size:           8
        .value_kind:     global_buffer
      - .offset:         88
        .size:           16
        .value_kind:     by_value
      - .address_space:  global
        .offset:         104
        .size:           8
        .value_kind:     global_buffer
      - .offset:         112
        .size:           4
        .value_kind:     by_value
      - .offset:         116
        .size:           1
        .value_kind:     by_value
    .group_segment_fixed_size: 0
    .kernarg_segment_align: 8
    .kernarg_segment_size: 120
    .language:       OpenCL C
    .language_version:
      - 2
      - 0
    .max_flat_workgroup_size: 256
    .name:           _ZN9rocsparseL28csrmvn_lrb_short_rows_kernelIll21rocsparse_complex_numIfES1_IdES3_S3_EEvbT_PT0_S6_jNS_24const_host_device_scalarIT4_EEPKS4_PKS5_PKT1_PKT2_S9_PT3_21rocsparse_index_base_b
    .private_segment_fixed_size: 0
    .sgpr_count:     28
    .sgpr_spill_count: 0
    .symbol:         _ZN9rocsparseL28csrmvn_lrb_short_rows_kernelIll21rocsparse_complex_numIfES1_IdES3_S3_EEvbT_PT0_S6_jNS_24const_host_device_scalarIT4_EEPKS4_PKS5_PKT1_PKT2_S9_PT3_21rocsparse_index_base_b.kd
    .uniform_work_group_size: 1
    .uses_dynamic_stack: false
    .vgpr_count:     26
    .vgpr_spill_count: 0
    .wavefront_size: 32
  - .args:
      - .offset:         0
        .size:           1
        .value_kind:     by_value
      - .offset:         8
        .size:           8
        .value_kind:     by_value
      - .actual_access:  read_only
        .address_space:  global
        .offset:         16
        .size:           8
        .value_kind:     global_buffer
      - .actual_access:  read_only
        .address_space:  global
        .offset:         24
        .size:           8
        .value_kind:     global_buffer
      - .offset:         32
        .size:           4
        .value_kind:     by_value
      - .offset:         40
        .size:           16
        .value_kind:     by_value
      - .actual_access:  read_only
        .address_space:  global
        .offset:         56
        .size:           8
        .value_kind:     global_buffer
      - .actual_access:  read_only
        .address_space:  global
        .offset:         64
        .size:           8
        .value_kind:     global_buffer
      - .actual_access:  read_only
        .address_space:  global
        .offset:         72
        .size:           8
        .value_kind:     global_buffer
      - .actual_access:  read_only
        .address_space:  global
        .offset:         80
        .size:           8
        .value_kind:     global_buffer
      - .offset:         88
        .size:           16
        .value_kind:     by_value
      - .address_space:  global
        .offset:         104
        .size:           8
        .value_kind:     global_buffer
      - .offset:         112
        .size:           4
        .value_kind:     by_value
      - .offset:         116
        .size:           1
        .value_kind:     by_value
    .group_segment_fixed_size: 16384
    .kernarg_segment_align: 8
    .kernarg_segment_size: 120
    .language:       OpenCL C
    .language_version:
      - 2
      - 0
    .max_flat_workgroup_size: 256
    .name:           _ZN9rocsparseL30csrmvn_lrb_short_rows_2_kernelIll21rocsparse_complex_numIfES1_IdES3_S3_EEvbT_PT0_S6_jNS_24const_host_device_scalarIT4_EEPKS4_PKS5_PKT1_PKT2_S9_PT3_21rocsparse_index_base_b
    .private_segment_fixed_size: 0
    .sgpr_count:     28
    .sgpr_spill_count: 0
    .symbol:         _ZN9rocsparseL30csrmvn_lrb_short_rows_2_kernelIll21rocsparse_complex_numIfES1_IdES3_S3_EEvbT_PT0_S6_jNS_24const_host_device_scalarIT4_EEPKS4_PKS5_PKT1_PKT2_S9_PT3_21rocsparse_index_base_b.kd
    .uniform_work_group_size: 1
    .uses_dynamic_stack: false
    .vgpr_count:     24
    .vgpr_spill_count: 0
    .wavefront_size: 32
  - .args:
      - .offset:         0
        .size:           1
        .value_kind:     by_value
      - .offset:         8
        .size:           8
        .value_kind:     by_value
      - .offset:         16
        .size:           8
        .value_kind:     by_value
      - .actual_access:  read_only
        .address_space:  global
        .offset:         24
        .size:           8
        .value_kind:     global_buffer
      - .actual_access:  read_only
        .address_space:  global
        .offset:         32
        .size:           8
        .value_kind:     global_buffer
      - .offset:         40
        .size:           4
        .value_kind:     by_value
      - .offset:         48
        .size:           16
        .value_kind:     by_value
      - .actual_access:  read_only
        .address_space:  global
        .offset:         64
        .size:           8
        .value_kind:     global_buffer
      - .actual_access:  read_only
        .address_space:  global
        .offset:         72
        .size:           8
        .value_kind:     global_buffer
      - .actual_access:  read_only
        .address_space:  global
        .offset:         80
        .size:           8
        .value_kind:     global_buffer
      - .actual_access:  read_only
        .address_space:  global
        .offset:         88
        .size:           8
        .value_kind:     global_buffer
      - .offset:         96
        .size:           16
        .value_kind:     by_value
      - .address_space:  global
        .offset:         112
        .size:           8
        .value_kind:     global_buffer
      - .offset:         120
        .size:           4
        .value_kind:     by_value
      - .offset:         124
        .size:           1
        .value_kind:     by_value
    .group_segment_fixed_size: 0
    .kernarg_segment_align: 8
    .kernarg_segment_size: 128
    .language:       OpenCL C
    .language_version:
      - 2
      - 0
    .max_flat_workgroup_size: 256
    .name:           _ZN9rocsparseL41csrmvn_lrb_medium_rows_warp_reduce_kernelILj256ELj32Ell21rocsparse_complex_numIfES1_IdES3_S3_EEvbT1_lPT2_S6_jNS_24const_host_device_scalarIT6_EEPKS4_PKS5_PKT3_PKT4_S9_PT5_21rocsparse_index_base_b
    .private_segment_fixed_size: 0
    .sgpr_count:     14
    .sgpr_spill_count: 0
    .symbol:         _ZN9rocsparseL41csrmvn_lrb_medium_rows_warp_reduce_kernelILj256ELj32Ell21rocsparse_complex_numIfES1_IdES3_S3_EEvbT1_lPT2_S6_jNS_24const_host_device_scalarIT6_EEPKS4_PKS5_PKT3_PKT4_S9_PT5_21rocsparse_index_base_b.kd
    .uniform_work_group_size: 1
    .uses_dynamic_stack: false
    .vgpr_count:     34
    .vgpr_spill_count: 0
    .wavefront_size: 32
  - .args:
      - .offset:         0
        .size:           1
        .value_kind:     by_value
      - .offset:         8
        .size:           8
        .value_kind:     by_value
      - .offset:         16
        .size:           8
        .value_kind:     by_value
      - .actual_access:  read_only
        .address_space:  global
        .offset:         24
        .size:           8
        .value_kind:     global_buffer
      - .actual_access:  read_only
        .address_space:  global
        .offset:         32
        .size:           8
        .value_kind:     global_buffer
      - .offset:         40
        .size:           4
        .value_kind:     by_value
      - .offset:         48
        .size:           16
        .value_kind:     by_value
      - .actual_access:  read_only
        .address_space:  global
        .offset:         64
        .size:           8
        .value_kind:     global_buffer
      - .actual_access:  read_only
        .address_space:  global
        .offset:         72
        .size:           8
        .value_kind:     global_buffer
      - .actual_access:  read_only
        .address_space:  global
        .offset:         80
        .size:           8
        .value_kind:     global_buffer
      - .actual_access:  read_only
        .address_space:  global
        .offset:         88
        .size:           8
        .value_kind:     global_buffer
      - .offset:         96
        .size:           16
        .value_kind:     by_value
      - .address_space:  global
        .offset:         112
        .size:           8
        .value_kind:     global_buffer
      - .offset:         120
        .size:           4
        .value_kind:     by_value
      - .offset:         124
        .size:           1
        .value_kind:     by_value
    .group_segment_fixed_size: 0
    .kernarg_segment_align: 8
    .kernarg_segment_size: 128
    .language:       OpenCL C
    .language_version:
      - 2
      - 0
    .max_flat_workgroup_size: 256
    .name:           _ZN9rocsparseL41csrmvn_lrb_medium_rows_warp_reduce_kernelILj256ELj64Ell21rocsparse_complex_numIfES1_IdES3_S3_EEvbT1_lPT2_S6_jNS_24const_host_device_scalarIT6_EEPKS4_PKS5_PKT3_PKT4_S9_PT5_21rocsparse_index_base_b
    .private_segment_fixed_size: 0
    .sgpr_count:     14
    .sgpr_spill_count: 0
    .symbol:         _ZN9rocsparseL41csrmvn_lrb_medium_rows_warp_reduce_kernelILj256ELj64Ell21rocsparse_complex_numIfES1_IdES3_S3_EEvbT1_lPT2_S6_jNS_24const_host_device_scalarIT6_EEPKS4_PKS5_PKT3_PKT4_S9_PT5_21rocsparse_index_base_b.kd
    .uniform_work_group_size: 1
    .uses_dynamic_stack: false
    .vgpr_count:     34
    .vgpr_spill_count: 0
    .wavefront_size: 32
  - .args:
      - .offset:         0
        .size:           1
        .value_kind:     by_value
      - .offset:         8
        .size:           8
        .value_kind:     by_value
      - .actual_access:  read_only
        .address_space:  global
        .offset:         16
        .size:           8
        .value_kind:     global_buffer
      - .actual_access:  read_only
        .address_space:  global
        .offset:         24
        .size:           8
        .value_kind:     global_buffer
      - .offset:         32
        .size:           4
        .value_kind:     by_value
      - .offset:         40
        .size:           16
        .value_kind:     by_value
      - .actual_access:  read_only
        .address_space:  global
        .offset:         56
        .size:           8
        .value_kind:     global_buffer
      - .actual_access:  read_only
        .address_space:  global
        .offset:         64
        .size:           8
        .value_kind:     global_buffer
      - .actual_access:  read_only
        .address_space:  global
        .offset:         72
        .size:           8
        .value_kind:     global_buffer
      - .actual_access:  read_only
        .address_space:  global
        .offset:         80
        .size:           8
        .value_kind:     global_buffer
      - .offset:         88
        .size:           16
        .value_kind:     by_value
      - .address_space:  global
        .offset:         104
        .size:           8
        .value_kind:     global_buffer
      - .offset:         112
        .size:           4
        .value_kind:     by_value
      - .offset:         116
        .size:           1
        .value_kind:     by_value
    .group_segment_fixed_size: 4096
    .kernarg_segment_align: 8
    .kernarg_segment_size: 120
    .language:       OpenCL C
    .language_version:
      - 2
      - 0
    .max_flat_workgroup_size: 256
    .name:           _ZN9rocsparseL29csrmvn_lrb_medium_rows_kernelILj256Ell21rocsparse_complex_numIfES1_IdES3_S3_EEvbT0_PT1_S6_jNS_24const_host_device_scalarIT5_EEPKS4_PKS5_PKT2_PKT3_S9_PT4_21rocsparse_index_base_b
    .private_segment_fixed_size: 0
    .sgpr_count:     18
    .sgpr_spill_count: 0
    .symbol:         _ZN9rocsparseL29csrmvn_lrb_medium_rows_kernelILj256Ell21rocsparse_complex_numIfES1_IdES3_S3_EEvbT0_PT1_S6_jNS_24const_host_device_scalarIT5_EEPKS4_PKS5_PKT2_PKT3_S9_PT4_21rocsparse_index_base_b.kd
    .uniform_work_group_size: 1
    .uses_dynamic_stack: false
    .vgpr_count:     30
    .vgpr_spill_count: 0
    .wavefront_size: 32
  - .args:
      - .offset:         0
        .size:           1
        .value_kind:     by_value
      - .offset:         8
        .size:           8
        .value_kind:     by_value
      - .address_space:  global
        .offset:         16
        .size:           8
        .value_kind:     global_buffer
      - .actual_access:  read_only
        .address_space:  global
        .offset:         24
        .size:           8
        .value_kind:     global_buffer
      - .actual_access:  read_only
        .address_space:  global
        .offset:         32
        .size:           8
        .value_kind:     global_buffer
      - .offset:         40
        .size:           4
        .value_kind:     by_value
      - .offset:         48
        .size:           16
        .value_kind:     by_value
      - .actual_access:  read_only
        .address_space:  global
        .offset:         64
        .size:           8
        .value_kind:     global_buffer
      - .actual_access:  read_only
        .address_space:  global
        .offset:         72
        .size:           8
        .value_kind:     global_buffer
      - .actual_access:  read_only
        .address_space:  global
        .offset:         80
        .size:           8
        .value_kind:     global_buffer
      - .actual_access:  read_only
        .address_space:  global
        .offset:         88
        .size:           8
        .value_kind:     global_buffer
      - .offset:         96
        .size:           16
        .value_kind:     by_value
      - .address_space:  global
        .offset:         112
        .size:           8
        .value_kind:     global_buffer
      - .offset:         120
        .size:           4
        .value_kind:     by_value
      - .offset:         124
        .size:           1
        .value_kind:     by_value
    .group_segment_fixed_size: 4096
    .kernarg_segment_align: 8
    .kernarg_segment_size: 128
    .language:       OpenCL C
    .language_version:
      - 2
      - 0
    .max_flat_workgroup_size: 256
    .name:           _ZN9rocsparseL27csrmvn_lrb_long_rows_kernelIll21rocsparse_complex_numIfES1_IdES3_S3_EEvbT_PjPT0_S7_jNS_24const_host_device_scalarIT4_EEPKS4_PKS6_PKT1_PKT2_SA_PT3_21rocsparse_index_base_b
    .private_segment_fixed_size: 0
    .sgpr_count:     32
    .sgpr_spill_count: 0
    .symbol:         _ZN9rocsparseL27csrmvn_lrb_long_rows_kernelIll21rocsparse_complex_numIfES1_IdES3_S3_EEvbT_PjPT0_S7_jNS_24const_host_device_scalarIT4_EEPKS4_PKS6_PKT1_PKT2_SA_PT3_21rocsparse_index_base_b.kd
    .uniform_work_group_size: 1
    .uses_dynamic_stack: false
    .vgpr_count:     28
    .vgpr_spill_count: 0
    .wavefront_size: 32
amdhsa.target:   amdgcn-amd-amdhsa--gfx1250
amdhsa.version:
  - 1
  - 2
...

	.end_amdgpu_metadata
